;; amdgpu-corpus repo=ROCm/rocThrust kind=compiled arch=gfx1250 opt=O3
	.amdgcn_target "amdgcn-amd-amdhsa--gfx1250"
	.amdhsa_code_object_version 6
	.section	.text._ZN6thrust23THRUST_200600_302600_NS11hip_rocprim14__parallel_for6kernelILj256ENS1_20__uninitialized_fill7functorINS0_10device_ptrIaEEaEEmLj1EEEvT0_T1_SA_,"axG",@progbits,_ZN6thrust23THRUST_200600_302600_NS11hip_rocprim14__parallel_for6kernelILj256ENS1_20__uninitialized_fill7functorINS0_10device_ptrIaEEaEEmLj1EEEvT0_T1_SA_,comdat
	.protected	_ZN6thrust23THRUST_200600_302600_NS11hip_rocprim14__parallel_for6kernelILj256ENS1_20__uninitialized_fill7functorINS0_10device_ptrIaEEaEEmLj1EEEvT0_T1_SA_ ; -- Begin function _ZN6thrust23THRUST_200600_302600_NS11hip_rocprim14__parallel_for6kernelILj256ENS1_20__uninitialized_fill7functorINS0_10device_ptrIaEEaEEmLj1EEEvT0_T1_SA_
	.globl	_ZN6thrust23THRUST_200600_302600_NS11hip_rocprim14__parallel_for6kernelILj256ENS1_20__uninitialized_fill7functorINS0_10device_ptrIaEEaEEmLj1EEEvT0_T1_SA_
	.p2align	8
	.type	_ZN6thrust23THRUST_200600_302600_NS11hip_rocprim14__parallel_for6kernelILj256ENS1_20__uninitialized_fill7functorINS0_10device_ptrIaEEaEEmLj1EEEvT0_T1_SA_,@function
_ZN6thrust23THRUST_200600_302600_NS11hip_rocprim14__parallel_for6kernelILj256ENS1_20__uninitialized_fill7functorINS0_10device_ptrIaEEaEEmLj1EEEvT0_T1_SA_: ; @_ZN6thrust23THRUST_200600_302600_NS11hip_rocprim14__parallel_for6kernelILj256ENS1_20__uninitialized_fill7functorINS0_10device_ptrIaEEaEEmLj1EEEvT0_T1_SA_
; %bb.0:
	s_load_b128 s[8:11], s[0:1], 0x10
	s_bfe_u32 s2, ttmp6, 0x4000c
	s_and_b32 s3, ttmp6, 15
	s_add_co_i32 s2, s2, 1
	s_getreg_b32 s4, hwreg(HW_REG_IB_STS2, 6, 4)
	s_mul_i32 s2, ttmp9, s2
	s_delay_alu instid0(SALU_CYCLE_1)
	s_add_co_i32 s3, s3, s2
	s_cmp_eq_u32 s4, 0
	s_load_b96 s[4:6], s[0:1], 0x0
	s_wait_xcnt 0x0
	s_cselect_b32 s0, ttmp9, s3
	s_mov_b32 s1, 0
	s_lshl_b32 s0, s0, 8
	s_wait_kmcnt 0x0
	s_add_nc_u64 s[0:1], s[10:11], s[0:1]
	s_delay_alu instid0(SALU_CYCLE_1) | instskip(NEXT) | instid1(SALU_CYCLE_1)
	s_sub_nc_u64 s[2:3], s[8:9], s[0:1]
	v_cmp_lt_u64_e64 s3, 0xff, s[2:3]
	s_and_b32 vcc_lo, exec_lo, s3
	s_mov_b32 s3, -1
	s_cbranch_vccz .LBB0_3
; %bb.1:
	s_and_not1_b32 vcc_lo, exec_lo, s3
	s_cbranch_vccz .LBB0_6
.LBB0_2:
	s_endpgm
.LBB0_3:
	v_cmp_gt_u32_e32 vcc_lo, s2, v0
	s_and_saveexec_b32 s2, vcc_lo
	s_cbranch_execz .LBB0_5
; %bb.4:
	v_mov_b32_e32 v1, s6
	s_add_nc_u64 s[8:9], s[4:5], s[0:1]
	flat_store_b8 v0, v1, s[8:9]
.LBB0_5:
	s_wait_xcnt 0x0
	s_or_b32 exec_lo, exec_lo, s2
	s_cbranch_execnz .LBB0_2
.LBB0_6:
	v_mov_b32_e32 v1, s6
	s_add_nc_u64 s[0:1], s[4:5], s[0:1]
	flat_store_b8 v0, v1, s[0:1]
	s_endpgm
	.section	.rodata,"a",@progbits
	.p2align	6, 0x0
	.amdhsa_kernel _ZN6thrust23THRUST_200600_302600_NS11hip_rocprim14__parallel_for6kernelILj256ENS1_20__uninitialized_fill7functorINS0_10device_ptrIaEEaEEmLj1EEEvT0_T1_SA_
		.amdhsa_group_segment_fixed_size 0
		.amdhsa_private_segment_fixed_size 0
		.amdhsa_kernarg_size 32
		.amdhsa_user_sgpr_count 2
		.amdhsa_user_sgpr_dispatch_ptr 0
		.amdhsa_user_sgpr_queue_ptr 0
		.amdhsa_user_sgpr_kernarg_segment_ptr 1
		.amdhsa_user_sgpr_dispatch_id 0
		.amdhsa_user_sgpr_kernarg_preload_length 0
		.amdhsa_user_sgpr_kernarg_preload_offset 0
		.amdhsa_user_sgpr_private_segment_size 0
		.amdhsa_wavefront_size32 1
		.amdhsa_uses_dynamic_stack 0
		.amdhsa_enable_private_segment 0
		.amdhsa_system_sgpr_workgroup_id_x 1
		.amdhsa_system_sgpr_workgroup_id_y 0
		.amdhsa_system_sgpr_workgroup_id_z 0
		.amdhsa_system_sgpr_workgroup_info 0
		.amdhsa_system_vgpr_workitem_id 0
		.amdhsa_next_free_vgpr 2
		.amdhsa_next_free_sgpr 12
		.amdhsa_named_barrier_count 0
		.amdhsa_reserve_vcc 1
		.amdhsa_float_round_mode_32 0
		.amdhsa_float_round_mode_16_64 0
		.amdhsa_float_denorm_mode_32 3
		.amdhsa_float_denorm_mode_16_64 3
		.amdhsa_fp16_overflow 0
		.amdhsa_memory_ordered 1
		.amdhsa_forward_progress 1
		.amdhsa_inst_pref_size 2
		.amdhsa_round_robin_scheduling 0
		.amdhsa_exception_fp_ieee_invalid_op 0
		.amdhsa_exception_fp_denorm_src 0
		.amdhsa_exception_fp_ieee_div_zero 0
		.amdhsa_exception_fp_ieee_overflow 0
		.amdhsa_exception_fp_ieee_underflow 0
		.amdhsa_exception_fp_ieee_inexact 0
		.amdhsa_exception_int_div_zero 0
	.end_amdhsa_kernel
	.section	.text._ZN6thrust23THRUST_200600_302600_NS11hip_rocprim14__parallel_for6kernelILj256ENS1_20__uninitialized_fill7functorINS0_10device_ptrIaEEaEEmLj1EEEvT0_T1_SA_,"axG",@progbits,_ZN6thrust23THRUST_200600_302600_NS11hip_rocprim14__parallel_for6kernelILj256ENS1_20__uninitialized_fill7functorINS0_10device_ptrIaEEaEEmLj1EEEvT0_T1_SA_,comdat
.Lfunc_end0:
	.size	_ZN6thrust23THRUST_200600_302600_NS11hip_rocprim14__parallel_for6kernelILj256ENS1_20__uninitialized_fill7functorINS0_10device_ptrIaEEaEEmLj1EEEvT0_T1_SA_, .Lfunc_end0-_ZN6thrust23THRUST_200600_302600_NS11hip_rocprim14__parallel_for6kernelILj256ENS1_20__uninitialized_fill7functorINS0_10device_ptrIaEEaEEmLj1EEEvT0_T1_SA_
                                        ; -- End function
	.set _ZN6thrust23THRUST_200600_302600_NS11hip_rocprim14__parallel_for6kernelILj256ENS1_20__uninitialized_fill7functorINS0_10device_ptrIaEEaEEmLj1EEEvT0_T1_SA_.num_vgpr, 2
	.set _ZN6thrust23THRUST_200600_302600_NS11hip_rocprim14__parallel_for6kernelILj256ENS1_20__uninitialized_fill7functorINS0_10device_ptrIaEEaEEmLj1EEEvT0_T1_SA_.num_agpr, 0
	.set _ZN6thrust23THRUST_200600_302600_NS11hip_rocprim14__parallel_for6kernelILj256ENS1_20__uninitialized_fill7functorINS0_10device_ptrIaEEaEEmLj1EEEvT0_T1_SA_.numbered_sgpr, 12
	.set _ZN6thrust23THRUST_200600_302600_NS11hip_rocprim14__parallel_for6kernelILj256ENS1_20__uninitialized_fill7functorINS0_10device_ptrIaEEaEEmLj1EEEvT0_T1_SA_.num_named_barrier, 0
	.set _ZN6thrust23THRUST_200600_302600_NS11hip_rocprim14__parallel_for6kernelILj256ENS1_20__uninitialized_fill7functorINS0_10device_ptrIaEEaEEmLj1EEEvT0_T1_SA_.private_seg_size, 0
	.set _ZN6thrust23THRUST_200600_302600_NS11hip_rocprim14__parallel_for6kernelILj256ENS1_20__uninitialized_fill7functorINS0_10device_ptrIaEEaEEmLj1EEEvT0_T1_SA_.uses_vcc, 1
	.set _ZN6thrust23THRUST_200600_302600_NS11hip_rocprim14__parallel_for6kernelILj256ENS1_20__uninitialized_fill7functorINS0_10device_ptrIaEEaEEmLj1EEEvT0_T1_SA_.uses_flat_scratch, 0
	.set _ZN6thrust23THRUST_200600_302600_NS11hip_rocprim14__parallel_for6kernelILj256ENS1_20__uninitialized_fill7functorINS0_10device_ptrIaEEaEEmLj1EEEvT0_T1_SA_.has_dyn_sized_stack, 0
	.set _ZN6thrust23THRUST_200600_302600_NS11hip_rocprim14__parallel_for6kernelILj256ENS1_20__uninitialized_fill7functorINS0_10device_ptrIaEEaEEmLj1EEEvT0_T1_SA_.has_recursion, 0
	.set _ZN6thrust23THRUST_200600_302600_NS11hip_rocprim14__parallel_for6kernelILj256ENS1_20__uninitialized_fill7functorINS0_10device_ptrIaEEaEEmLj1EEEvT0_T1_SA_.has_indirect_call, 0
	.section	.AMDGPU.csdata,"",@progbits
; Kernel info:
; codeLenInByte = 188
; TotalNumSgprs: 14
; NumVgprs: 2
; ScratchSize: 0
; MemoryBound: 0
; FloatMode: 240
; IeeeMode: 1
; LDSByteSize: 0 bytes/workgroup (compile time only)
; SGPRBlocks: 0
; VGPRBlocks: 0
; NumSGPRsForWavesPerEU: 14
; NumVGPRsForWavesPerEU: 2
; NamedBarCnt: 0
; Occupancy: 16
; WaveLimiterHint : 0
; COMPUTE_PGM_RSRC2:SCRATCH_EN: 0
; COMPUTE_PGM_RSRC2:USER_SGPR: 2
; COMPUTE_PGM_RSRC2:TRAP_HANDLER: 0
; COMPUTE_PGM_RSRC2:TGID_X_EN: 1
; COMPUTE_PGM_RSRC2:TGID_Y_EN: 0
; COMPUTE_PGM_RSRC2:TGID_Z_EN: 0
; COMPUTE_PGM_RSRC2:TIDIG_COMP_CNT: 0
	.section	.text._ZN7rocprim17ROCPRIM_400000_NS6detail17trampoline_kernelINS0_14default_configENS1_27lower_bound_config_selectorIalEEZNS1_14transform_implILb0ES3_S5_N6thrust23THRUST_200600_302600_NS6detail15normal_iteratorINS8_7pointerIaNS8_11hip_rocprim3tagENS8_11use_defaultESE_EEEENSA_INSB_IlSD_SE_SE_EEEEZNS1_13binary_searchIS3_S5_NSA_INS8_10device_ptrIaEEEESG_SI_NS1_21lower_bound_search_opENS9_16wrapped_functionINS8_7greaterIaEEbEEEE10hipError_tPvRmT1_T2_T3_mmT4_T5_P12ihipStream_tbEUlRKaE_EESS_SW_SX_mSY_S11_bEUlT_E_NS1_11comp_targetILNS1_3genE0ELNS1_11target_archE4294967295ELNS1_3gpuE0ELNS1_3repE0EEENS1_30default_config_static_selectorELNS0_4arch9wavefront6targetE0EEEvSV_,"axG",@progbits,_ZN7rocprim17ROCPRIM_400000_NS6detail17trampoline_kernelINS0_14default_configENS1_27lower_bound_config_selectorIalEEZNS1_14transform_implILb0ES3_S5_N6thrust23THRUST_200600_302600_NS6detail15normal_iteratorINS8_7pointerIaNS8_11hip_rocprim3tagENS8_11use_defaultESE_EEEENSA_INSB_IlSD_SE_SE_EEEEZNS1_13binary_searchIS3_S5_NSA_INS8_10device_ptrIaEEEESG_SI_NS1_21lower_bound_search_opENS9_16wrapped_functionINS8_7greaterIaEEbEEEE10hipError_tPvRmT1_T2_T3_mmT4_T5_P12ihipStream_tbEUlRKaE_EESS_SW_SX_mSY_S11_bEUlT_E_NS1_11comp_targetILNS1_3genE0ELNS1_11target_archE4294967295ELNS1_3gpuE0ELNS1_3repE0EEENS1_30default_config_static_selectorELNS0_4arch9wavefront6targetE0EEEvSV_,comdat
	.protected	_ZN7rocprim17ROCPRIM_400000_NS6detail17trampoline_kernelINS0_14default_configENS1_27lower_bound_config_selectorIalEEZNS1_14transform_implILb0ES3_S5_N6thrust23THRUST_200600_302600_NS6detail15normal_iteratorINS8_7pointerIaNS8_11hip_rocprim3tagENS8_11use_defaultESE_EEEENSA_INSB_IlSD_SE_SE_EEEEZNS1_13binary_searchIS3_S5_NSA_INS8_10device_ptrIaEEEESG_SI_NS1_21lower_bound_search_opENS9_16wrapped_functionINS8_7greaterIaEEbEEEE10hipError_tPvRmT1_T2_T3_mmT4_T5_P12ihipStream_tbEUlRKaE_EESS_SW_SX_mSY_S11_bEUlT_E_NS1_11comp_targetILNS1_3genE0ELNS1_11target_archE4294967295ELNS1_3gpuE0ELNS1_3repE0EEENS1_30default_config_static_selectorELNS0_4arch9wavefront6targetE0EEEvSV_ ; -- Begin function _ZN7rocprim17ROCPRIM_400000_NS6detail17trampoline_kernelINS0_14default_configENS1_27lower_bound_config_selectorIalEEZNS1_14transform_implILb0ES3_S5_N6thrust23THRUST_200600_302600_NS6detail15normal_iteratorINS8_7pointerIaNS8_11hip_rocprim3tagENS8_11use_defaultESE_EEEENSA_INSB_IlSD_SE_SE_EEEEZNS1_13binary_searchIS3_S5_NSA_INS8_10device_ptrIaEEEESG_SI_NS1_21lower_bound_search_opENS9_16wrapped_functionINS8_7greaterIaEEbEEEE10hipError_tPvRmT1_T2_T3_mmT4_T5_P12ihipStream_tbEUlRKaE_EESS_SW_SX_mSY_S11_bEUlT_E_NS1_11comp_targetILNS1_3genE0ELNS1_11target_archE4294967295ELNS1_3gpuE0ELNS1_3repE0EEENS1_30default_config_static_selectorELNS0_4arch9wavefront6targetE0EEEvSV_
	.globl	_ZN7rocprim17ROCPRIM_400000_NS6detail17trampoline_kernelINS0_14default_configENS1_27lower_bound_config_selectorIalEEZNS1_14transform_implILb0ES3_S5_N6thrust23THRUST_200600_302600_NS6detail15normal_iteratorINS8_7pointerIaNS8_11hip_rocprim3tagENS8_11use_defaultESE_EEEENSA_INSB_IlSD_SE_SE_EEEEZNS1_13binary_searchIS3_S5_NSA_INS8_10device_ptrIaEEEESG_SI_NS1_21lower_bound_search_opENS9_16wrapped_functionINS8_7greaterIaEEbEEEE10hipError_tPvRmT1_T2_T3_mmT4_T5_P12ihipStream_tbEUlRKaE_EESS_SW_SX_mSY_S11_bEUlT_E_NS1_11comp_targetILNS1_3genE0ELNS1_11target_archE4294967295ELNS1_3gpuE0ELNS1_3repE0EEENS1_30default_config_static_selectorELNS0_4arch9wavefront6targetE0EEEvSV_
	.p2align	8
	.type	_ZN7rocprim17ROCPRIM_400000_NS6detail17trampoline_kernelINS0_14default_configENS1_27lower_bound_config_selectorIalEEZNS1_14transform_implILb0ES3_S5_N6thrust23THRUST_200600_302600_NS6detail15normal_iteratorINS8_7pointerIaNS8_11hip_rocprim3tagENS8_11use_defaultESE_EEEENSA_INSB_IlSD_SE_SE_EEEEZNS1_13binary_searchIS3_S5_NSA_INS8_10device_ptrIaEEEESG_SI_NS1_21lower_bound_search_opENS9_16wrapped_functionINS8_7greaterIaEEbEEEE10hipError_tPvRmT1_T2_T3_mmT4_T5_P12ihipStream_tbEUlRKaE_EESS_SW_SX_mSY_S11_bEUlT_E_NS1_11comp_targetILNS1_3genE0ELNS1_11target_archE4294967295ELNS1_3gpuE0ELNS1_3repE0EEENS1_30default_config_static_selectorELNS0_4arch9wavefront6targetE0EEEvSV_,@function
_ZN7rocprim17ROCPRIM_400000_NS6detail17trampoline_kernelINS0_14default_configENS1_27lower_bound_config_selectorIalEEZNS1_14transform_implILb0ES3_S5_N6thrust23THRUST_200600_302600_NS6detail15normal_iteratorINS8_7pointerIaNS8_11hip_rocprim3tagENS8_11use_defaultESE_EEEENSA_INSB_IlSD_SE_SE_EEEEZNS1_13binary_searchIS3_S5_NSA_INS8_10device_ptrIaEEEESG_SI_NS1_21lower_bound_search_opENS9_16wrapped_functionINS8_7greaterIaEEbEEEE10hipError_tPvRmT1_T2_T3_mmT4_T5_P12ihipStream_tbEUlRKaE_EESS_SW_SX_mSY_S11_bEUlT_E_NS1_11comp_targetILNS1_3genE0ELNS1_11target_archE4294967295ELNS1_3gpuE0ELNS1_3repE0EEENS1_30default_config_static_selectorELNS0_4arch9wavefront6targetE0EEEvSV_: ; @_ZN7rocprim17ROCPRIM_400000_NS6detail17trampoline_kernelINS0_14default_configENS1_27lower_bound_config_selectorIalEEZNS1_14transform_implILb0ES3_S5_N6thrust23THRUST_200600_302600_NS6detail15normal_iteratorINS8_7pointerIaNS8_11hip_rocprim3tagENS8_11use_defaultESE_EEEENSA_INSB_IlSD_SE_SE_EEEEZNS1_13binary_searchIS3_S5_NSA_INS8_10device_ptrIaEEEESG_SI_NS1_21lower_bound_search_opENS9_16wrapped_functionINS8_7greaterIaEEbEEEE10hipError_tPvRmT1_T2_T3_mmT4_T5_P12ihipStream_tbEUlRKaE_EESS_SW_SX_mSY_S11_bEUlT_E_NS1_11comp_targetILNS1_3genE0ELNS1_11target_archE4294967295ELNS1_3gpuE0ELNS1_3repE0EEENS1_30default_config_static_selectorELNS0_4arch9wavefront6targetE0EEEvSV_
; %bb.0:
	s_load_b256 s[4:11], s[0:1], 0x0
	s_wait_kmcnt 0x0
	s_clause 0x1
	s_load_b32 s9, s[0:1], 0x38
	s_load_b128 s[12:15], s[0:1], 0x20
	s_wait_xcnt 0x0
	s_bfe_u32 s0, ttmp6, 0x4000c
	s_and_b32 s1, ttmp6, 15
	s_add_co_i32 s0, s0, 1
	s_getreg_b32 s16, hwreg(HW_REG_IB_STS2, 6, 4)
	s_mul_i32 s0, ttmp9, s0
	s_mov_b32 s17, 0
	s_add_co_i32 s18, s1, s0
	s_lshl_b64 s[0:1], s[6:7], 3
	s_cmp_eq_u32 s16, 0
	s_add_nc_u64 s[2:3], s[4:5], s[6:7]
	s_add_nc_u64 s[4:5], s[10:11], s[0:1]
	s_cselect_b32 s1, ttmp9, s18
	s_wait_kmcnt 0x0
	s_add_co_i32 s9, s9, -1
	s_lshl_b32 s16, s1, 10
	s_mov_b32 s0, -1
	s_cmp_lg_u32 s1, s9
	s_add_nc_u64 s[6:7], s[2:3], s[16:17]
	s_cbranch_scc0 .LBB1_5
; %bb.1:
	s_clause 0x2
	flat_load_i8 v8, v0, s[6:7] offset:256
	flat_load_i8 v10, v0, s[6:7] offset:512
	;; [unrolled: 1-line block ×3, first 2 shown]
	v_mov_b32_e32 v1, 0
	s_cmp_lg_u64 s[14:15], 0
	s_cselect_b32 s0, -1, 0
	s_cmp_eq_u64 s[14:15], 0
	s_cbranch_scc1 .LBB1_6
; %bb.2:
	v_add_nc_u64_e32 v[2:3], s[6:7], v[0:1]
	v_mov_b64_e32 v[4:5], s[14:15]
	s_mov_b32 s1, 0
	flat_load_i8 v1, v[2:3]
	s_wait_xcnt 0x0
	v_mov_b64_e32 v[2:3], 0
.LBB1_3:                                ; =>This Inner Loop Header: Depth=1
	s_delay_alu instid0(VALU_DEP_1) | instskip(NEXT) | instid1(VALU_DEP_1)
	v_sub_nc_u64_e32 v[6:7], v[4:5], v[2:3]
	v_lshrrev_b64 v[14:15], 1, v[6:7]
	v_lshrrev_b64 v[6:7], 6, v[6:7]
	s_delay_alu instid0(VALU_DEP_2) | instskip(NEXT) | instid1(VALU_DEP_1)
	v_add_nc_u64_e32 v[14:15], v[14:15], v[2:3]
	v_add_nc_u64_e32 v[6:7], v[14:15], v[6:7]
	s_delay_alu instid0(VALU_DEP_1)
	v_add_nc_u64_e32 v[14:15], s[12:13], v[6:7]
	global_load_i8 v9, v[14:15], off
	s_wait_xcnt 0x0
	v_add_nc_u64_e32 v[14:15], 1, v[6:7]
	s_wait_loadcnt_dscnt 0x0
	v_cmp_gt_i16_e32 vcc_lo, v9, v1
	v_dual_cndmask_b32 v5, v7, v5 :: v_dual_cndmask_b32 v4, v6, v4
	s_delay_alu instid0(VALU_DEP_3) | instskip(NEXT) | instid1(VALU_DEP_1)
	v_dual_cndmask_b32 v3, v3, v15 :: v_dual_cndmask_b32 v2, v2, v14
	v_cmp_ge_u64_e32 vcc_lo, v[2:3], v[4:5]
	s_or_b32 s1, vcc_lo, s1
	s_delay_alu instid0(SALU_CYCLE_1)
	s_and_not1_b32 exec_lo, exec_lo, s1
	s_cbranch_execnz .LBB1_3
; %bb.4:
	s_or_b32 exec_lo, exec_lo, s1
	v_mov_b64_e32 v[4:5], 0
	v_cndmask_b32_e64 v1, 0, 1, s0
	s_and_not1_b32 vcc_lo, exec_lo, s0
	s_cbranch_vccz .LBB1_7
	s_branch .LBB1_10
.LBB1_5:
	s_mov_b32 s3, s17
                                        ; implicit-def: $vgpr6_vgpr7
                                        ; implicit-def: $vgpr10_vgpr11
	s_and_b32 vcc_lo, exec_lo, s0
	s_cbranch_vccnz .LBB1_19
	s_branch .LBB1_52
.LBB1_6:
	v_mov_b64_e32 v[2:3], 0
	v_mov_b64_e32 v[4:5], 0
	v_cndmask_b32_e64 v1, 0, 1, s0
	s_and_not1_b32 vcc_lo, exec_lo, s0
	s_cbranch_vccnz .LBB1_10
.LBB1_7:
	v_mov_b64_e32 v[6:7], s[14:15]
	s_mov_b32 s0, 0
.LBB1_8:                                ; =>This Inner Loop Header: Depth=1
	s_delay_alu instid0(VALU_DEP_1) | instskip(NEXT) | instid1(VALU_DEP_1)
	v_sub_nc_u64_e32 v[14:15], v[6:7], v[4:5]
	v_lshrrev_b64 v[16:17], 1, v[14:15]
	v_lshrrev_b64 v[14:15], 6, v[14:15]
	s_delay_alu instid0(VALU_DEP_2) | instskip(NEXT) | instid1(VALU_DEP_1)
	v_add_nc_u64_e32 v[16:17], v[16:17], v[4:5]
	v_add_nc_u64_e32 v[14:15], v[16:17], v[14:15]
	s_delay_alu instid0(VALU_DEP_1)
	v_add_nc_u64_e32 v[16:17], s[12:13], v[14:15]
	global_load_i8 v9, v[16:17], off
	s_wait_xcnt 0x0
	v_add_nc_u64_e32 v[16:17], 1, v[14:15]
	s_wait_loadcnt_dscnt 0x2
	v_cmp_gt_i16_e32 vcc_lo, v9, v8
	v_dual_cndmask_b32 v7, v15, v7 :: v_dual_cndmask_b32 v6, v14, v6
	s_delay_alu instid0(VALU_DEP_3) | instskip(NEXT) | instid1(VALU_DEP_1)
	v_dual_cndmask_b32 v5, v5, v17 :: v_dual_cndmask_b32 v4, v4, v16
	v_cmp_ge_u64_e32 vcc_lo, v[4:5], v[6:7]
	s_or_b32 s0, vcc_lo, s0
	s_delay_alu instid0(SALU_CYCLE_1)
	s_and_not1_b32 exec_lo, exec_lo, s0
	s_cbranch_execnz .LBB1_8
; %bb.9:
	s_or_b32 exec_lo, exec_lo, s0
.LBB1_10:
	s_delay_alu instid0(VALU_DEP_1)
	v_cmp_ne_u32_e32 vcc_lo, 1, v1
	s_wait_loadcnt_dscnt 0x202
	v_mov_b64_e32 v[8:9], 0
	s_cbranch_vccnz .LBB1_14
; %bb.11:
	v_mov_b64_e32 v[6:7], s[14:15]
	s_mov_b32 s0, 0
.LBB1_12:                               ; =>This Inner Loop Header: Depth=1
	s_delay_alu instid0(VALU_DEP_1) | instskip(NEXT) | instid1(VALU_DEP_1)
	v_sub_nc_u64_e32 v[14:15], v[6:7], v[8:9]
	v_lshrrev_b64 v[16:17], 1, v[14:15]
	v_lshrrev_b64 v[14:15], 6, v[14:15]
	s_delay_alu instid0(VALU_DEP_2) | instskip(NEXT) | instid1(VALU_DEP_1)
	v_add_nc_u64_e32 v[16:17], v[16:17], v[8:9]
	v_add_nc_u64_e32 v[14:15], v[16:17], v[14:15]
	s_delay_alu instid0(VALU_DEP_1)
	v_add_nc_u64_e32 v[16:17], s[12:13], v[14:15]
	global_load_i8 v11, v[16:17], off
	s_wait_xcnt 0x0
	v_add_nc_u64_e32 v[16:17], 1, v[14:15]
	s_wait_loadcnt_dscnt 0x1
	v_cmp_gt_i16_e32 vcc_lo, v11, v10
	v_dual_cndmask_b32 v7, v15, v7 :: v_dual_cndmask_b32 v6, v14, v6
	s_delay_alu instid0(VALU_DEP_3) | instskip(NEXT) | instid1(VALU_DEP_1)
	v_dual_cndmask_b32 v9, v9, v17 :: v_dual_cndmask_b32 v8, v8, v16
	v_cmp_ge_u64_e32 vcc_lo, v[8:9], v[6:7]
	s_or_b32 s0, vcc_lo, s0
	s_delay_alu instid0(SALU_CYCLE_1)
	s_and_not1_b32 exec_lo, exec_lo, s0
	s_cbranch_execnz .LBB1_12
; %bb.13:
	s_or_b32 exec_lo, exec_lo, s0
.LBB1_14:
	v_cmp_ne_u32_e32 vcc_lo, 1, v1
	v_mov_b64_e32 v[6:7], 0
	s_cbranch_vccnz .LBB1_18
; %bb.15:
	s_wait_loadcnt_dscnt 0x101
	v_mov_b64_e32 v[10:11], s[14:15]
	s_mov_b32 s0, 0
.LBB1_16:                               ; =>This Inner Loop Header: Depth=1
	s_delay_alu instid0(VALU_DEP_1) | instskip(NEXT) | instid1(VALU_DEP_1)
	v_sub_nc_u64_e32 v[14:15], v[10:11], v[6:7]
	v_lshrrev_b64 v[16:17], 1, v[14:15]
	v_lshrrev_b64 v[14:15], 6, v[14:15]
	s_delay_alu instid0(VALU_DEP_2) | instskip(NEXT) | instid1(VALU_DEP_1)
	v_add_nc_u64_e32 v[16:17], v[16:17], v[6:7]
	v_add_nc_u64_e32 v[14:15], v[16:17], v[14:15]
	s_delay_alu instid0(VALU_DEP_1)
	v_add_nc_u64_e32 v[16:17], s[12:13], v[14:15]
	global_load_i8 v1, v[16:17], off
	s_wait_xcnt 0x0
	v_add_nc_u64_e32 v[16:17], 1, v[14:15]
	s_wait_loadcnt_dscnt 0x0
	v_cmp_gt_i16_e32 vcc_lo, v1, v12
	v_dual_cndmask_b32 v11, v15, v11 :: v_dual_cndmask_b32 v10, v14, v10
	s_delay_alu instid0(VALU_DEP_3) | instskip(NEXT) | instid1(VALU_DEP_1)
	v_dual_cndmask_b32 v7, v7, v17 :: v_dual_cndmask_b32 v6, v6, v16
	v_cmp_ge_u64_e32 vcc_lo, v[6:7], v[10:11]
	s_or_b32 s0, vcc_lo, s0
	s_delay_alu instid0(SALU_CYCLE_1)
	s_and_not1_b32 exec_lo, exec_lo, s0
	s_cbranch_execnz .LBB1_16
; %bb.17:
	s_or_b32 exec_lo, exec_lo, s0
.LBB1_18:
	s_wait_loadcnt_dscnt 0x101
	v_dual_mov_b32 v11, 0 :: v_dual_lshlrev_b32 v10, 3, v0
	s_lshl_b64 s[0:1], s[16:17], 3
	s_mov_b32 s3, -1
	s_add_nc_u64 s[10:11], s[4:5], s[0:1]
	s_delay_alu instid0(VALU_DEP_1) | instid1(SALU_CYCLE_1)
	v_add_nc_u64_e32 v[10:11], s[10:11], v[10:11]
	s_clause 0x2
	flat_store_b64 v0, v[2:3], s[10:11] scale_offset
	flat_store_b64 v0, v[4:5], s[10:11] offset:2048 scale_offset
	flat_store_b64 v0, v[8:9], s[10:11] offset:4096 scale_offset
	s_branch .LBB1_52
.LBB1_19:
	s_sub_co_i32 s3, s8, s16
	s_wait_xcnt 0x1
	v_dual_mov_b32 v10, 0 :: v_dual_mov_b32 v4, 0
	v_cmp_gt_u32_e64 s0, s3, v0
	v_mov_b32_e32 v1, 0
	s_wait_xcnt 0x0
	s_and_saveexec_b32 s1, s0
	s_cbranch_execz .LBB1_21
; %bb.20:
	flat_load_u8 v4, v0, s[6:7]
	v_mov_b32_e32 v1, 0
.LBB1_21:
	s_wait_xcnt 0x0
	s_or_b32 exec_lo, exec_lo, s1
	v_or_b32_e32 v2, 0x100, v0
	v_mov_b32_e32 v6, v10
	s_delay_alu instid0(VALU_DEP_2)
	v_cmp_gt_u32_e64 s1, s3, v2
	s_and_saveexec_b32 s2, s1
	s_cbranch_execz .LBB1_23
; %bb.22:
	flat_load_u8 v6, v0, s[6:7] offset:256
.LBB1_23:
	s_wait_xcnt 0x0
	s_or_b32 exec_lo, exec_lo, s2
	v_or_b32_e32 v2, 0x200, v0
	s_delay_alu instid0(VALU_DEP_1)
	v_cmp_gt_u32_e64 s2, s3, v2
	s_and_saveexec_b32 s8, s2
	s_cbranch_execz .LBB1_25
; %bb.24:
	flat_load_u8 v10, v0, s[6:7] offset:512
.LBB1_25:
	s_wait_xcnt 0x0
	s_or_b32 exec_lo, exec_lo, s8
	v_or_b32_e32 v2, 0x300, v0
	s_delay_alu instid0(VALU_DEP_1)
	v_cmp_gt_u32_e64 s3, s3, v2
	s_and_saveexec_b32 s8, s3
	s_cbranch_execz .LBB1_27
; %bb.26:
	flat_load_u8 v1, v0, s[6:7] offset:768
.LBB1_27:
	s_wait_xcnt 0x0
	s_or_b32 exec_lo, exec_lo, s8
	s_cmp_lg_u64 s[14:15], 0
                                        ; implicit-def: $vgpr2_vgpr3
	s_cselect_b32 s6, -1, 0
	s_and_saveexec_b32 s7, s0
	s_cbranch_execz .LBB1_32
; %bb.28:
	v_mov_b64_e32 v[2:3], 0
	s_and_not1_b32 vcc_lo, exec_lo, s6
	s_cbranch_vccnz .LBB1_32
; %bb.29:
	s_wait_loadcnt_dscnt 0x0
	v_bfe_i32 v7, v4, 0, 8
	v_mov_b64_e32 v[4:5], s[14:15]
	s_mov_b32 s8, 0
.LBB1_30:                               ; =>This Inner Loop Header: Depth=1
	s_delay_alu instid0(VALU_DEP_1) | instskip(NEXT) | instid1(VALU_DEP_1)
	v_sub_nc_u64_e32 v[8:9], v[4:5], v[2:3]
	v_lshrrev_b64 v[12:13], 1, v[8:9]
	v_lshrrev_b64 v[8:9], 6, v[8:9]
	s_delay_alu instid0(VALU_DEP_2) | instskip(NEXT) | instid1(VALU_DEP_1)
	v_add_nc_u64_e32 v[12:13], v[12:13], v[2:3]
	v_add_nc_u64_e32 v[8:9], v[12:13], v[8:9]
	s_delay_alu instid0(VALU_DEP_1)
	v_add_nc_u64_e32 v[12:13], s[12:13], v[8:9]
	global_load_i8 v11, v[12:13], off
	s_wait_xcnt 0x0
	v_add_nc_u64_e32 v[12:13], 1, v[8:9]
	s_wait_loadcnt 0x0
	v_cmp_gt_i16_e32 vcc_lo, v11, v7
	v_dual_cndmask_b32 v5, v9, v5 :: v_dual_cndmask_b32 v4, v8, v4
	s_delay_alu instid0(VALU_DEP_3) | instskip(NEXT) | instid1(VALU_DEP_1)
	v_dual_cndmask_b32 v3, v3, v13 :: v_dual_cndmask_b32 v2, v2, v12
	v_cmp_ge_u64_e32 vcc_lo, v[2:3], v[4:5]
	s_or_b32 s8, vcc_lo, s8
	s_delay_alu instid0(SALU_CYCLE_1)
	s_and_not1_b32 exec_lo, exec_lo, s8
	s_cbranch_execnz .LBB1_30
; %bb.31:
	s_or_b32 exec_lo, exec_lo, s8
.LBB1_32:
	s_delay_alu instid0(SALU_CYCLE_1)
	s_or_b32 exec_lo, exec_lo, s7
                                        ; implicit-def: $vgpr4_vgpr5
	s_and_saveexec_b32 s7, s1
	s_cbranch_execz .LBB1_37
; %bb.33:
	s_wait_loadcnt_dscnt 0x0
	v_mov_b64_e32 v[4:5], 0
	s_and_not1_b32 vcc_lo, exec_lo, s6
	s_cbranch_vccnz .LBB1_37
; %bb.34:
	v_bfe_i32 v8, v6, 0, 8
	v_mov_b64_e32 v[6:7], s[14:15]
	s_mov_b32 s8, 0
.LBB1_35:                               ; =>This Inner Loop Header: Depth=1
	s_delay_alu instid0(VALU_DEP_1) | instskip(NEXT) | instid1(VALU_DEP_1)
	v_sub_nc_u64_e32 v[12:13], v[6:7], v[4:5]
	v_lshrrev_b64 v[14:15], 1, v[12:13]
	v_lshrrev_b64 v[12:13], 6, v[12:13]
	s_delay_alu instid0(VALU_DEP_2) | instskip(NEXT) | instid1(VALU_DEP_1)
	v_add_nc_u64_e32 v[14:15], v[14:15], v[4:5]
	v_add_nc_u64_e32 v[12:13], v[14:15], v[12:13]
	s_delay_alu instid0(VALU_DEP_1)
	v_add_nc_u64_e32 v[14:15], s[12:13], v[12:13]
	global_load_i8 v9, v[14:15], off
	s_wait_xcnt 0x0
	v_add_nc_u64_e32 v[14:15], 1, v[12:13]
	s_wait_loadcnt 0x0
	v_cmp_gt_i16_e32 vcc_lo, v9, v8
	v_dual_cndmask_b32 v7, v13, v7 :: v_dual_cndmask_b32 v6, v12, v6
	s_delay_alu instid0(VALU_DEP_3) | instskip(NEXT) | instid1(VALU_DEP_1)
	v_dual_cndmask_b32 v5, v5, v15 :: v_dual_cndmask_b32 v4, v4, v14
	v_cmp_ge_u64_e32 vcc_lo, v[4:5], v[6:7]
	s_or_b32 s8, vcc_lo, s8
	s_delay_alu instid0(SALU_CYCLE_1)
	s_and_not1_b32 exec_lo, exec_lo, s8
	s_cbranch_execnz .LBB1_35
; %bb.36:
	s_or_b32 exec_lo, exec_lo, s8
.LBB1_37:
	s_delay_alu instid0(SALU_CYCLE_1)
	s_or_b32 exec_lo, exec_lo, s7
                                        ; implicit-def: $vgpr8_vgpr9
	s_and_saveexec_b32 s7, s2
	s_cbranch_execz .LBB1_42
; %bb.38:
	v_mov_b64_e32 v[8:9], 0
	s_and_not1_b32 vcc_lo, exec_lo, s6
	s_cbranch_vccnz .LBB1_42
; %bb.39:
	s_wait_loadcnt_dscnt 0x0
	v_mov_b64_e32 v[6:7], s[14:15]
	v_bfe_i32 v10, v10, 0, 8
	s_mov_b32 s8, 0
.LBB1_40:                               ; =>This Inner Loop Header: Depth=1
	s_delay_alu instid0(VALU_DEP_2) | instskip(NEXT) | instid1(VALU_DEP_1)
	v_sub_nc_u64_e32 v[12:13], v[6:7], v[8:9]
	v_lshrrev_b64 v[14:15], 1, v[12:13]
	v_lshrrev_b64 v[12:13], 6, v[12:13]
	s_delay_alu instid0(VALU_DEP_2) | instskip(NEXT) | instid1(VALU_DEP_1)
	v_add_nc_u64_e32 v[14:15], v[14:15], v[8:9]
	v_add_nc_u64_e32 v[12:13], v[14:15], v[12:13]
	s_delay_alu instid0(VALU_DEP_1)
	v_add_nc_u64_e32 v[14:15], s[12:13], v[12:13]
	global_load_i8 v11, v[14:15], off
	s_wait_xcnt 0x0
	v_add_nc_u64_e32 v[14:15], 1, v[12:13]
	s_wait_loadcnt 0x0
	v_cmp_gt_i16_e32 vcc_lo, v11, v10
	v_dual_cndmask_b32 v7, v13, v7 :: v_dual_cndmask_b32 v6, v12, v6
	s_delay_alu instid0(VALU_DEP_3) | instskip(NEXT) | instid1(VALU_DEP_1)
	v_dual_cndmask_b32 v9, v9, v15 :: v_dual_cndmask_b32 v8, v8, v14
	v_cmp_ge_u64_e32 vcc_lo, v[8:9], v[6:7]
	s_or_b32 s8, vcc_lo, s8
	s_delay_alu instid0(SALU_CYCLE_1)
	s_and_not1_b32 exec_lo, exec_lo, s8
	s_cbranch_execnz .LBB1_40
; %bb.41:
	s_or_b32 exec_lo, exec_lo, s8
.LBB1_42:
	s_delay_alu instid0(SALU_CYCLE_1)
	s_or_b32 exec_lo, exec_lo, s7
                                        ; implicit-def: $vgpr6_vgpr7
	s_and_saveexec_b32 s7, s3
	s_cbranch_execz .LBB1_47
; %bb.43:
	s_wait_loadcnt_dscnt 0x0
	v_mov_b64_e32 v[6:7], 0
	s_and_not1_b32 vcc_lo, exec_lo, s6
	s_cbranch_vccnz .LBB1_47
; %bb.44:
	v_mov_b64_e32 v[10:11], s[14:15]
	v_bfe_i32 v1, v1, 0, 8
	s_mov_b32 s6, 0
.LBB1_45:                               ; =>This Inner Loop Header: Depth=1
	s_delay_alu instid0(VALU_DEP_2) | instskip(NEXT) | instid1(VALU_DEP_1)
	v_sub_nc_u64_e32 v[12:13], v[10:11], v[6:7]
	v_lshrrev_b64 v[14:15], 1, v[12:13]
	v_lshrrev_b64 v[12:13], 6, v[12:13]
	s_delay_alu instid0(VALU_DEP_2) | instskip(NEXT) | instid1(VALU_DEP_1)
	v_add_nc_u64_e32 v[14:15], v[14:15], v[6:7]
	v_add_nc_u64_e32 v[12:13], v[14:15], v[12:13]
	s_delay_alu instid0(VALU_DEP_1)
	v_add_nc_u64_e32 v[14:15], s[12:13], v[12:13]
	global_load_i8 v16, v[14:15], off
	s_wait_xcnt 0x0
	v_add_nc_u64_e32 v[14:15], 1, v[12:13]
	s_wait_loadcnt 0x0
	v_cmp_gt_i16_e32 vcc_lo, v16, v1
	v_dual_cndmask_b32 v11, v13, v11 :: v_dual_cndmask_b32 v10, v12, v10
	s_delay_alu instid0(VALU_DEP_3) | instskip(NEXT) | instid1(VALU_DEP_1)
	v_dual_cndmask_b32 v7, v7, v15 :: v_dual_cndmask_b32 v6, v6, v14
	v_cmp_ge_u64_e32 vcc_lo, v[6:7], v[10:11]
	s_or_b32 s6, vcc_lo, s6
	s_delay_alu instid0(SALU_CYCLE_1)
	s_and_not1_b32 exec_lo, exec_lo, s6
	s_cbranch_execnz .LBB1_45
; %bb.46:
	s_or_b32 exec_lo, exec_lo, s6
.LBB1_47:
	s_delay_alu instid0(SALU_CYCLE_1) | instskip(SKIP_3) | instid1(SALU_CYCLE_1)
	s_or_b32 exec_lo, exec_lo, s7
	s_wait_loadcnt_dscnt 0x0
	v_dual_mov_b32 v1, 0 :: v_dual_lshlrev_b32 v0, 3, v0
	s_lshl_b64 s[6:7], s[16:17], 3
	s_add_nc_u64 s[4:5], s[4:5], s[6:7]
	s_delay_alu instid0(VALU_DEP_1) | instid1(SALU_CYCLE_1)
	v_add_nc_u64_e32 v[10:11], s[4:5], v[0:1]
	s_and_saveexec_b32 s4, s0
	s_delay_alu instid0(SALU_CYCLE_1)
	s_xor_b32 s0, exec_lo, s4
	s_cbranch_execnz .LBB1_55
; %bb.48:
	s_or_b32 exec_lo, exec_lo, s0
	s_and_saveexec_b32 s0, s1
	s_cbranch_execnz .LBB1_56
.LBB1_49:
	s_or_b32 exec_lo, exec_lo, s0
	s_and_saveexec_b32 s0, s2
	s_cbranch_execz .LBB1_51
.LBB1_50:
	flat_store_b64 v[10:11], v[8:9] offset:4096
.LBB1_51:
	s_wait_xcnt 0x0
	s_or_b32 exec_lo, exec_lo, s0
.LBB1_52:
	s_wait_xcnt 0x0
	s_and_saveexec_b32 s0, s3
	s_cbranch_execnz .LBB1_54
; %bb.53:
	s_endpgm
.LBB1_54:
	flat_store_b64 v[10:11], v[6:7] offset:6144
	s_endpgm
.LBB1_55:
	flat_store_b64 v[10:11], v[2:3]
	s_wait_xcnt 0x0
	s_or_b32 exec_lo, exec_lo, s0
	s_and_saveexec_b32 s0, s1
	s_cbranch_execz .LBB1_49
.LBB1_56:
	flat_store_b64 v[10:11], v[4:5] offset:2048
	s_wait_xcnt 0x0
	s_or_b32 exec_lo, exec_lo, s0
	s_and_saveexec_b32 s0, s2
	s_cbranch_execnz .LBB1_50
	s_branch .LBB1_51
	.section	.rodata,"a",@progbits
	.p2align	6, 0x0
	.amdhsa_kernel _ZN7rocprim17ROCPRIM_400000_NS6detail17trampoline_kernelINS0_14default_configENS1_27lower_bound_config_selectorIalEEZNS1_14transform_implILb0ES3_S5_N6thrust23THRUST_200600_302600_NS6detail15normal_iteratorINS8_7pointerIaNS8_11hip_rocprim3tagENS8_11use_defaultESE_EEEENSA_INSB_IlSD_SE_SE_EEEEZNS1_13binary_searchIS3_S5_NSA_INS8_10device_ptrIaEEEESG_SI_NS1_21lower_bound_search_opENS9_16wrapped_functionINS8_7greaterIaEEbEEEE10hipError_tPvRmT1_T2_T3_mmT4_T5_P12ihipStream_tbEUlRKaE_EESS_SW_SX_mSY_S11_bEUlT_E_NS1_11comp_targetILNS1_3genE0ELNS1_11target_archE4294967295ELNS1_3gpuE0ELNS1_3repE0EEENS1_30default_config_static_selectorELNS0_4arch9wavefront6targetE0EEEvSV_
		.amdhsa_group_segment_fixed_size 0
		.amdhsa_private_segment_fixed_size 0
		.amdhsa_kernarg_size 312
		.amdhsa_user_sgpr_count 2
		.amdhsa_user_sgpr_dispatch_ptr 0
		.amdhsa_user_sgpr_queue_ptr 0
		.amdhsa_user_sgpr_kernarg_segment_ptr 1
		.amdhsa_user_sgpr_dispatch_id 0
		.amdhsa_user_sgpr_kernarg_preload_length 0
		.amdhsa_user_sgpr_kernarg_preload_offset 0
		.amdhsa_user_sgpr_private_segment_size 0
		.amdhsa_wavefront_size32 1
		.amdhsa_uses_dynamic_stack 0
		.amdhsa_enable_private_segment 0
		.amdhsa_system_sgpr_workgroup_id_x 1
		.amdhsa_system_sgpr_workgroup_id_y 0
		.amdhsa_system_sgpr_workgroup_id_z 0
		.amdhsa_system_sgpr_workgroup_info 0
		.amdhsa_system_vgpr_workitem_id 0
		.amdhsa_next_free_vgpr 18
		.amdhsa_next_free_sgpr 19
		.amdhsa_named_barrier_count 0
		.amdhsa_reserve_vcc 1
		.amdhsa_float_round_mode_32 0
		.amdhsa_float_round_mode_16_64 0
		.amdhsa_float_denorm_mode_32 3
		.amdhsa_float_denorm_mode_16_64 3
		.amdhsa_fp16_overflow 0
		.amdhsa_memory_ordered 1
		.amdhsa_forward_progress 1
		.amdhsa_inst_pref_size 16
		.amdhsa_round_robin_scheduling 0
		.amdhsa_exception_fp_ieee_invalid_op 0
		.amdhsa_exception_fp_denorm_src 0
		.amdhsa_exception_fp_ieee_div_zero 0
		.amdhsa_exception_fp_ieee_overflow 0
		.amdhsa_exception_fp_ieee_underflow 0
		.amdhsa_exception_fp_ieee_inexact 0
		.amdhsa_exception_int_div_zero 0
	.end_amdhsa_kernel
	.section	.text._ZN7rocprim17ROCPRIM_400000_NS6detail17trampoline_kernelINS0_14default_configENS1_27lower_bound_config_selectorIalEEZNS1_14transform_implILb0ES3_S5_N6thrust23THRUST_200600_302600_NS6detail15normal_iteratorINS8_7pointerIaNS8_11hip_rocprim3tagENS8_11use_defaultESE_EEEENSA_INSB_IlSD_SE_SE_EEEEZNS1_13binary_searchIS3_S5_NSA_INS8_10device_ptrIaEEEESG_SI_NS1_21lower_bound_search_opENS9_16wrapped_functionINS8_7greaterIaEEbEEEE10hipError_tPvRmT1_T2_T3_mmT4_T5_P12ihipStream_tbEUlRKaE_EESS_SW_SX_mSY_S11_bEUlT_E_NS1_11comp_targetILNS1_3genE0ELNS1_11target_archE4294967295ELNS1_3gpuE0ELNS1_3repE0EEENS1_30default_config_static_selectorELNS0_4arch9wavefront6targetE0EEEvSV_,"axG",@progbits,_ZN7rocprim17ROCPRIM_400000_NS6detail17trampoline_kernelINS0_14default_configENS1_27lower_bound_config_selectorIalEEZNS1_14transform_implILb0ES3_S5_N6thrust23THRUST_200600_302600_NS6detail15normal_iteratorINS8_7pointerIaNS8_11hip_rocprim3tagENS8_11use_defaultESE_EEEENSA_INSB_IlSD_SE_SE_EEEEZNS1_13binary_searchIS3_S5_NSA_INS8_10device_ptrIaEEEESG_SI_NS1_21lower_bound_search_opENS9_16wrapped_functionINS8_7greaterIaEEbEEEE10hipError_tPvRmT1_T2_T3_mmT4_T5_P12ihipStream_tbEUlRKaE_EESS_SW_SX_mSY_S11_bEUlT_E_NS1_11comp_targetILNS1_3genE0ELNS1_11target_archE4294967295ELNS1_3gpuE0ELNS1_3repE0EEENS1_30default_config_static_selectorELNS0_4arch9wavefront6targetE0EEEvSV_,comdat
.Lfunc_end1:
	.size	_ZN7rocprim17ROCPRIM_400000_NS6detail17trampoline_kernelINS0_14default_configENS1_27lower_bound_config_selectorIalEEZNS1_14transform_implILb0ES3_S5_N6thrust23THRUST_200600_302600_NS6detail15normal_iteratorINS8_7pointerIaNS8_11hip_rocprim3tagENS8_11use_defaultESE_EEEENSA_INSB_IlSD_SE_SE_EEEEZNS1_13binary_searchIS3_S5_NSA_INS8_10device_ptrIaEEEESG_SI_NS1_21lower_bound_search_opENS9_16wrapped_functionINS8_7greaterIaEEbEEEE10hipError_tPvRmT1_T2_T3_mmT4_T5_P12ihipStream_tbEUlRKaE_EESS_SW_SX_mSY_S11_bEUlT_E_NS1_11comp_targetILNS1_3genE0ELNS1_11target_archE4294967295ELNS1_3gpuE0ELNS1_3repE0EEENS1_30default_config_static_selectorELNS0_4arch9wavefront6targetE0EEEvSV_, .Lfunc_end1-_ZN7rocprim17ROCPRIM_400000_NS6detail17trampoline_kernelINS0_14default_configENS1_27lower_bound_config_selectorIalEEZNS1_14transform_implILb0ES3_S5_N6thrust23THRUST_200600_302600_NS6detail15normal_iteratorINS8_7pointerIaNS8_11hip_rocprim3tagENS8_11use_defaultESE_EEEENSA_INSB_IlSD_SE_SE_EEEEZNS1_13binary_searchIS3_S5_NSA_INS8_10device_ptrIaEEEESG_SI_NS1_21lower_bound_search_opENS9_16wrapped_functionINS8_7greaterIaEEbEEEE10hipError_tPvRmT1_T2_T3_mmT4_T5_P12ihipStream_tbEUlRKaE_EESS_SW_SX_mSY_S11_bEUlT_E_NS1_11comp_targetILNS1_3genE0ELNS1_11target_archE4294967295ELNS1_3gpuE0ELNS1_3repE0EEENS1_30default_config_static_selectorELNS0_4arch9wavefront6targetE0EEEvSV_
                                        ; -- End function
	.set _ZN7rocprim17ROCPRIM_400000_NS6detail17trampoline_kernelINS0_14default_configENS1_27lower_bound_config_selectorIalEEZNS1_14transform_implILb0ES3_S5_N6thrust23THRUST_200600_302600_NS6detail15normal_iteratorINS8_7pointerIaNS8_11hip_rocprim3tagENS8_11use_defaultESE_EEEENSA_INSB_IlSD_SE_SE_EEEEZNS1_13binary_searchIS3_S5_NSA_INS8_10device_ptrIaEEEESG_SI_NS1_21lower_bound_search_opENS9_16wrapped_functionINS8_7greaterIaEEbEEEE10hipError_tPvRmT1_T2_T3_mmT4_T5_P12ihipStream_tbEUlRKaE_EESS_SW_SX_mSY_S11_bEUlT_E_NS1_11comp_targetILNS1_3genE0ELNS1_11target_archE4294967295ELNS1_3gpuE0ELNS1_3repE0EEENS1_30default_config_static_selectorELNS0_4arch9wavefront6targetE0EEEvSV_.num_vgpr, 18
	.set _ZN7rocprim17ROCPRIM_400000_NS6detail17trampoline_kernelINS0_14default_configENS1_27lower_bound_config_selectorIalEEZNS1_14transform_implILb0ES3_S5_N6thrust23THRUST_200600_302600_NS6detail15normal_iteratorINS8_7pointerIaNS8_11hip_rocprim3tagENS8_11use_defaultESE_EEEENSA_INSB_IlSD_SE_SE_EEEEZNS1_13binary_searchIS3_S5_NSA_INS8_10device_ptrIaEEEESG_SI_NS1_21lower_bound_search_opENS9_16wrapped_functionINS8_7greaterIaEEbEEEE10hipError_tPvRmT1_T2_T3_mmT4_T5_P12ihipStream_tbEUlRKaE_EESS_SW_SX_mSY_S11_bEUlT_E_NS1_11comp_targetILNS1_3genE0ELNS1_11target_archE4294967295ELNS1_3gpuE0ELNS1_3repE0EEENS1_30default_config_static_selectorELNS0_4arch9wavefront6targetE0EEEvSV_.num_agpr, 0
	.set _ZN7rocprim17ROCPRIM_400000_NS6detail17trampoline_kernelINS0_14default_configENS1_27lower_bound_config_selectorIalEEZNS1_14transform_implILb0ES3_S5_N6thrust23THRUST_200600_302600_NS6detail15normal_iteratorINS8_7pointerIaNS8_11hip_rocprim3tagENS8_11use_defaultESE_EEEENSA_INSB_IlSD_SE_SE_EEEEZNS1_13binary_searchIS3_S5_NSA_INS8_10device_ptrIaEEEESG_SI_NS1_21lower_bound_search_opENS9_16wrapped_functionINS8_7greaterIaEEbEEEE10hipError_tPvRmT1_T2_T3_mmT4_T5_P12ihipStream_tbEUlRKaE_EESS_SW_SX_mSY_S11_bEUlT_E_NS1_11comp_targetILNS1_3genE0ELNS1_11target_archE4294967295ELNS1_3gpuE0ELNS1_3repE0EEENS1_30default_config_static_selectorELNS0_4arch9wavefront6targetE0EEEvSV_.numbered_sgpr, 19
	.set _ZN7rocprim17ROCPRIM_400000_NS6detail17trampoline_kernelINS0_14default_configENS1_27lower_bound_config_selectorIalEEZNS1_14transform_implILb0ES3_S5_N6thrust23THRUST_200600_302600_NS6detail15normal_iteratorINS8_7pointerIaNS8_11hip_rocprim3tagENS8_11use_defaultESE_EEEENSA_INSB_IlSD_SE_SE_EEEEZNS1_13binary_searchIS3_S5_NSA_INS8_10device_ptrIaEEEESG_SI_NS1_21lower_bound_search_opENS9_16wrapped_functionINS8_7greaterIaEEbEEEE10hipError_tPvRmT1_T2_T3_mmT4_T5_P12ihipStream_tbEUlRKaE_EESS_SW_SX_mSY_S11_bEUlT_E_NS1_11comp_targetILNS1_3genE0ELNS1_11target_archE4294967295ELNS1_3gpuE0ELNS1_3repE0EEENS1_30default_config_static_selectorELNS0_4arch9wavefront6targetE0EEEvSV_.num_named_barrier, 0
	.set _ZN7rocprim17ROCPRIM_400000_NS6detail17trampoline_kernelINS0_14default_configENS1_27lower_bound_config_selectorIalEEZNS1_14transform_implILb0ES3_S5_N6thrust23THRUST_200600_302600_NS6detail15normal_iteratorINS8_7pointerIaNS8_11hip_rocprim3tagENS8_11use_defaultESE_EEEENSA_INSB_IlSD_SE_SE_EEEEZNS1_13binary_searchIS3_S5_NSA_INS8_10device_ptrIaEEEESG_SI_NS1_21lower_bound_search_opENS9_16wrapped_functionINS8_7greaterIaEEbEEEE10hipError_tPvRmT1_T2_T3_mmT4_T5_P12ihipStream_tbEUlRKaE_EESS_SW_SX_mSY_S11_bEUlT_E_NS1_11comp_targetILNS1_3genE0ELNS1_11target_archE4294967295ELNS1_3gpuE0ELNS1_3repE0EEENS1_30default_config_static_selectorELNS0_4arch9wavefront6targetE0EEEvSV_.private_seg_size, 0
	.set _ZN7rocprim17ROCPRIM_400000_NS6detail17trampoline_kernelINS0_14default_configENS1_27lower_bound_config_selectorIalEEZNS1_14transform_implILb0ES3_S5_N6thrust23THRUST_200600_302600_NS6detail15normal_iteratorINS8_7pointerIaNS8_11hip_rocprim3tagENS8_11use_defaultESE_EEEENSA_INSB_IlSD_SE_SE_EEEEZNS1_13binary_searchIS3_S5_NSA_INS8_10device_ptrIaEEEESG_SI_NS1_21lower_bound_search_opENS9_16wrapped_functionINS8_7greaterIaEEbEEEE10hipError_tPvRmT1_T2_T3_mmT4_T5_P12ihipStream_tbEUlRKaE_EESS_SW_SX_mSY_S11_bEUlT_E_NS1_11comp_targetILNS1_3genE0ELNS1_11target_archE4294967295ELNS1_3gpuE0ELNS1_3repE0EEENS1_30default_config_static_selectorELNS0_4arch9wavefront6targetE0EEEvSV_.uses_vcc, 1
	.set _ZN7rocprim17ROCPRIM_400000_NS6detail17trampoline_kernelINS0_14default_configENS1_27lower_bound_config_selectorIalEEZNS1_14transform_implILb0ES3_S5_N6thrust23THRUST_200600_302600_NS6detail15normal_iteratorINS8_7pointerIaNS8_11hip_rocprim3tagENS8_11use_defaultESE_EEEENSA_INSB_IlSD_SE_SE_EEEEZNS1_13binary_searchIS3_S5_NSA_INS8_10device_ptrIaEEEESG_SI_NS1_21lower_bound_search_opENS9_16wrapped_functionINS8_7greaterIaEEbEEEE10hipError_tPvRmT1_T2_T3_mmT4_T5_P12ihipStream_tbEUlRKaE_EESS_SW_SX_mSY_S11_bEUlT_E_NS1_11comp_targetILNS1_3genE0ELNS1_11target_archE4294967295ELNS1_3gpuE0ELNS1_3repE0EEENS1_30default_config_static_selectorELNS0_4arch9wavefront6targetE0EEEvSV_.uses_flat_scratch, 1
	.set _ZN7rocprim17ROCPRIM_400000_NS6detail17trampoline_kernelINS0_14default_configENS1_27lower_bound_config_selectorIalEEZNS1_14transform_implILb0ES3_S5_N6thrust23THRUST_200600_302600_NS6detail15normal_iteratorINS8_7pointerIaNS8_11hip_rocprim3tagENS8_11use_defaultESE_EEEENSA_INSB_IlSD_SE_SE_EEEEZNS1_13binary_searchIS3_S5_NSA_INS8_10device_ptrIaEEEESG_SI_NS1_21lower_bound_search_opENS9_16wrapped_functionINS8_7greaterIaEEbEEEE10hipError_tPvRmT1_T2_T3_mmT4_T5_P12ihipStream_tbEUlRKaE_EESS_SW_SX_mSY_S11_bEUlT_E_NS1_11comp_targetILNS1_3genE0ELNS1_11target_archE4294967295ELNS1_3gpuE0ELNS1_3repE0EEENS1_30default_config_static_selectorELNS0_4arch9wavefront6targetE0EEEvSV_.has_dyn_sized_stack, 0
	.set _ZN7rocprim17ROCPRIM_400000_NS6detail17trampoline_kernelINS0_14default_configENS1_27lower_bound_config_selectorIalEEZNS1_14transform_implILb0ES3_S5_N6thrust23THRUST_200600_302600_NS6detail15normal_iteratorINS8_7pointerIaNS8_11hip_rocprim3tagENS8_11use_defaultESE_EEEENSA_INSB_IlSD_SE_SE_EEEEZNS1_13binary_searchIS3_S5_NSA_INS8_10device_ptrIaEEEESG_SI_NS1_21lower_bound_search_opENS9_16wrapped_functionINS8_7greaterIaEEbEEEE10hipError_tPvRmT1_T2_T3_mmT4_T5_P12ihipStream_tbEUlRKaE_EESS_SW_SX_mSY_S11_bEUlT_E_NS1_11comp_targetILNS1_3genE0ELNS1_11target_archE4294967295ELNS1_3gpuE0ELNS1_3repE0EEENS1_30default_config_static_selectorELNS0_4arch9wavefront6targetE0EEEvSV_.has_recursion, 0
	.set _ZN7rocprim17ROCPRIM_400000_NS6detail17trampoline_kernelINS0_14default_configENS1_27lower_bound_config_selectorIalEEZNS1_14transform_implILb0ES3_S5_N6thrust23THRUST_200600_302600_NS6detail15normal_iteratorINS8_7pointerIaNS8_11hip_rocprim3tagENS8_11use_defaultESE_EEEENSA_INSB_IlSD_SE_SE_EEEEZNS1_13binary_searchIS3_S5_NSA_INS8_10device_ptrIaEEEESG_SI_NS1_21lower_bound_search_opENS9_16wrapped_functionINS8_7greaterIaEEbEEEE10hipError_tPvRmT1_T2_T3_mmT4_T5_P12ihipStream_tbEUlRKaE_EESS_SW_SX_mSY_S11_bEUlT_E_NS1_11comp_targetILNS1_3genE0ELNS1_11target_archE4294967295ELNS1_3gpuE0ELNS1_3repE0EEENS1_30default_config_static_selectorELNS0_4arch9wavefront6targetE0EEEvSV_.has_indirect_call, 0
	.section	.AMDGPU.csdata,"",@progbits
; Kernel info:
; codeLenInByte = 1932
; TotalNumSgprs: 21
; NumVgprs: 18
; ScratchSize: 0
; MemoryBound: 0
; FloatMode: 240
; IeeeMode: 1
; LDSByteSize: 0 bytes/workgroup (compile time only)
; SGPRBlocks: 0
; VGPRBlocks: 1
; NumSGPRsForWavesPerEU: 21
; NumVGPRsForWavesPerEU: 18
; NamedBarCnt: 0
; Occupancy: 16
; WaveLimiterHint : 1
; COMPUTE_PGM_RSRC2:SCRATCH_EN: 0
; COMPUTE_PGM_RSRC2:USER_SGPR: 2
; COMPUTE_PGM_RSRC2:TRAP_HANDLER: 0
; COMPUTE_PGM_RSRC2:TGID_X_EN: 1
; COMPUTE_PGM_RSRC2:TGID_Y_EN: 0
; COMPUTE_PGM_RSRC2:TGID_Z_EN: 0
; COMPUTE_PGM_RSRC2:TIDIG_COMP_CNT: 0
	.section	.text._ZN7rocprim17ROCPRIM_400000_NS6detail17trampoline_kernelINS0_14default_configENS1_27lower_bound_config_selectorIalEEZNS1_14transform_implILb0ES3_S5_N6thrust23THRUST_200600_302600_NS6detail15normal_iteratorINS8_7pointerIaNS8_11hip_rocprim3tagENS8_11use_defaultESE_EEEENSA_INSB_IlSD_SE_SE_EEEEZNS1_13binary_searchIS3_S5_NSA_INS8_10device_ptrIaEEEESG_SI_NS1_21lower_bound_search_opENS9_16wrapped_functionINS8_7greaterIaEEbEEEE10hipError_tPvRmT1_T2_T3_mmT4_T5_P12ihipStream_tbEUlRKaE_EESS_SW_SX_mSY_S11_bEUlT_E_NS1_11comp_targetILNS1_3genE5ELNS1_11target_archE942ELNS1_3gpuE9ELNS1_3repE0EEENS1_30default_config_static_selectorELNS0_4arch9wavefront6targetE0EEEvSV_,"axG",@progbits,_ZN7rocprim17ROCPRIM_400000_NS6detail17trampoline_kernelINS0_14default_configENS1_27lower_bound_config_selectorIalEEZNS1_14transform_implILb0ES3_S5_N6thrust23THRUST_200600_302600_NS6detail15normal_iteratorINS8_7pointerIaNS8_11hip_rocprim3tagENS8_11use_defaultESE_EEEENSA_INSB_IlSD_SE_SE_EEEEZNS1_13binary_searchIS3_S5_NSA_INS8_10device_ptrIaEEEESG_SI_NS1_21lower_bound_search_opENS9_16wrapped_functionINS8_7greaterIaEEbEEEE10hipError_tPvRmT1_T2_T3_mmT4_T5_P12ihipStream_tbEUlRKaE_EESS_SW_SX_mSY_S11_bEUlT_E_NS1_11comp_targetILNS1_3genE5ELNS1_11target_archE942ELNS1_3gpuE9ELNS1_3repE0EEENS1_30default_config_static_selectorELNS0_4arch9wavefront6targetE0EEEvSV_,comdat
	.protected	_ZN7rocprim17ROCPRIM_400000_NS6detail17trampoline_kernelINS0_14default_configENS1_27lower_bound_config_selectorIalEEZNS1_14transform_implILb0ES3_S5_N6thrust23THRUST_200600_302600_NS6detail15normal_iteratorINS8_7pointerIaNS8_11hip_rocprim3tagENS8_11use_defaultESE_EEEENSA_INSB_IlSD_SE_SE_EEEEZNS1_13binary_searchIS3_S5_NSA_INS8_10device_ptrIaEEEESG_SI_NS1_21lower_bound_search_opENS9_16wrapped_functionINS8_7greaterIaEEbEEEE10hipError_tPvRmT1_T2_T3_mmT4_T5_P12ihipStream_tbEUlRKaE_EESS_SW_SX_mSY_S11_bEUlT_E_NS1_11comp_targetILNS1_3genE5ELNS1_11target_archE942ELNS1_3gpuE9ELNS1_3repE0EEENS1_30default_config_static_selectorELNS0_4arch9wavefront6targetE0EEEvSV_ ; -- Begin function _ZN7rocprim17ROCPRIM_400000_NS6detail17trampoline_kernelINS0_14default_configENS1_27lower_bound_config_selectorIalEEZNS1_14transform_implILb0ES3_S5_N6thrust23THRUST_200600_302600_NS6detail15normal_iteratorINS8_7pointerIaNS8_11hip_rocprim3tagENS8_11use_defaultESE_EEEENSA_INSB_IlSD_SE_SE_EEEEZNS1_13binary_searchIS3_S5_NSA_INS8_10device_ptrIaEEEESG_SI_NS1_21lower_bound_search_opENS9_16wrapped_functionINS8_7greaterIaEEbEEEE10hipError_tPvRmT1_T2_T3_mmT4_T5_P12ihipStream_tbEUlRKaE_EESS_SW_SX_mSY_S11_bEUlT_E_NS1_11comp_targetILNS1_3genE5ELNS1_11target_archE942ELNS1_3gpuE9ELNS1_3repE0EEENS1_30default_config_static_selectorELNS0_4arch9wavefront6targetE0EEEvSV_
	.globl	_ZN7rocprim17ROCPRIM_400000_NS6detail17trampoline_kernelINS0_14default_configENS1_27lower_bound_config_selectorIalEEZNS1_14transform_implILb0ES3_S5_N6thrust23THRUST_200600_302600_NS6detail15normal_iteratorINS8_7pointerIaNS8_11hip_rocprim3tagENS8_11use_defaultESE_EEEENSA_INSB_IlSD_SE_SE_EEEEZNS1_13binary_searchIS3_S5_NSA_INS8_10device_ptrIaEEEESG_SI_NS1_21lower_bound_search_opENS9_16wrapped_functionINS8_7greaterIaEEbEEEE10hipError_tPvRmT1_T2_T3_mmT4_T5_P12ihipStream_tbEUlRKaE_EESS_SW_SX_mSY_S11_bEUlT_E_NS1_11comp_targetILNS1_3genE5ELNS1_11target_archE942ELNS1_3gpuE9ELNS1_3repE0EEENS1_30default_config_static_selectorELNS0_4arch9wavefront6targetE0EEEvSV_
	.p2align	8
	.type	_ZN7rocprim17ROCPRIM_400000_NS6detail17trampoline_kernelINS0_14default_configENS1_27lower_bound_config_selectorIalEEZNS1_14transform_implILb0ES3_S5_N6thrust23THRUST_200600_302600_NS6detail15normal_iteratorINS8_7pointerIaNS8_11hip_rocprim3tagENS8_11use_defaultESE_EEEENSA_INSB_IlSD_SE_SE_EEEEZNS1_13binary_searchIS3_S5_NSA_INS8_10device_ptrIaEEEESG_SI_NS1_21lower_bound_search_opENS9_16wrapped_functionINS8_7greaterIaEEbEEEE10hipError_tPvRmT1_T2_T3_mmT4_T5_P12ihipStream_tbEUlRKaE_EESS_SW_SX_mSY_S11_bEUlT_E_NS1_11comp_targetILNS1_3genE5ELNS1_11target_archE942ELNS1_3gpuE9ELNS1_3repE0EEENS1_30default_config_static_selectorELNS0_4arch9wavefront6targetE0EEEvSV_,@function
_ZN7rocprim17ROCPRIM_400000_NS6detail17trampoline_kernelINS0_14default_configENS1_27lower_bound_config_selectorIalEEZNS1_14transform_implILb0ES3_S5_N6thrust23THRUST_200600_302600_NS6detail15normal_iteratorINS8_7pointerIaNS8_11hip_rocprim3tagENS8_11use_defaultESE_EEEENSA_INSB_IlSD_SE_SE_EEEEZNS1_13binary_searchIS3_S5_NSA_INS8_10device_ptrIaEEEESG_SI_NS1_21lower_bound_search_opENS9_16wrapped_functionINS8_7greaterIaEEbEEEE10hipError_tPvRmT1_T2_T3_mmT4_T5_P12ihipStream_tbEUlRKaE_EESS_SW_SX_mSY_S11_bEUlT_E_NS1_11comp_targetILNS1_3genE5ELNS1_11target_archE942ELNS1_3gpuE9ELNS1_3repE0EEENS1_30default_config_static_selectorELNS0_4arch9wavefront6targetE0EEEvSV_: ; @_ZN7rocprim17ROCPRIM_400000_NS6detail17trampoline_kernelINS0_14default_configENS1_27lower_bound_config_selectorIalEEZNS1_14transform_implILb0ES3_S5_N6thrust23THRUST_200600_302600_NS6detail15normal_iteratorINS8_7pointerIaNS8_11hip_rocprim3tagENS8_11use_defaultESE_EEEENSA_INSB_IlSD_SE_SE_EEEEZNS1_13binary_searchIS3_S5_NSA_INS8_10device_ptrIaEEEESG_SI_NS1_21lower_bound_search_opENS9_16wrapped_functionINS8_7greaterIaEEbEEEE10hipError_tPvRmT1_T2_T3_mmT4_T5_P12ihipStream_tbEUlRKaE_EESS_SW_SX_mSY_S11_bEUlT_E_NS1_11comp_targetILNS1_3genE5ELNS1_11target_archE942ELNS1_3gpuE9ELNS1_3repE0EEENS1_30default_config_static_selectorELNS0_4arch9wavefront6targetE0EEEvSV_
; %bb.0:
	.section	.rodata,"a",@progbits
	.p2align	6, 0x0
	.amdhsa_kernel _ZN7rocprim17ROCPRIM_400000_NS6detail17trampoline_kernelINS0_14default_configENS1_27lower_bound_config_selectorIalEEZNS1_14transform_implILb0ES3_S5_N6thrust23THRUST_200600_302600_NS6detail15normal_iteratorINS8_7pointerIaNS8_11hip_rocprim3tagENS8_11use_defaultESE_EEEENSA_INSB_IlSD_SE_SE_EEEEZNS1_13binary_searchIS3_S5_NSA_INS8_10device_ptrIaEEEESG_SI_NS1_21lower_bound_search_opENS9_16wrapped_functionINS8_7greaterIaEEbEEEE10hipError_tPvRmT1_T2_T3_mmT4_T5_P12ihipStream_tbEUlRKaE_EESS_SW_SX_mSY_S11_bEUlT_E_NS1_11comp_targetILNS1_3genE5ELNS1_11target_archE942ELNS1_3gpuE9ELNS1_3repE0EEENS1_30default_config_static_selectorELNS0_4arch9wavefront6targetE0EEEvSV_
		.amdhsa_group_segment_fixed_size 0
		.amdhsa_private_segment_fixed_size 0
		.amdhsa_kernarg_size 56
		.amdhsa_user_sgpr_count 2
		.amdhsa_user_sgpr_dispatch_ptr 0
		.amdhsa_user_sgpr_queue_ptr 0
		.amdhsa_user_sgpr_kernarg_segment_ptr 1
		.amdhsa_user_sgpr_dispatch_id 0
		.amdhsa_user_sgpr_kernarg_preload_length 0
		.amdhsa_user_sgpr_kernarg_preload_offset 0
		.amdhsa_user_sgpr_private_segment_size 0
		.amdhsa_wavefront_size32 1
		.amdhsa_uses_dynamic_stack 0
		.amdhsa_enable_private_segment 0
		.amdhsa_system_sgpr_workgroup_id_x 1
		.amdhsa_system_sgpr_workgroup_id_y 0
		.amdhsa_system_sgpr_workgroup_id_z 0
		.amdhsa_system_sgpr_workgroup_info 0
		.amdhsa_system_vgpr_workitem_id 0
		.amdhsa_next_free_vgpr 1
		.amdhsa_next_free_sgpr 1
		.amdhsa_named_barrier_count 0
		.amdhsa_reserve_vcc 0
		.amdhsa_float_round_mode_32 0
		.amdhsa_float_round_mode_16_64 0
		.amdhsa_float_denorm_mode_32 3
		.amdhsa_float_denorm_mode_16_64 3
		.amdhsa_fp16_overflow 0
		.amdhsa_memory_ordered 1
		.amdhsa_forward_progress 1
		.amdhsa_inst_pref_size 0
		.amdhsa_round_robin_scheduling 0
		.amdhsa_exception_fp_ieee_invalid_op 0
		.amdhsa_exception_fp_denorm_src 0
		.amdhsa_exception_fp_ieee_div_zero 0
		.amdhsa_exception_fp_ieee_overflow 0
		.amdhsa_exception_fp_ieee_underflow 0
		.amdhsa_exception_fp_ieee_inexact 0
		.amdhsa_exception_int_div_zero 0
	.end_amdhsa_kernel
	.section	.text._ZN7rocprim17ROCPRIM_400000_NS6detail17trampoline_kernelINS0_14default_configENS1_27lower_bound_config_selectorIalEEZNS1_14transform_implILb0ES3_S5_N6thrust23THRUST_200600_302600_NS6detail15normal_iteratorINS8_7pointerIaNS8_11hip_rocprim3tagENS8_11use_defaultESE_EEEENSA_INSB_IlSD_SE_SE_EEEEZNS1_13binary_searchIS3_S5_NSA_INS8_10device_ptrIaEEEESG_SI_NS1_21lower_bound_search_opENS9_16wrapped_functionINS8_7greaterIaEEbEEEE10hipError_tPvRmT1_T2_T3_mmT4_T5_P12ihipStream_tbEUlRKaE_EESS_SW_SX_mSY_S11_bEUlT_E_NS1_11comp_targetILNS1_3genE5ELNS1_11target_archE942ELNS1_3gpuE9ELNS1_3repE0EEENS1_30default_config_static_selectorELNS0_4arch9wavefront6targetE0EEEvSV_,"axG",@progbits,_ZN7rocprim17ROCPRIM_400000_NS6detail17trampoline_kernelINS0_14default_configENS1_27lower_bound_config_selectorIalEEZNS1_14transform_implILb0ES3_S5_N6thrust23THRUST_200600_302600_NS6detail15normal_iteratorINS8_7pointerIaNS8_11hip_rocprim3tagENS8_11use_defaultESE_EEEENSA_INSB_IlSD_SE_SE_EEEEZNS1_13binary_searchIS3_S5_NSA_INS8_10device_ptrIaEEEESG_SI_NS1_21lower_bound_search_opENS9_16wrapped_functionINS8_7greaterIaEEbEEEE10hipError_tPvRmT1_T2_T3_mmT4_T5_P12ihipStream_tbEUlRKaE_EESS_SW_SX_mSY_S11_bEUlT_E_NS1_11comp_targetILNS1_3genE5ELNS1_11target_archE942ELNS1_3gpuE9ELNS1_3repE0EEENS1_30default_config_static_selectorELNS0_4arch9wavefront6targetE0EEEvSV_,comdat
.Lfunc_end2:
	.size	_ZN7rocprim17ROCPRIM_400000_NS6detail17trampoline_kernelINS0_14default_configENS1_27lower_bound_config_selectorIalEEZNS1_14transform_implILb0ES3_S5_N6thrust23THRUST_200600_302600_NS6detail15normal_iteratorINS8_7pointerIaNS8_11hip_rocprim3tagENS8_11use_defaultESE_EEEENSA_INSB_IlSD_SE_SE_EEEEZNS1_13binary_searchIS3_S5_NSA_INS8_10device_ptrIaEEEESG_SI_NS1_21lower_bound_search_opENS9_16wrapped_functionINS8_7greaterIaEEbEEEE10hipError_tPvRmT1_T2_T3_mmT4_T5_P12ihipStream_tbEUlRKaE_EESS_SW_SX_mSY_S11_bEUlT_E_NS1_11comp_targetILNS1_3genE5ELNS1_11target_archE942ELNS1_3gpuE9ELNS1_3repE0EEENS1_30default_config_static_selectorELNS0_4arch9wavefront6targetE0EEEvSV_, .Lfunc_end2-_ZN7rocprim17ROCPRIM_400000_NS6detail17trampoline_kernelINS0_14default_configENS1_27lower_bound_config_selectorIalEEZNS1_14transform_implILb0ES3_S5_N6thrust23THRUST_200600_302600_NS6detail15normal_iteratorINS8_7pointerIaNS8_11hip_rocprim3tagENS8_11use_defaultESE_EEEENSA_INSB_IlSD_SE_SE_EEEEZNS1_13binary_searchIS3_S5_NSA_INS8_10device_ptrIaEEEESG_SI_NS1_21lower_bound_search_opENS9_16wrapped_functionINS8_7greaterIaEEbEEEE10hipError_tPvRmT1_T2_T3_mmT4_T5_P12ihipStream_tbEUlRKaE_EESS_SW_SX_mSY_S11_bEUlT_E_NS1_11comp_targetILNS1_3genE5ELNS1_11target_archE942ELNS1_3gpuE9ELNS1_3repE0EEENS1_30default_config_static_selectorELNS0_4arch9wavefront6targetE0EEEvSV_
                                        ; -- End function
	.set _ZN7rocprim17ROCPRIM_400000_NS6detail17trampoline_kernelINS0_14default_configENS1_27lower_bound_config_selectorIalEEZNS1_14transform_implILb0ES3_S5_N6thrust23THRUST_200600_302600_NS6detail15normal_iteratorINS8_7pointerIaNS8_11hip_rocprim3tagENS8_11use_defaultESE_EEEENSA_INSB_IlSD_SE_SE_EEEEZNS1_13binary_searchIS3_S5_NSA_INS8_10device_ptrIaEEEESG_SI_NS1_21lower_bound_search_opENS9_16wrapped_functionINS8_7greaterIaEEbEEEE10hipError_tPvRmT1_T2_T3_mmT4_T5_P12ihipStream_tbEUlRKaE_EESS_SW_SX_mSY_S11_bEUlT_E_NS1_11comp_targetILNS1_3genE5ELNS1_11target_archE942ELNS1_3gpuE9ELNS1_3repE0EEENS1_30default_config_static_selectorELNS0_4arch9wavefront6targetE0EEEvSV_.num_vgpr, 0
	.set _ZN7rocprim17ROCPRIM_400000_NS6detail17trampoline_kernelINS0_14default_configENS1_27lower_bound_config_selectorIalEEZNS1_14transform_implILb0ES3_S5_N6thrust23THRUST_200600_302600_NS6detail15normal_iteratorINS8_7pointerIaNS8_11hip_rocprim3tagENS8_11use_defaultESE_EEEENSA_INSB_IlSD_SE_SE_EEEEZNS1_13binary_searchIS3_S5_NSA_INS8_10device_ptrIaEEEESG_SI_NS1_21lower_bound_search_opENS9_16wrapped_functionINS8_7greaterIaEEbEEEE10hipError_tPvRmT1_T2_T3_mmT4_T5_P12ihipStream_tbEUlRKaE_EESS_SW_SX_mSY_S11_bEUlT_E_NS1_11comp_targetILNS1_3genE5ELNS1_11target_archE942ELNS1_3gpuE9ELNS1_3repE0EEENS1_30default_config_static_selectorELNS0_4arch9wavefront6targetE0EEEvSV_.num_agpr, 0
	.set _ZN7rocprim17ROCPRIM_400000_NS6detail17trampoline_kernelINS0_14default_configENS1_27lower_bound_config_selectorIalEEZNS1_14transform_implILb0ES3_S5_N6thrust23THRUST_200600_302600_NS6detail15normal_iteratorINS8_7pointerIaNS8_11hip_rocprim3tagENS8_11use_defaultESE_EEEENSA_INSB_IlSD_SE_SE_EEEEZNS1_13binary_searchIS3_S5_NSA_INS8_10device_ptrIaEEEESG_SI_NS1_21lower_bound_search_opENS9_16wrapped_functionINS8_7greaterIaEEbEEEE10hipError_tPvRmT1_T2_T3_mmT4_T5_P12ihipStream_tbEUlRKaE_EESS_SW_SX_mSY_S11_bEUlT_E_NS1_11comp_targetILNS1_3genE5ELNS1_11target_archE942ELNS1_3gpuE9ELNS1_3repE0EEENS1_30default_config_static_selectorELNS0_4arch9wavefront6targetE0EEEvSV_.numbered_sgpr, 0
	.set _ZN7rocprim17ROCPRIM_400000_NS6detail17trampoline_kernelINS0_14default_configENS1_27lower_bound_config_selectorIalEEZNS1_14transform_implILb0ES3_S5_N6thrust23THRUST_200600_302600_NS6detail15normal_iteratorINS8_7pointerIaNS8_11hip_rocprim3tagENS8_11use_defaultESE_EEEENSA_INSB_IlSD_SE_SE_EEEEZNS1_13binary_searchIS3_S5_NSA_INS8_10device_ptrIaEEEESG_SI_NS1_21lower_bound_search_opENS9_16wrapped_functionINS8_7greaterIaEEbEEEE10hipError_tPvRmT1_T2_T3_mmT4_T5_P12ihipStream_tbEUlRKaE_EESS_SW_SX_mSY_S11_bEUlT_E_NS1_11comp_targetILNS1_3genE5ELNS1_11target_archE942ELNS1_3gpuE9ELNS1_3repE0EEENS1_30default_config_static_selectorELNS0_4arch9wavefront6targetE0EEEvSV_.num_named_barrier, 0
	.set _ZN7rocprim17ROCPRIM_400000_NS6detail17trampoline_kernelINS0_14default_configENS1_27lower_bound_config_selectorIalEEZNS1_14transform_implILb0ES3_S5_N6thrust23THRUST_200600_302600_NS6detail15normal_iteratorINS8_7pointerIaNS8_11hip_rocprim3tagENS8_11use_defaultESE_EEEENSA_INSB_IlSD_SE_SE_EEEEZNS1_13binary_searchIS3_S5_NSA_INS8_10device_ptrIaEEEESG_SI_NS1_21lower_bound_search_opENS9_16wrapped_functionINS8_7greaterIaEEbEEEE10hipError_tPvRmT1_T2_T3_mmT4_T5_P12ihipStream_tbEUlRKaE_EESS_SW_SX_mSY_S11_bEUlT_E_NS1_11comp_targetILNS1_3genE5ELNS1_11target_archE942ELNS1_3gpuE9ELNS1_3repE0EEENS1_30default_config_static_selectorELNS0_4arch9wavefront6targetE0EEEvSV_.private_seg_size, 0
	.set _ZN7rocprim17ROCPRIM_400000_NS6detail17trampoline_kernelINS0_14default_configENS1_27lower_bound_config_selectorIalEEZNS1_14transform_implILb0ES3_S5_N6thrust23THRUST_200600_302600_NS6detail15normal_iteratorINS8_7pointerIaNS8_11hip_rocprim3tagENS8_11use_defaultESE_EEEENSA_INSB_IlSD_SE_SE_EEEEZNS1_13binary_searchIS3_S5_NSA_INS8_10device_ptrIaEEEESG_SI_NS1_21lower_bound_search_opENS9_16wrapped_functionINS8_7greaterIaEEbEEEE10hipError_tPvRmT1_T2_T3_mmT4_T5_P12ihipStream_tbEUlRKaE_EESS_SW_SX_mSY_S11_bEUlT_E_NS1_11comp_targetILNS1_3genE5ELNS1_11target_archE942ELNS1_3gpuE9ELNS1_3repE0EEENS1_30default_config_static_selectorELNS0_4arch9wavefront6targetE0EEEvSV_.uses_vcc, 0
	.set _ZN7rocprim17ROCPRIM_400000_NS6detail17trampoline_kernelINS0_14default_configENS1_27lower_bound_config_selectorIalEEZNS1_14transform_implILb0ES3_S5_N6thrust23THRUST_200600_302600_NS6detail15normal_iteratorINS8_7pointerIaNS8_11hip_rocprim3tagENS8_11use_defaultESE_EEEENSA_INSB_IlSD_SE_SE_EEEEZNS1_13binary_searchIS3_S5_NSA_INS8_10device_ptrIaEEEESG_SI_NS1_21lower_bound_search_opENS9_16wrapped_functionINS8_7greaterIaEEbEEEE10hipError_tPvRmT1_T2_T3_mmT4_T5_P12ihipStream_tbEUlRKaE_EESS_SW_SX_mSY_S11_bEUlT_E_NS1_11comp_targetILNS1_3genE5ELNS1_11target_archE942ELNS1_3gpuE9ELNS1_3repE0EEENS1_30default_config_static_selectorELNS0_4arch9wavefront6targetE0EEEvSV_.uses_flat_scratch, 0
	.set _ZN7rocprim17ROCPRIM_400000_NS6detail17trampoline_kernelINS0_14default_configENS1_27lower_bound_config_selectorIalEEZNS1_14transform_implILb0ES3_S5_N6thrust23THRUST_200600_302600_NS6detail15normal_iteratorINS8_7pointerIaNS8_11hip_rocprim3tagENS8_11use_defaultESE_EEEENSA_INSB_IlSD_SE_SE_EEEEZNS1_13binary_searchIS3_S5_NSA_INS8_10device_ptrIaEEEESG_SI_NS1_21lower_bound_search_opENS9_16wrapped_functionINS8_7greaterIaEEbEEEE10hipError_tPvRmT1_T2_T3_mmT4_T5_P12ihipStream_tbEUlRKaE_EESS_SW_SX_mSY_S11_bEUlT_E_NS1_11comp_targetILNS1_3genE5ELNS1_11target_archE942ELNS1_3gpuE9ELNS1_3repE0EEENS1_30default_config_static_selectorELNS0_4arch9wavefront6targetE0EEEvSV_.has_dyn_sized_stack, 0
	.set _ZN7rocprim17ROCPRIM_400000_NS6detail17trampoline_kernelINS0_14default_configENS1_27lower_bound_config_selectorIalEEZNS1_14transform_implILb0ES3_S5_N6thrust23THRUST_200600_302600_NS6detail15normal_iteratorINS8_7pointerIaNS8_11hip_rocprim3tagENS8_11use_defaultESE_EEEENSA_INSB_IlSD_SE_SE_EEEEZNS1_13binary_searchIS3_S5_NSA_INS8_10device_ptrIaEEEESG_SI_NS1_21lower_bound_search_opENS9_16wrapped_functionINS8_7greaterIaEEbEEEE10hipError_tPvRmT1_T2_T3_mmT4_T5_P12ihipStream_tbEUlRKaE_EESS_SW_SX_mSY_S11_bEUlT_E_NS1_11comp_targetILNS1_3genE5ELNS1_11target_archE942ELNS1_3gpuE9ELNS1_3repE0EEENS1_30default_config_static_selectorELNS0_4arch9wavefront6targetE0EEEvSV_.has_recursion, 0
	.set _ZN7rocprim17ROCPRIM_400000_NS6detail17trampoline_kernelINS0_14default_configENS1_27lower_bound_config_selectorIalEEZNS1_14transform_implILb0ES3_S5_N6thrust23THRUST_200600_302600_NS6detail15normal_iteratorINS8_7pointerIaNS8_11hip_rocprim3tagENS8_11use_defaultESE_EEEENSA_INSB_IlSD_SE_SE_EEEEZNS1_13binary_searchIS3_S5_NSA_INS8_10device_ptrIaEEEESG_SI_NS1_21lower_bound_search_opENS9_16wrapped_functionINS8_7greaterIaEEbEEEE10hipError_tPvRmT1_T2_T3_mmT4_T5_P12ihipStream_tbEUlRKaE_EESS_SW_SX_mSY_S11_bEUlT_E_NS1_11comp_targetILNS1_3genE5ELNS1_11target_archE942ELNS1_3gpuE9ELNS1_3repE0EEENS1_30default_config_static_selectorELNS0_4arch9wavefront6targetE0EEEvSV_.has_indirect_call, 0
	.section	.AMDGPU.csdata,"",@progbits
; Kernel info:
; codeLenInByte = 0
; TotalNumSgprs: 0
; NumVgprs: 0
; ScratchSize: 0
; MemoryBound: 0
; FloatMode: 240
; IeeeMode: 1
; LDSByteSize: 0 bytes/workgroup (compile time only)
; SGPRBlocks: 0
; VGPRBlocks: 0
; NumSGPRsForWavesPerEU: 1
; NumVGPRsForWavesPerEU: 1
; NamedBarCnt: 0
; Occupancy: 16
; WaveLimiterHint : 0
; COMPUTE_PGM_RSRC2:SCRATCH_EN: 0
; COMPUTE_PGM_RSRC2:USER_SGPR: 2
; COMPUTE_PGM_RSRC2:TRAP_HANDLER: 0
; COMPUTE_PGM_RSRC2:TGID_X_EN: 1
; COMPUTE_PGM_RSRC2:TGID_Y_EN: 0
; COMPUTE_PGM_RSRC2:TGID_Z_EN: 0
; COMPUTE_PGM_RSRC2:TIDIG_COMP_CNT: 0
	.section	.text._ZN7rocprim17ROCPRIM_400000_NS6detail17trampoline_kernelINS0_14default_configENS1_27lower_bound_config_selectorIalEEZNS1_14transform_implILb0ES3_S5_N6thrust23THRUST_200600_302600_NS6detail15normal_iteratorINS8_7pointerIaNS8_11hip_rocprim3tagENS8_11use_defaultESE_EEEENSA_INSB_IlSD_SE_SE_EEEEZNS1_13binary_searchIS3_S5_NSA_INS8_10device_ptrIaEEEESG_SI_NS1_21lower_bound_search_opENS9_16wrapped_functionINS8_7greaterIaEEbEEEE10hipError_tPvRmT1_T2_T3_mmT4_T5_P12ihipStream_tbEUlRKaE_EESS_SW_SX_mSY_S11_bEUlT_E_NS1_11comp_targetILNS1_3genE4ELNS1_11target_archE910ELNS1_3gpuE8ELNS1_3repE0EEENS1_30default_config_static_selectorELNS0_4arch9wavefront6targetE0EEEvSV_,"axG",@progbits,_ZN7rocprim17ROCPRIM_400000_NS6detail17trampoline_kernelINS0_14default_configENS1_27lower_bound_config_selectorIalEEZNS1_14transform_implILb0ES3_S5_N6thrust23THRUST_200600_302600_NS6detail15normal_iteratorINS8_7pointerIaNS8_11hip_rocprim3tagENS8_11use_defaultESE_EEEENSA_INSB_IlSD_SE_SE_EEEEZNS1_13binary_searchIS3_S5_NSA_INS8_10device_ptrIaEEEESG_SI_NS1_21lower_bound_search_opENS9_16wrapped_functionINS8_7greaterIaEEbEEEE10hipError_tPvRmT1_T2_T3_mmT4_T5_P12ihipStream_tbEUlRKaE_EESS_SW_SX_mSY_S11_bEUlT_E_NS1_11comp_targetILNS1_3genE4ELNS1_11target_archE910ELNS1_3gpuE8ELNS1_3repE0EEENS1_30default_config_static_selectorELNS0_4arch9wavefront6targetE0EEEvSV_,comdat
	.protected	_ZN7rocprim17ROCPRIM_400000_NS6detail17trampoline_kernelINS0_14default_configENS1_27lower_bound_config_selectorIalEEZNS1_14transform_implILb0ES3_S5_N6thrust23THRUST_200600_302600_NS6detail15normal_iteratorINS8_7pointerIaNS8_11hip_rocprim3tagENS8_11use_defaultESE_EEEENSA_INSB_IlSD_SE_SE_EEEEZNS1_13binary_searchIS3_S5_NSA_INS8_10device_ptrIaEEEESG_SI_NS1_21lower_bound_search_opENS9_16wrapped_functionINS8_7greaterIaEEbEEEE10hipError_tPvRmT1_T2_T3_mmT4_T5_P12ihipStream_tbEUlRKaE_EESS_SW_SX_mSY_S11_bEUlT_E_NS1_11comp_targetILNS1_3genE4ELNS1_11target_archE910ELNS1_3gpuE8ELNS1_3repE0EEENS1_30default_config_static_selectorELNS0_4arch9wavefront6targetE0EEEvSV_ ; -- Begin function _ZN7rocprim17ROCPRIM_400000_NS6detail17trampoline_kernelINS0_14default_configENS1_27lower_bound_config_selectorIalEEZNS1_14transform_implILb0ES3_S5_N6thrust23THRUST_200600_302600_NS6detail15normal_iteratorINS8_7pointerIaNS8_11hip_rocprim3tagENS8_11use_defaultESE_EEEENSA_INSB_IlSD_SE_SE_EEEEZNS1_13binary_searchIS3_S5_NSA_INS8_10device_ptrIaEEEESG_SI_NS1_21lower_bound_search_opENS9_16wrapped_functionINS8_7greaterIaEEbEEEE10hipError_tPvRmT1_T2_T3_mmT4_T5_P12ihipStream_tbEUlRKaE_EESS_SW_SX_mSY_S11_bEUlT_E_NS1_11comp_targetILNS1_3genE4ELNS1_11target_archE910ELNS1_3gpuE8ELNS1_3repE0EEENS1_30default_config_static_selectorELNS0_4arch9wavefront6targetE0EEEvSV_
	.globl	_ZN7rocprim17ROCPRIM_400000_NS6detail17trampoline_kernelINS0_14default_configENS1_27lower_bound_config_selectorIalEEZNS1_14transform_implILb0ES3_S5_N6thrust23THRUST_200600_302600_NS6detail15normal_iteratorINS8_7pointerIaNS8_11hip_rocprim3tagENS8_11use_defaultESE_EEEENSA_INSB_IlSD_SE_SE_EEEEZNS1_13binary_searchIS3_S5_NSA_INS8_10device_ptrIaEEEESG_SI_NS1_21lower_bound_search_opENS9_16wrapped_functionINS8_7greaterIaEEbEEEE10hipError_tPvRmT1_T2_T3_mmT4_T5_P12ihipStream_tbEUlRKaE_EESS_SW_SX_mSY_S11_bEUlT_E_NS1_11comp_targetILNS1_3genE4ELNS1_11target_archE910ELNS1_3gpuE8ELNS1_3repE0EEENS1_30default_config_static_selectorELNS0_4arch9wavefront6targetE0EEEvSV_
	.p2align	8
	.type	_ZN7rocprim17ROCPRIM_400000_NS6detail17trampoline_kernelINS0_14default_configENS1_27lower_bound_config_selectorIalEEZNS1_14transform_implILb0ES3_S5_N6thrust23THRUST_200600_302600_NS6detail15normal_iteratorINS8_7pointerIaNS8_11hip_rocprim3tagENS8_11use_defaultESE_EEEENSA_INSB_IlSD_SE_SE_EEEEZNS1_13binary_searchIS3_S5_NSA_INS8_10device_ptrIaEEEESG_SI_NS1_21lower_bound_search_opENS9_16wrapped_functionINS8_7greaterIaEEbEEEE10hipError_tPvRmT1_T2_T3_mmT4_T5_P12ihipStream_tbEUlRKaE_EESS_SW_SX_mSY_S11_bEUlT_E_NS1_11comp_targetILNS1_3genE4ELNS1_11target_archE910ELNS1_3gpuE8ELNS1_3repE0EEENS1_30default_config_static_selectorELNS0_4arch9wavefront6targetE0EEEvSV_,@function
_ZN7rocprim17ROCPRIM_400000_NS6detail17trampoline_kernelINS0_14default_configENS1_27lower_bound_config_selectorIalEEZNS1_14transform_implILb0ES3_S5_N6thrust23THRUST_200600_302600_NS6detail15normal_iteratorINS8_7pointerIaNS8_11hip_rocprim3tagENS8_11use_defaultESE_EEEENSA_INSB_IlSD_SE_SE_EEEEZNS1_13binary_searchIS3_S5_NSA_INS8_10device_ptrIaEEEESG_SI_NS1_21lower_bound_search_opENS9_16wrapped_functionINS8_7greaterIaEEbEEEE10hipError_tPvRmT1_T2_T3_mmT4_T5_P12ihipStream_tbEUlRKaE_EESS_SW_SX_mSY_S11_bEUlT_E_NS1_11comp_targetILNS1_3genE4ELNS1_11target_archE910ELNS1_3gpuE8ELNS1_3repE0EEENS1_30default_config_static_selectorELNS0_4arch9wavefront6targetE0EEEvSV_: ; @_ZN7rocprim17ROCPRIM_400000_NS6detail17trampoline_kernelINS0_14default_configENS1_27lower_bound_config_selectorIalEEZNS1_14transform_implILb0ES3_S5_N6thrust23THRUST_200600_302600_NS6detail15normal_iteratorINS8_7pointerIaNS8_11hip_rocprim3tagENS8_11use_defaultESE_EEEENSA_INSB_IlSD_SE_SE_EEEEZNS1_13binary_searchIS3_S5_NSA_INS8_10device_ptrIaEEEESG_SI_NS1_21lower_bound_search_opENS9_16wrapped_functionINS8_7greaterIaEEbEEEE10hipError_tPvRmT1_T2_T3_mmT4_T5_P12ihipStream_tbEUlRKaE_EESS_SW_SX_mSY_S11_bEUlT_E_NS1_11comp_targetILNS1_3genE4ELNS1_11target_archE910ELNS1_3gpuE8ELNS1_3repE0EEENS1_30default_config_static_selectorELNS0_4arch9wavefront6targetE0EEEvSV_
; %bb.0:
	.section	.rodata,"a",@progbits
	.p2align	6, 0x0
	.amdhsa_kernel _ZN7rocprim17ROCPRIM_400000_NS6detail17trampoline_kernelINS0_14default_configENS1_27lower_bound_config_selectorIalEEZNS1_14transform_implILb0ES3_S5_N6thrust23THRUST_200600_302600_NS6detail15normal_iteratorINS8_7pointerIaNS8_11hip_rocprim3tagENS8_11use_defaultESE_EEEENSA_INSB_IlSD_SE_SE_EEEEZNS1_13binary_searchIS3_S5_NSA_INS8_10device_ptrIaEEEESG_SI_NS1_21lower_bound_search_opENS9_16wrapped_functionINS8_7greaterIaEEbEEEE10hipError_tPvRmT1_T2_T3_mmT4_T5_P12ihipStream_tbEUlRKaE_EESS_SW_SX_mSY_S11_bEUlT_E_NS1_11comp_targetILNS1_3genE4ELNS1_11target_archE910ELNS1_3gpuE8ELNS1_3repE0EEENS1_30default_config_static_selectorELNS0_4arch9wavefront6targetE0EEEvSV_
		.amdhsa_group_segment_fixed_size 0
		.amdhsa_private_segment_fixed_size 0
		.amdhsa_kernarg_size 56
		.amdhsa_user_sgpr_count 2
		.amdhsa_user_sgpr_dispatch_ptr 0
		.amdhsa_user_sgpr_queue_ptr 0
		.amdhsa_user_sgpr_kernarg_segment_ptr 1
		.amdhsa_user_sgpr_dispatch_id 0
		.amdhsa_user_sgpr_kernarg_preload_length 0
		.amdhsa_user_sgpr_kernarg_preload_offset 0
		.amdhsa_user_sgpr_private_segment_size 0
		.amdhsa_wavefront_size32 1
		.amdhsa_uses_dynamic_stack 0
		.amdhsa_enable_private_segment 0
		.amdhsa_system_sgpr_workgroup_id_x 1
		.amdhsa_system_sgpr_workgroup_id_y 0
		.amdhsa_system_sgpr_workgroup_id_z 0
		.amdhsa_system_sgpr_workgroup_info 0
		.amdhsa_system_vgpr_workitem_id 0
		.amdhsa_next_free_vgpr 1
		.amdhsa_next_free_sgpr 1
		.amdhsa_named_barrier_count 0
		.amdhsa_reserve_vcc 0
		.amdhsa_float_round_mode_32 0
		.amdhsa_float_round_mode_16_64 0
		.amdhsa_float_denorm_mode_32 3
		.amdhsa_float_denorm_mode_16_64 3
		.amdhsa_fp16_overflow 0
		.amdhsa_memory_ordered 1
		.amdhsa_forward_progress 1
		.amdhsa_inst_pref_size 0
		.amdhsa_round_robin_scheduling 0
		.amdhsa_exception_fp_ieee_invalid_op 0
		.amdhsa_exception_fp_denorm_src 0
		.amdhsa_exception_fp_ieee_div_zero 0
		.amdhsa_exception_fp_ieee_overflow 0
		.amdhsa_exception_fp_ieee_underflow 0
		.amdhsa_exception_fp_ieee_inexact 0
		.amdhsa_exception_int_div_zero 0
	.end_amdhsa_kernel
	.section	.text._ZN7rocprim17ROCPRIM_400000_NS6detail17trampoline_kernelINS0_14default_configENS1_27lower_bound_config_selectorIalEEZNS1_14transform_implILb0ES3_S5_N6thrust23THRUST_200600_302600_NS6detail15normal_iteratorINS8_7pointerIaNS8_11hip_rocprim3tagENS8_11use_defaultESE_EEEENSA_INSB_IlSD_SE_SE_EEEEZNS1_13binary_searchIS3_S5_NSA_INS8_10device_ptrIaEEEESG_SI_NS1_21lower_bound_search_opENS9_16wrapped_functionINS8_7greaterIaEEbEEEE10hipError_tPvRmT1_T2_T3_mmT4_T5_P12ihipStream_tbEUlRKaE_EESS_SW_SX_mSY_S11_bEUlT_E_NS1_11comp_targetILNS1_3genE4ELNS1_11target_archE910ELNS1_3gpuE8ELNS1_3repE0EEENS1_30default_config_static_selectorELNS0_4arch9wavefront6targetE0EEEvSV_,"axG",@progbits,_ZN7rocprim17ROCPRIM_400000_NS6detail17trampoline_kernelINS0_14default_configENS1_27lower_bound_config_selectorIalEEZNS1_14transform_implILb0ES3_S5_N6thrust23THRUST_200600_302600_NS6detail15normal_iteratorINS8_7pointerIaNS8_11hip_rocprim3tagENS8_11use_defaultESE_EEEENSA_INSB_IlSD_SE_SE_EEEEZNS1_13binary_searchIS3_S5_NSA_INS8_10device_ptrIaEEEESG_SI_NS1_21lower_bound_search_opENS9_16wrapped_functionINS8_7greaterIaEEbEEEE10hipError_tPvRmT1_T2_T3_mmT4_T5_P12ihipStream_tbEUlRKaE_EESS_SW_SX_mSY_S11_bEUlT_E_NS1_11comp_targetILNS1_3genE4ELNS1_11target_archE910ELNS1_3gpuE8ELNS1_3repE0EEENS1_30default_config_static_selectorELNS0_4arch9wavefront6targetE0EEEvSV_,comdat
.Lfunc_end3:
	.size	_ZN7rocprim17ROCPRIM_400000_NS6detail17trampoline_kernelINS0_14default_configENS1_27lower_bound_config_selectorIalEEZNS1_14transform_implILb0ES3_S5_N6thrust23THRUST_200600_302600_NS6detail15normal_iteratorINS8_7pointerIaNS8_11hip_rocprim3tagENS8_11use_defaultESE_EEEENSA_INSB_IlSD_SE_SE_EEEEZNS1_13binary_searchIS3_S5_NSA_INS8_10device_ptrIaEEEESG_SI_NS1_21lower_bound_search_opENS9_16wrapped_functionINS8_7greaterIaEEbEEEE10hipError_tPvRmT1_T2_T3_mmT4_T5_P12ihipStream_tbEUlRKaE_EESS_SW_SX_mSY_S11_bEUlT_E_NS1_11comp_targetILNS1_3genE4ELNS1_11target_archE910ELNS1_3gpuE8ELNS1_3repE0EEENS1_30default_config_static_selectorELNS0_4arch9wavefront6targetE0EEEvSV_, .Lfunc_end3-_ZN7rocprim17ROCPRIM_400000_NS6detail17trampoline_kernelINS0_14default_configENS1_27lower_bound_config_selectorIalEEZNS1_14transform_implILb0ES3_S5_N6thrust23THRUST_200600_302600_NS6detail15normal_iteratorINS8_7pointerIaNS8_11hip_rocprim3tagENS8_11use_defaultESE_EEEENSA_INSB_IlSD_SE_SE_EEEEZNS1_13binary_searchIS3_S5_NSA_INS8_10device_ptrIaEEEESG_SI_NS1_21lower_bound_search_opENS9_16wrapped_functionINS8_7greaterIaEEbEEEE10hipError_tPvRmT1_T2_T3_mmT4_T5_P12ihipStream_tbEUlRKaE_EESS_SW_SX_mSY_S11_bEUlT_E_NS1_11comp_targetILNS1_3genE4ELNS1_11target_archE910ELNS1_3gpuE8ELNS1_3repE0EEENS1_30default_config_static_selectorELNS0_4arch9wavefront6targetE0EEEvSV_
                                        ; -- End function
	.set _ZN7rocprim17ROCPRIM_400000_NS6detail17trampoline_kernelINS0_14default_configENS1_27lower_bound_config_selectorIalEEZNS1_14transform_implILb0ES3_S5_N6thrust23THRUST_200600_302600_NS6detail15normal_iteratorINS8_7pointerIaNS8_11hip_rocprim3tagENS8_11use_defaultESE_EEEENSA_INSB_IlSD_SE_SE_EEEEZNS1_13binary_searchIS3_S5_NSA_INS8_10device_ptrIaEEEESG_SI_NS1_21lower_bound_search_opENS9_16wrapped_functionINS8_7greaterIaEEbEEEE10hipError_tPvRmT1_T2_T3_mmT4_T5_P12ihipStream_tbEUlRKaE_EESS_SW_SX_mSY_S11_bEUlT_E_NS1_11comp_targetILNS1_3genE4ELNS1_11target_archE910ELNS1_3gpuE8ELNS1_3repE0EEENS1_30default_config_static_selectorELNS0_4arch9wavefront6targetE0EEEvSV_.num_vgpr, 0
	.set _ZN7rocprim17ROCPRIM_400000_NS6detail17trampoline_kernelINS0_14default_configENS1_27lower_bound_config_selectorIalEEZNS1_14transform_implILb0ES3_S5_N6thrust23THRUST_200600_302600_NS6detail15normal_iteratorINS8_7pointerIaNS8_11hip_rocprim3tagENS8_11use_defaultESE_EEEENSA_INSB_IlSD_SE_SE_EEEEZNS1_13binary_searchIS3_S5_NSA_INS8_10device_ptrIaEEEESG_SI_NS1_21lower_bound_search_opENS9_16wrapped_functionINS8_7greaterIaEEbEEEE10hipError_tPvRmT1_T2_T3_mmT4_T5_P12ihipStream_tbEUlRKaE_EESS_SW_SX_mSY_S11_bEUlT_E_NS1_11comp_targetILNS1_3genE4ELNS1_11target_archE910ELNS1_3gpuE8ELNS1_3repE0EEENS1_30default_config_static_selectorELNS0_4arch9wavefront6targetE0EEEvSV_.num_agpr, 0
	.set _ZN7rocprim17ROCPRIM_400000_NS6detail17trampoline_kernelINS0_14default_configENS1_27lower_bound_config_selectorIalEEZNS1_14transform_implILb0ES3_S5_N6thrust23THRUST_200600_302600_NS6detail15normal_iteratorINS8_7pointerIaNS8_11hip_rocprim3tagENS8_11use_defaultESE_EEEENSA_INSB_IlSD_SE_SE_EEEEZNS1_13binary_searchIS3_S5_NSA_INS8_10device_ptrIaEEEESG_SI_NS1_21lower_bound_search_opENS9_16wrapped_functionINS8_7greaterIaEEbEEEE10hipError_tPvRmT1_T2_T3_mmT4_T5_P12ihipStream_tbEUlRKaE_EESS_SW_SX_mSY_S11_bEUlT_E_NS1_11comp_targetILNS1_3genE4ELNS1_11target_archE910ELNS1_3gpuE8ELNS1_3repE0EEENS1_30default_config_static_selectorELNS0_4arch9wavefront6targetE0EEEvSV_.numbered_sgpr, 0
	.set _ZN7rocprim17ROCPRIM_400000_NS6detail17trampoline_kernelINS0_14default_configENS1_27lower_bound_config_selectorIalEEZNS1_14transform_implILb0ES3_S5_N6thrust23THRUST_200600_302600_NS6detail15normal_iteratorINS8_7pointerIaNS8_11hip_rocprim3tagENS8_11use_defaultESE_EEEENSA_INSB_IlSD_SE_SE_EEEEZNS1_13binary_searchIS3_S5_NSA_INS8_10device_ptrIaEEEESG_SI_NS1_21lower_bound_search_opENS9_16wrapped_functionINS8_7greaterIaEEbEEEE10hipError_tPvRmT1_T2_T3_mmT4_T5_P12ihipStream_tbEUlRKaE_EESS_SW_SX_mSY_S11_bEUlT_E_NS1_11comp_targetILNS1_3genE4ELNS1_11target_archE910ELNS1_3gpuE8ELNS1_3repE0EEENS1_30default_config_static_selectorELNS0_4arch9wavefront6targetE0EEEvSV_.num_named_barrier, 0
	.set _ZN7rocprim17ROCPRIM_400000_NS6detail17trampoline_kernelINS0_14default_configENS1_27lower_bound_config_selectorIalEEZNS1_14transform_implILb0ES3_S5_N6thrust23THRUST_200600_302600_NS6detail15normal_iteratorINS8_7pointerIaNS8_11hip_rocprim3tagENS8_11use_defaultESE_EEEENSA_INSB_IlSD_SE_SE_EEEEZNS1_13binary_searchIS3_S5_NSA_INS8_10device_ptrIaEEEESG_SI_NS1_21lower_bound_search_opENS9_16wrapped_functionINS8_7greaterIaEEbEEEE10hipError_tPvRmT1_T2_T3_mmT4_T5_P12ihipStream_tbEUlRKaE_EESS_SW_SX_mSY_S11_bEUlT_E_NS1_11comp_targetILNS1_3genE4ELNS1_11target_archE910ELNS1_3gpuE8ELNS1_3repE0EEENS1_30default_config_static_selectorELNS0_4arch9wavefront6targetE0EEEvSV_.private_seg_size, 0
	.set _ZN7rocprim17ROCPRIM_400000_NS6detail17trampoline_kernelINS0_14default_configENS1_27lower_bound_config_selectorIalEEZNS1_14transform_implILb0ES3_S5_N6thrust23THRUST_200600_302600_NS6detail15normal_iteratorINS8_7pointerIaNS8_11hip_rocprim3tagENS8_11use_defaultESE_EEEENSA_INSB_IlSD_SE_SE_EEEEZNS1_13binary_searchIS3_S5_NSA_INS8_10device_ptrIaEEEESG_SI_NS1_21lower_bound_search_opENS9_16wrapped_functionINS8_7greaterIaEEbEEEE10hipError_tPvRmT1_T2_T3_mmT4_T5_P12ihipStream_tbEUlRKaE_EESS_SW_SX_mSY_S11_bEUlT_E_NS1_11comp_targetILNS1_3genE4ELNS1_11target_archE910ELNS1_3gpuE8ELNS1_3repE0EEENS1_30default_config_static_selectorELNS0_4arch9wavefront6targetE0EEEvSV_.uses_vcc, 0
	.set _ZN7rocprim17ROCPRIM_400000_NS6detail17trampoline_kernelINS0_14default_configENS1_27lower_bound_config_selectorIalEEZNS1_14transform_implILb0ES3_S5_N6thrust23THRUST_200600_302600_NS6detail15normal_iteratorINS8_7pointerIaNS8_11hip_rocprim3tagENS8_11use_defaultESE_EEEENSA_INSB_IlSD_SE_SE_EEEEZNS1_13binary_searchIS3_S5_NSA_INS8_10device_ptrIaEEEESG_SI_NS1_21lower_bound_search_opENS9_16wrapped_functionINS8_7greaterIaEEbEEEE10hipError_tPvRmT1_T2_T3_mmT4_T5_P12ihipStream_tbEUlRKaE_EESS_SW_SX_mSY_S11_bEUlT_E_NS1_11comp_targetILNS1_3genE4ELNS1_11target_archE910ELNS1_3gpuE8ELNS1_3repE0EEENS1_30default_config_static_selectorELNS0_4arch9wavefront6targetE0EEEvSV_.uses_flat_scratch, 0
	.set _ZN7rocprim17ROCPRIM_400000_NS6detail17trampoline_kernelINS0_14default_configENS1_27lower_bound_config_selectorIalEEZNS1_14transform_implILb0ES3_S5_N6thrust23THRUST_200600_302600_NS6detail15normal_iteratorINS8_7pointerIaNS8_11hip_rocprim3tagENS8_11use_defaultESE_EEEENSA_INSB_IlSD_SE_SE_EEEEZNS1_13binary_searchIS3_S5_NSA_INS8_10device_ptrIaEEEESG_SI_NS1_21lower_bound_search_opENS9_16wrapped_functionINS8_7greaterIaEEbEEEE10hipError_tPvRmT1_T2_T3_mmT4_T5_P12ihipStream_tbEUlRKaE_EESS_SW_SX_mSY_S11_bEUlT_E_NS1_11comp_targetILNS1_3genE4ELNS1_11target_archE910ELNS1_3gpuE8ELNS1_3repE0EEENS1_30default_config_static_selectorELNS0_4arch9wavefront6targetE0EEEvSV_.has_dyn_sized_stack, 0
	.set _ZN7rocprim17ROCPRIM_400000_NS6detail17trampoline_kernelINS0_14default_configENS1_27lower_bound_config_selectorIalEEZNS1_14transform_implILb0ES3_S5_N6thrust23THRUST_200600_302600_NS6detail15normal_iteratorINS8_7pointerIaNS8_11hip_rocprim3tagENS8_11use_defaultESE_EEEENSA_INSB_IlSD_SE_SE_EEEEZNS1_13binary_searchIS3_S5_NSA_INS8_10device_ptrIaEEEESG_SI_NS1_21lower_bound_search_opENS9_16wrapped_functionINS8_7greaterIaEEbEEEE10hipError_tPvRmT1_T2_T3_mmT4_T5_P12ihipStream_tbEUlRKaE_EESS_SW_SX_mSY_S11_bEUlT_E_NS1_11comp_targetILNS1_3genE4ELNS1_11target_archE910ELNS1_3gpuE8ELNS1_3repE0EEENS1_30default_config_static_selectorELNS0_4arch9wavefront6targetE0EEEvSV_.has_recursion, 0
	.set _ZN7rocprim17ROCPRIM_400000_NS6detail17trampoline_kernelINS0_14default_configENS1_27lower_bound_config_selectorIalEEZNS1_14transform_implILb0ES3_S5_N6thrust23THRUST_200600_302600_NS6detail15normal_iteratorINS8_7pointerIaNS8_11hip_rocprim3tagENS8_11use_defaultESE_EEEENSA_INSB_IlSD_SE_SE_EEEEZNS1_13binary_searchIS3_S5_NSA_INS8_10device_ptrIaEEEESG_SI_NS1_21lower_bound_search_opENS9_16wrapped_functionINS8_7greaterIaEEbEEEE10hipError_tPvRmT1_T2_T3_mmT4_T5_P12ihipStream_tbEUlRKaE_EESS_SW_SX_mSY_S11_bEUlT_E_NS1_11comp_targetILNS1_3genE4ELNS1_11target_archE910ELNS1_3gpuE8ELNS1_3repE0EEENS1_30default_config_static_selectorELNS0_4arch9wavefront6targetE0EEEvSV_.has_indirect_call, 0
	.section	.AMDGPU.csdata,"",@progbits
; Kernel info:
; codeLenInByte = 0
; TotalNumSgprs: 0
; NumVgprs: 0
; ScratchSize: 0
; MemoryBound: 0
; FloatMode: 240
; IeeeMode: 1
; LDSByteSize: 0 bytes/workgroup (compile time only)
; SGPRBlocks: 0
; VGPRBlocks: 0
; NumSGPRsForWavesPerEU: 1
; NumVGPRsForWavesPerEU: 1
; NamedBarCnt: 0
; Occupancy: 16
; WaveLimiterHint : 0
; COMPUTE_PGM_RSRC2:SCRATCH_EN: 0
; COMPUTE_PGM_RSRC2:USER_SGPR: 2
; COMPUTE_PGM_RSRC2:TRAP_HANDLER: 0
; COMPUTE_PGM_RSRC2:TGID_X_EN: 1
; COMPUTE_PGM_RSRC2:TGID_Y_EN: 0
; COMPUTE_PGM_RSRC2:TGID_Z_EN: 0
; COMPUTE_PGM_RSRC2:TIDIG_COMP_CNT: 0
	.section	.text._ZN7rocprim17ROCPRIM_400000_NS6detail17trampoline_kernelINS0_14default_configENS1_27lower_bound_config_selectorIalEEZNS1_14transform_implILb0ES3_S5_N6thrust23THRUST_200600_302600_NS6detail15normal_iteratorINS8_7pointerIaNS8_11hip_rocprim3tagENS8_11use_defaultESE_EEEENSA_INSB_IlSD_SE_SE_EEEEZNS1_13binary_searchIS3_S5_NSA_INS8_10device_ptrIaEEEESG_SI_NS1_21lower_bound_search_opENS9_16wrapped_functionINS8_7greaterIaEEbEEEE10hipError_tPvRmT1_T2_T3_mmT4_T5_P12ihipStream_tbEUlRKaE_EESS_SW_SX_mSY_S11_bEUlT_E_NS1_11comp_targetILNS1_3genE3ELNS1_11target_archE908ELNS1_3gpuE7ELNS1_3repE0EEENS1_30default_config_static_selectorELNS0_4arch9wavefront6targetE0EEEvSV_,"axG",@progbits,_ZN7rocprim17ROCPRIM_400000_NS6detail17trampoline_kernelINS0_14default_configENS1_27lower_bound_config_selectorIalEEZNS1_14transform_implILb0ES3_S5_N6thrust23THRUST_200600_302600_NS6detail15normal_iteratorINS8_7pointerIaNS8_11hip_rocprim3tagENS8_11use_defaultESE_EEEENSA_INSB_IlSD_SE_SE_EEEEZNS1_13binary_searchIS3_S5_NSA_INS8_10device_ptrIaEEEESG_SI_NS1_21lower_bound_search_opENS9_16wrapped_functionINS8_7greaterIaEEbEEEE10hipError_tPvRmT1_T2_T3_mmT4_T5_P12ihipStream_tbEUlRKaE_EESS_SW_SX_mSY_S11_bEUlT_E_NS1_11comp_targetILNS1_3genE3ELNS1_11target_archE908ELNS1_3gpuE7ELNS1_3repE0EEENS1_30default_config_static_selectorELNS0_4arch9wavefront6targetE0EEEvSV_,comdat
	.protected	_ZN7rocprim17ROCPRIM_400000_NS6detail17trampoline_kernelINS0_14default_configENS1_27lower_bound_config_selectorIalEEZNS1_14transform_implILb0ES3_S5_N6thrust23THRUST_200600_302600_NS6detail15normal_iteratorINS8_7pointerIaNS8_11hip_rocprim3tagENS8_11use_defaultESE_EEEENSA_INSB_IlSD_SE_SE_EEEEZNS1_13binary_searchIS3_S5_NSA_INS8_10device_ptrIaEEEESG_SI_NS1_21lower_bound_search_opENS9_16wrapped_functionINS8_7greaterIaEEbEEEE10hipError_tPvRmT1_T2_T3_mmT4_T5_P12ihipStream_tbEUlRKaE_EESS_SW_SX_mSY_S11_bEUlT_E_NS1_11comp_targetILNS1_3genE3ELNS1_11target_archE908ELNS1_3gpuE7ELNS1_3repE0EEENS1_30default_config_static_selectorELNS0_4arch9wavefront6targetE0EEEvSV_ ; -- Begin function _ZN7rocprim17ROCPRIM_400000_NS6detail17trampoline_kernelINS0_14default_configENS1_27lower_bound_config_selectorIalEEZNS1_14transform_implILb0ES3_S5_N6thrust23THRUST_200600_302600_NS6detail15normal_iteratorINS8_7pointerIaNS8_11hip_rocprim3tagENS8_11use_defaultESE_EEEENSA_INSB_IlSD_SE_SE_EEEEZNS1_13binary_searchIS3_S5_NSA_INS8_10device_ptrIaEEEESG_SI_NS1_21lower_bound_search_opENS9_16wrapped_functionINS8_7greaterIaEEbEEEE10hipError_tPvRmT1_T2_T3_mmT4_T5_P12ihipStream_tbEUlRKaE_EESS_SW_SX_mSY_S11_bEUlT_E_NS1_11comp_targetILNS1_3genE3ELNS1_11target_archE908ELNS1_3gpuE7ELNS1_3repE0EEENS1_30default_config_static_selectorELNS0_4arch9wavefront6targetE0EEEvSV_
	.globl	_ZN7rocprim17ROCPRIM_400000_NS6detail17trampoline_kernelINS0_14default_configENS1_27lower_bound_config_selectorIalEEZNS1_14transform_implILb0ES3_S5_N6thrust23THRUST_200600_302600_NS6detail15normal_iteratorINS8_7pointerIaNS8_11hip_rocprim3tagENS8_11use_defaultESE_EEEENSA_INSB_IlSD_SE_SE_EEEEZNS1_13binary_searchIS3_S5_NSA_INS8_10device_ptrIaEEEESG_SI_NS1_21lower_bound_search_opENS9_16wrapped_functionINS8_7greaterIaEEbEEEE10hipError_tPvRmT1_T2_T3_mmT4_T5_P12ihipStream_tbEUlRKaE_EESS_SW_SX_mSY_S11_bEUlT_E_NS1_11comp_targetILNS1_3genE3ELNS1_11target_archE908ELNS1_3gpuE7ELNS1_3repE0EEENS1_30default_config_static_selectorELNS0_4arch9wavefront6targetE0EEEvSV_
	.p2align	8
	.type	_ZN7rocprim17ROCPRIM_400000_NS6detail17trampoline_kernelINS0_14default_configENS1_27lower_bound_config_selectorIalEEZNS1_14transform_implILb0ES3_S5_N6thrust23THRUST_200600_302600_NS6detail15normal_iteratorINS8_7pointerIaNS8_11hip_rocprim3tagENS8_11use_defaultESE_EEEENSA_INSB_IlSD_SE_SE_EEEEZNS1_13binary_searchIS3_S5_NSA_INS8_10device_ptrIaEEEESG_SI_NS1_21lower_bound_search_opENS9_16wrapped_functionINS8_7greaterIaEEbEEEE10hipError_tPvRmT1_T2_T3_mmT4_T5_P12ihipStream_tbEUlRKaE_EESS_SW_SX_mSY_S11_bEUlT_E_NS1_11comp_targetILNS1_3genE3ELNS1_11target_archE908ELNS1_3gpuE7ELNS1_3repE0EEENS1_30default_config_static_selectorELNS0_4arch9wavefront6targetE0EEEvSV_,@function
_ZN7rocprim17ROCPRIM_400000_NS6detail17trampoline_kernelINS0_14default_configENS1_27lower_bound_config_selectorIalEEZNS1_14transform_implILb0ES3_S5_N6thrust23THRUST_200600_302600_NS6detail15normal_iteratorINS8_7pointerIaNS8_11hip_rocprim3tagENS8_11use_defaultESE_EEEENSA_INSB_IlSD_SE_SE_EEEEZNS1_13binary_searchIS3_S5_NSA_INS8_10device_ptrIaEEEESG_SI_NS1_21lower_bound_search_opENS9_16wrapped_functionINS8_7greaterIaEEbEEEE10hipError_tPvRmT1_T2_T3_mmT4_T5_P12ihipStream_tbEUlRKaE_EESS_SW_SX_mSY_S11_bEUlT_E_NS1_11comp_targetILNS1_3genE3ELNS1_11target_archE908ELNS1_3gpuE7ELNS1_3repE0EEENS1_30default_config_static_selectorELNS0_4arch9wavefront6targetE0EEEvSV_: ; @_ZN7rocprim17ROCPRIM_400000_NS6detail17trampoline_kernelINS0_14default_configENS1_27lower_bound_config_selectorIalEEZNS1_14transform_implILb0ES3_S5_N6thrust23THRUST_200600_302600_NS6detail15normal_iteratorINS8_7pointerIaNS8_11hip_rocprim3tagENS8_11use_defaultESE_EEEENSA_INSB_IlSD_SE_SE_EEEEZNS1_13binary_searchIS3_S5_NSA_INS8_10device_ptrIaEEEESG_SI_NS1_21lower_bound_search_opENS9_16wrapped_functionINS8_7greaterIaEEbEEEE10hipError_tPvRmT1_T2_T3_mmT4_T5_P12ihipStream_tbEUlRKaE_EESS_SW_SX_mSY_S11_bEUlT_E_NS1_11comp_targetILNS1_3genE3ELNS1_11target_archE908ELNS1_3gpuE7ELNS1_3repE0EEENS1_30default_config_static_selectorELNS0_4arch9wavefront6targetE0EEEvSV_
; %bb.0:
	.section	.rodata,"a",@progbits
	.p2align	6, 0x0
	.amdhsa_kernel _ZN7rocprim17ROCPRIM_400000_NS6detail17trampoline_kernelINS0_14default_configENS1_27lower_bound_config_selectorIalEEZNS1_14transform_implILb0ES3_S5_N6thrust23THRUST_200600_302600_NS6detail15normal_iteratorINS8_7pointerIaNS8_11hip_rocprim3tagENS8_11use_defaultESE_EEEENSA_INSB_IlSD_SE_SE_EEEEZNS1_13binary_searchIS3_S5_NSA_INS8_10device_ptrIaEEEESG_SI_NS1_21lower_bound_search_opENS9_16wrapped_functionINS8_7greaterIaEEbEEEE10hipError_tPvRmT1_T2_T3_mmT4_T5_P12ihipStream_tbEUlRKaE_EESS_SW_SX_mSY_S11_bEUlT_E_NS1_11comp_targetILNS1_3genE3ELNS1_11target_archE908ELNS1_3gpuE7ELNS1_3repE0EEENS1_30default_config_static_selectorELNS0_4arch9wavefront6targetE0EEEvSV_
		.amdhsa_group_segment_fixed_size 0
		.amdhsa_private_segment_fixed_size 0
		.amdhsa_kernarg_size 56
		.amdhsa_user_sgpr_count 2
		.amdhsa_user_sgpr_dispatch_ptr 0
		.amdhsa_user_sgpr_queue_ptr 0
		.amdhsa_user_sgpr_kernarg_segment_ptr 1
		.amdhsa_user_sgpr_dispatch_id 0
		.amdhsa_user_sgpr_kernarg_preload_length 0
		.amdhsa_user_sgpr_kernarg_preload_offset 0
		.amdhsa_user_sgpr_private_segment_size 0
		.amdhsa_wavefront_size32 1
		.amdhsa_uses_dynamic_stack 0
		.amdhsa_enable_private_segment 0
		.amdhsa_system_sgpr_workgroup_id_x 1
		.amdhsa_system_sgpr_workgroup_id_y 0
		.amdhsa_system_sgpr_workgroup_id_z 0
		.amdhsa_system_sgpr_workgroup_info 0
		.amdhsa_system_vgpr_workitem_id 0
		.amdhsa_next_free_vgpr 1
		.amdhsa_next_free_sgpr 1
		.amdhsa_named_barrier_count 0
		.amdhsa_reserve_vcc 0
		.amdhsa_float_round_mode_32 0
		.amdhsa_float_round_mode_16_64 0
		.amdhsa_float_denorm_mode_32 3
		.amdhsa_float_denorm_mode_16_64 3
		.amdhsa_fp16_overflow 0
		.amdhsa_memory_ordered 1
		.amdhsa_forward_progress 1
		.amdhsa_inst_pref_size 0
		.amdhsa_round_robin_scheduling 0
		.amdhsa_exception_fp_ieee_invalid_op 0
		.amdhsa_exception_fp_denorm_src 0
		.amdhsa_exception_fp_ieee_div_zero 0
		.amdhsa_exception_fp_ieee_overflow 0
		.amdhsa_exception_fp_ieee_underflow 0
		.amdhsa_exception_fp_ieee_inexact 0
		.amdhsa_exception_int_div_zero 0
	.end_amdhsa_kernel
	.section	.text._ZN7rocprim17ROCPRIM_400000_NS6detail17trampoline_kernelINS0_14default_configENS1_27lower_bound_config_selectorIalEEZNS1_14transform_implILb0ES3_S5_N6thrust23THRUST_200600_302600_NS6detail15normal_iteratorINS8_7pointerIaNS8_11hip_rocprim3tagENS8_11use_defaultESE_EEEENSA_INSB_IlSD_SE_SE_EEEEZNS1_13binary_searchIS3_S5_NSA_INS8_10device_ptrIaEEEESG_SI_NS1_21lower_bound_search_opENS9_16wrapped_functionINS8_7greaterIaEEbEEEE10hipError_tPvRmT1_T2_T3_mmT4_T5_P12ihipStream_tbEUlRKaE_EESS_SW_SX_mSY_S11_bEUlT_E_NS1_11comp_targetILNS1_3genE3ELNS1_11target_archE908ELNS1_3gpuE7ELNS1_3repE0EEENS1_30default_config_static_selectorELNS0_4arch9wavefront6targetE0EEEvSV_,"axG",@progbits,_ZN7rocprim17ROCPRIM_400000_NS6detail17trampoline_kernelINS0_14default_configENS1_27lower_bound_config_selectorIalEEZNS1_14transform_implILb0ES3_S5_N6thrust23THRUST_200600_302600_NS6detail15normal_iteratorINS8_7pointerIaNS8_11hip_rocprim3tagENS8_11use_defaultESE_EEEENSA_INSB_IlSD_SE_SE_EEEEZNS1_13binary_searchIS3_S5_NSA_INS8_10device_ptrIaEEEESG_SI_NS1_21lower_bound_search_opENS9_16wrapped_functionINS8_7greaterIaEEbEEEE10hipError_tPvRmT1_T2_T3_mmT4_T5_P12ihipStream_tbEUlRKaE_EESS_SW_SX_mSY_S11_bEUlT_E_NS1_11comp_targetILNS1_3genE3ELNS1_11target_archE908ELNS1_3gpuE7ELNS1_3repE0EEENS1_30default_config_static_selectorELNS0_4arch9wavefront6targetE0EEEvSV_,comdat
.Lfunc_end4:
	.size	_ZN7rocprim17ROCPRIM_400000_NS6detail17trampoline_kernelINS0_14default_configENS1_27lower_bound_config_selectorIalEEZNS1_14transform_implILb0ES3_S5_N6thrust23THRUST_200600_302600_NS6detail15normal_iteratorINS8_7pointerIaNS8_11hip_rocprim3tagENS8_11use_defaultESE_EEEENSA_INSB_IlSD_SE_SE_EEEEZNS1_13binary_searchIS3_S5_NSA_INS8_10device_ptrIaEEEESG_SI_NS1_21lower_bound_search_opENS9_16wrapped_functionINS8_7greaterIaEEbEEEE10hipError_tPvRmT1_T2_T3_mmT4_T5_P12ihipStream_tbEUlRKaE_EESS_SW_SX_mSY_S11_bEUlT_E_NS1_11comp_targetILNS1_3genE3ELNS1_11target_archE908ELNS1_3gpuE7ELNS1_3repE0EEENS1_30default_config_static_selectorELNS0_4arch9wavefront6targetE0EEEvSV_, .Lfunc_end4-_ZN7rocprim17ROCPRIM_400000_NS6detail17trampoline_kernelINS0_14default_configENS1_27lower_bound_config_selectorIalEEZNS1_14transform_implILb0ES3_S5_N6thrust23THRUST_200600_302600_NS6detail15normal_iteratorINS8_7pointerIaNS8_11hip_rocprim3tagENS8_11use_defaultESE_EEEENSA_INSB_IlSD_SE_SE_EEEEZNS1_13binary_searchIS3_S5_NSA_INS8_10device_ptrIaEEEESG_SI_NS1_21lower_bound_search_opENS9_16wrapped_functionINS8_7greaterIaEEbEEEE10hipError_tPvRmT1_T2_T3_mmT4_T5_P12ihipStream_tbEUlRKaE_EESS_SW_SX_mSY_S11_bEUlT_E_NS1_11comp_targetILNS1_3genE3ELNS1_11target_archE908ELNS1_3gpuE7ELNS1_3repE0EEENS1_30default_config_static_selectorELNS0_4arch9wavefront6targetE0EEEvSV_
                                        ; -- End function
	.set _ZN7rocprim17ROCPRIM_400000_NS6detail17trampoline_kernelINS0_14default_configENS1_27lower_bound_config_selectorIalEEZNS1_14transform_implILb0ES3_S5_N6thrust23THRUST_200600_302600_NS6detail15normal_iteratorINS8_7pointerIaNS8_11hip_rocprim3tagENS8_11use_defaultESE_EEEENSA_INSB_IlSD_SE_SE_EEEEZNS1_13binary_searchIS3_S5_NSA_INS8_10device_ptrIaEEEESG_SI_NS1_21lower_bound_search_opENS9_16wrapped_functionINS8_7greaterIaEEbEEEE10hipError_tPvRmT1_T2_T3_mmT4_T5_P12ihipStream_tbEUlRKaE_EESS_SW_SX_mSY_S11_bEUlT_E_NS1_11comp_targetILNS1_3genE3ELNS1_11target_archE908ELNS1_3gpuE7ELNS1_3repE0EEENS1_30default_config_static_selectorELNS0_4arch9wavefront6targetE0EEEvSV_.num_vgpr, 0
	.set _ZN7rocprim17ROCPRIM_400000_NS6detail17trampoline_kernelINS0_14default_configENS1_27lower_bound_config_selectorIalEEZNS1_14transform_implILb0ES3_S5_N6thrust23THRUST_200600_302600_NS6detail15normal_iteratorINS8_7pointerIaNS8_11hip_rocprim3tagENS8_11use_defaultESE_EEEENSA_INSB_IlSD_SE_SE_EEEEZNS1_13binary_searchIS3_S5_NSA_INS8_10device_ptrIaEEEESG_SI_NS1_21lower_bound_search_opENS9_16wrapped_functionINS8_7greaterIaEEbEEEE10hipError_tPvRmT1_T2_T3_mmT4_T5_P12ihipStream_tbEUlRKaE_EESS_SW_SX_mSY_S11_bEUlT_E_NS1_11comp_targetILNS1_3genE3ELNS1_11target_archE908ELNS1_3gpuE7ELNS1_3repE0EEENS1_30default_config_static_selectorELNS0_4arch9wavefront6targetE0EEEvSV_.num_agpr, 0
	.set _ZN7rocprim17ROCPRIM_400000_NS6detail17trampoline_kernelINS0_14default_configENS1_27lower_bound_config_selectorIalEEZNS1_14transform_implILb0ES3_S5_N6thrust23THRUST_200600_302600_NS6detail15normal_iteratorINS8_7pointerIaNS8_11hip_rocprim3tagENS8_11use_defaultESE_EEEENSA_INSB_IlSD_SE_SE_EEEEZNS1_13binary_searchIS3_S5_NSA_INS8_10device_ptrIaEEEESG_SI_NS1_21lower_bound_search_opENS9_16wrapped_functionINS8_7greaterIaEEbEEEE10hipError_tPvRmT1_T2_T3_mmT4_T5_P12ihipStream_tbEUlRKaE_EESS_SW_SX_mSY_S11_bEUlT_E_NS1_11comp_targetILNS1_3genE3ELNS1_11target_archE908ELNS1_3gpuE7ELNS1_3repE0EEENS1_30default_config_static_selectorELNS0_4arch9wavefront6targetE0EEEvSV_.numbered_sgpr, 0
	.set _ZN7rocprim17ROCPRIM_400000_NS6detail17trampoline_kernelINS0_14default_configENS1_27lower_bound_config_selectorIalEEZNS1_14transform_implILb0ES3_S5_N6thrust23THRUST_200600_302600_NS6detail15normal_iteratorINS8_7pointerIaNS8_11hip_rocprim3tagENS8_11use_defaultESE_EEEENSA_INSB_IlSD_SE_SE_EEEEZNS1_13binary_searchIS3_S5_NSA_INS8_10device_ptrIaEEEESG_SI_NS1_21lower_bound_search_opENS9_16wrapped_functionINS8_7greaterIaEEbEEEE10hipError_tPvRmT1_T2_T3_mmT4_T5_P12ihipStream_tbEUlRKaE_EESS_SW_SX_mSY_S11_bEUlT_E_NS1_11comp_targetILNS1_3genE3ELNS1_11target_archE908ELNS1_3gpuE7ELNS1_3repE0EEENS1_30default_config_static_selectorELNS0_4arch9wavefront6targetE0EEEvSV_.num_named_barrier, 0
	.set _ZN7rocprim17ROCPRIM_400000_NS6detail17trampoline_kernelINS0_14default_configENS1_27lower_bound_config_selectorIalEEZNS1_14transform_implILb0ES3_S5_N6thrust23THRUST_200600_302600_NS6detail15normal_iteratorINS8_7pointerIaNS8_11hip_rocprim3tagENS8_11use_defaultESE_EEEENSA_INSB_IlSD_SE_SE_EEEEZNS1_13binary_searchIS3_S5_NSA_INS8_10device_ptrIaEEEESG_SI_NS1_21lower_bound_search_opENS9_16wrapped_functionINS8_7greaterIaEEbEEEE10hipError_tPvRmT1_T2_T3_mmT4_T5_P12ihipStream_tbEUlRKaE_EESS_SW_SX_mSY_S11_bEUlT_E_NS1_11comp_targetILNS1_3genE3ELNS1_11target_archE908ELNS1_3gpuE7ELNS1_3repE0EEENS1_30default_config_static_selectorELNS0_4arch9wavefront6targetE0EEEvSV_.private_seg_size, 0
	.set _ZN7rocprim17ROCPRIM_400000_NS6detail17trampoline_kernelINS0_14default_configENS1_27lower_bound_config_selectorIalEEZNS1_14transform_implILb0ES3_S5_N6thrust23THRUST_200600_302600_NS6detail15normal_iteratorINS8_7pointerIaNS8_11hip_rocprim3tagENS8_11use_defaultESE_EEEENSA_INSB_IlSD_SE_SE_EEEEZNS1_13binary_searchIS3_S5_NSA_INS8_10device_ptrIaEEEESG_SI_NS1_21lower_bound_search_opENS9_16wrapped_functionINS8_7greaterIaEEbEEEE10hipError_tPvRmT1_T2_T3_mmT4_T5_P12ihipStream_tbEUlRKaE_EESS_SW_SX_mSY_S11_bEUlT_E_NS1_11comp_targetILNS1_3genE3ELNS1_11target_archE908ELNS1_3gpuE7ELNS1_3repE0EEENS1_30default_config_static_selectorELNS0_4arch9wavefront6targetE0EEEvSV_.uses_vcc, 0
	.set _ZN7rocprim17ROCPRIM_400000_NS6detail17trampoline_kernelINS0_14default_configENS1_27lower_bound_config_selectorIalEEZNS1_14transform_implILb0ES3_S5_N6thrust23THRUST_200600_302600_NS6detail15normal_iteratorINS8_7pointerIaNS8_11hip_rocprim3tagENS8_11use_defaultESE_EEEENSA_INSB_IlSD_SE_SE_EEEEZNS1_13binary_searchIS3_S5_NSA_INS8_10device_ptrIaEEEESG_SI_NS1_21lower_bound_search_opENS9_16wrapped_functionINS8_7greaterIaEEbEEEE10hipError_tPvRmT1_T2_T3_mmT4_T5_P12ihipStream_tbEUlRKaE_EESS_SW_SX_mSY_S11_bEUlT_E_NS1_11comp_targetILNS1_3genE3ELNS1_11target_archE908ELNS1_3gpuE7ELNS1_3repE0EEENS1_30default_config_static_selectorELNS0_4arch9wavefront6targetE0EEEvSV_.uses_flat_scratch, 0
	.set _ZN7rocprim17ROCPRIM_400000_NS6detail17trampoline_kernelINS0_14default_configENS1_27lower_bound_config_selectorIalEEZNS1_14transform_implILb0ES3_S5_N6thrust23THRUST_200600_302600_NS6detail15normal_iteratorINS8_7pointerIaNS8_11hip_rocprim3tagENS8_11use_defaultESE_EEEENSA_INSB_IlSD_SE_SE_EEEEZNS1_13binary_searchIS3_S5_NSA_INS8_10device_ptrIaEEEESG_SI_NS1_21lower_bound_search_opENS9_16wrapped_functionINS8_7greaterIaEEbEEEE10hipError_tPvRmT1_T2_T3_mmT4_T5_P12ihipStream_tbEUlRKaE_EESS_SW_SX_mSY_S11_bEUlT_E_NS1_11comp_targetILNS1_3genE3ELNS1_11target_archE908ELNS1_3gpuE7ELNS1_3repE0EEENS1_30default_config_static_selectorELNS0_4arch9wavefront6targetE0EEEvSV_.has_dyn_sized_stack, 0
	.set _ZN7rocprim17ROCPRIM_400000_NS6detail17trampoline_kernelINS0_14default_configENS1_27lower_bound_config_selectorIalEEZNS1_14transform_implILb0ES3_S5_N6thrust23THRUST_200600_302600_NS6detail15normal_iteratorINS8_7pointerIaNS8_11hip_rocprim3tagENS8_11use_defaultESE_EEEENSA_INSB_IlSD_SE_SE_EEEEZNS1_13binary_searchIS3_S5_NSA_INS8_10device_ptrIaEEEESG_SI_NS1_21lower_bound_search_opENS9_16wrapped_functionINS8_7greaterIaEEbEEEE10hipError_tPvRmT1_T2_T3_mmT4_T5_P12ihipStream_tbEUlRKaE_EESS_SW_SX_mSY_S11_bEUlT_E_NS1_11comp_targetILNS1_3genE3ELNS1_11target_archE908ELNS1_3gpuE7ELNS1_3repE0EEENS1_30default_config_static_selectorELNS0_4arch9wavefront6targetE0EEEvSV_.has_recursion, 0
	.set _ZN7rocprim17ROCPRIM_400000_NS6detail17trampoline_kernelINS0_14default_configENS1_27lower_bound_config_selectorIalEEZNS1_14transform_implILb0ES3_S5_N6thrust23THRUST_200600_302600_NS6detail15normal_iteratorINS8_7pointerIaNS8_11hip_rocprim3tagENS8_11use_defaultESE_EEEENSA_INSB_IlSD_SE_SE_EEEEZNS1_13binary_searchIS3_S5_NSA_INS8_10device_ptrIaEEEESG_SI_NS1_21lower_bound_search_opENS9_16wrapped_functionINS8_7greaterIaEEbEEEE10hipError_tPvRmT1_T2_T3_mmT4_T5_P12ihipStream_tbEUlRKaE_EESS_SW_SX_mSY_S11_bEUlT_E_NS1_11comp_targetILNS1_3genE3ELNS1_11target_archE908ELNS1_3gpuE7ELNS1_3repE0EEENS1_30default_config_static_selectorELNS0_4arch9wavefront6targetE0EEEvSV_.has_indirect_call, 0
	.section	.AMDGPU.csdata,"",@progbits
; Kernel info:
; codeLenInByte = 0
; TotalNumSgprs: 0
; NumVgprs: 0
; ScratchSize: 0
; MemoryBound: 0
; FloatMode: 240
; IeeeMode: 1
; LDSByteSize: 0 bytes/workgroup (compile time only)
; SGPRBlocks: 0
; VGPRBlocks: 0
; NumSGPRsForWavesPerEU: 1
; NumVGPRsForWavesPerEU: 1
; NamedBarCnt: 0
; Occupancy: 16
; WaveLimiterHint : 0
; COMPUTE_PGM_RSRC2:SCRATCH_EN: 0
; COMPUTE_PGM_RSRC2:USER_SGPR: 2
; COMPUTE_PGM_RSRC2:TRAP_HANDLER: 0
; COMPUTE_PGM_RSRC2:TGID_X_EN: 1
; COMPUTE_PGM_RSRC2:TGID_Y_EN: 0
; COMPUTE_PGM_RSRC2:TGID_Z_EN: 0
; COMPUTE_PGM_RSRC2:TIDIG_COMP_CNT: 0
	.section	.text._ZN7rocprim17ROCPRIM_400000_NS6detail17trampoline_kernelINS0_14default_configENS1_27lower_bound_config_selectorIalEEZNS1_14transform_implILb0ES3_S5_N6thrust23THRUST_200600_302600_NS6detail15normal_iteratorINS8_7pointerIaNS8_11hip_rocprim3tagENS8_11use_defaultESE_EEEENSA_INSB_IlSD_SE_SE_EEEEZNS1_13binary_searchIS3_S5_NSA_INS8_10device_ptrIaEEEESG_SI_NS1_21lower_bound_search_opENS9_16wrapped_functionINS8_7greaterIaEEbEEEE10hipError_tPvRmT1_T2_T3_mmT4_T5_P12ihipStream_tbEUlRKaE_EESS_SW_SX_mSY_S11_bEUlT_E_NS1_11comp_targetILNS1_3genE2ELNS1_11target_archE906ELNS1_3gpuE6ELNS1_3repE0EEENS1_30default_config_static_selectorELNS0_4arch9wavefront6targetE0EEEvSV_,"axG",@progbits,_ZN7rocprim17ROCPRIM_400000_NS6detail17trampoline_kernelINS0_14default_configENS1_27lower_bound_config_selectorIalEEZNS1_14transform_implILb0ES3_S5_N6thrust23THRUST_200600_302600_NS6detail15normal_iteratorINS8_7pointerIaNS8_11hip_rocprim3tagENS8_11use_defaultESE_EEEENSA_INSB_IlSD_SE_SE_EEEEZNS1_13binary_searchIS3_S5_NSA_INS8_10device_ptrIaEEEESG_SI_NS1_21lower_bound_search_opENS9_16wrapped_functionINS8_7greaterIaEEbEEEE10hipError_tPvRmT1_T2_T3_mmT4_T5_P12ihipStream_tbEUlRKaE_EESS_SW_SX_mSY_S11_bEUlT_E_NS1_11comp_targetILNS1_3genE2ELNS1_11target_archE906ELNS1_3gpuE6ELNS1_3repE0EEENS1_30default_config_static_selectorELNS0_4arch9wavefront6targetE0EEEvSV_,comdat
	.protected	_ZN7rocprim17ROCPRIM_400000_NS6detail17trampoline_kernelINS0_14default_configENS1_27lower_bound_config_selectorIalEEZNS1_14transform_implILb0ES3_S5_N6thrust23THRUST_200600_302600_NS6detail15normal_iteratorINS8_7pointerIaNS8_11hip_rocprim3tagENS8_11use_defaultESE_EEEENSA_INSB_IlSD_SE_SE_EEEEZNS1_13binary_searchIS3_S5_NSA_INS8_10device_ptrIaEEEESG_SI_NS1_21lower_bound_search_opENS9_16wrapped_functionINS8_7greaterIaEEbEEEE10hipError_tPvRmT1_T2_T3_mmT4_T5_P12ihipStream_tbEUlRKaE_EESS_SW_SX_mSY_S11_bEUlT_E_NS1_11comp_targetILNS1_3genE2ELNS1_11target_archE906ELNS1_3gpuE6ELNS1_3repE0EEENS1_30default_config_static_selectorELNS0_4arch9wavefront6targetE0EEEvSV_ ; -- Begin function _ZN7rocprim17ROCPRIM_400000_NS6detail17trampoline_kernelINS0_14default_configENS1_27lower_bound_config_selectorIalEEZNS1_14transform_implILb0ES3_S5_N6thrust23THRUST_200600_302600_NS6detail15normal_iteratorINS8_7pointerIaNS8_11hip_rocprim3tagENS8_11use_defaultESE_EEEENSA_INSB_IlSD_SE_SE_EEEEZNS1_13binary_searchIS3_S5_NSA_INS8_10device_ptrIaEEEESG_SI_NS1_21lower_bound_search_opENS9_16wrapped_functionINS8_7greaterIaEEbEEEE10hipError_tPvRmT1_T2_T3_mmT4_T5_P12ihipStream_tbEUlRKaE_EESS_SW_SX_mSY_S11_bEUlT_E_NS1_11comp_targetILNS1_3genE2ELNS1_11target_archE906ELNS1_3gpuE6ELNS1_3repE0EEENS1_30default_config_static_selectorELNS0_4arch9wavefront6targetE0EEEvSV_
	.globl	_ZN7rocprim17ROCPRIM_400000_NS6detail17trampoline_kernelINS0_14default_configENS1_27lower_bound_config_selectorIalEEZNS1_14transform_implILb0ES3_S5_N6thrust23THRUST_200600_302600_NS6detail15normal_iteratorINS8_7pointerIaNS8_11hip_rocprim3tagENS8_11use_defaultESE_EEEENSA_INSB_IlSD_SE_SE_EEEEZNS1_13binary_searchIS3_S5_NSA_INS8_10device_ptrIaEEEESG_SI_NS1_21lower_bound_search_opENS9_16wrapped_functionINS8_7greaterIaEEbEEEE10hipError_tPvRmT1_T2_T3_mmT4_T5_P12ihipStream_tbEUlRKaE_EESS_SW_SX_mSY_S11_bEUlT_E_NS1_11comp_targetILNS1_3genE2ELNS1_11target_archE906ELNS1_3gpuE6ELNS1_3repE0EEENS1_30default_config_static_selectorELNS0_4arch9wavefront6targetE0EEEvSV_
	.p2align	8
	.type	_ZN7rocprim17ROCPRIM_400000_NS6detail17trampoline_kernelINS0_14default_configENS1_27lower_bound_config_selectorIalEEZNS1_14transform_implILb0ES3_S5_N6thrust23THRUST_200600_302600_NS6detail15normal_iteratorINS8_7pointerIaNS8_11hip_rocprim3tagENS8_11use_defaultESE_EEEENSA_INSB_IlSD_SE_SE_EEEEZNS1_13binary_searchIS3_S5_NSA_INS8_10device_ptrIaEEEESG_SI_NS1_21lower_bound_search_opENS9_16wrapped_functionINS8_7greaterIaEEbEEEE10hipError_tPvRmT1_T2_T3_mmT4_T5_P12ihipStream_tbEUlRKaE_EESS_SW_SX_mSY_S11_bEUlT_E_NS1_11comp_targetILNS1_3genE2ELNS1_11target_archE906ELNS1_3gpuE6ELNS1_3repE0EEENS1_30default_config_static_selectorELNS0_4arch9wavefront6targetE0EEEvSV_,@function
_ZN7rocprim17ROCPRIM_400000_NS6detail17trampoline_kernelINS0_14default_configENS1_27lower_bound_config_selectorIalEEZNS1_14transform_implILb0ES3_S5_N6thrust23THRUST_200600_302600_NS6detail15normal_iteratorINS8_7pointerIaNS8_11hip_rocprim3tagENS8_11use_defaultESE_EEEENSA_INSB_IlSD_SE_SE_EEEEZNS1_13binary_searchIS3_S5_NSA_INS8_10device_ptrIaEEEESG_SI_NS1_21lower_bound_search_opENS9_16wrapped_functionINS8_7greaterIaEEbEEEE10hipError_tPvRmT1_T2_T3_mmT4_T5_P12ihipStream_tbEUlRKaE_EESS_SW_SX_mSY_S11_bEUlT_E_NS1_11comp_targetILNS1_3genE2ELNS1_11target_archE906ELNS1_3gpuE6ELNS1_3repE0EEENS1_30default_config_static_selectorELNS0_4arch9wavefront6targetE0EEEvSV_: ; @_ZN7rocprim17ROCPRIM_400000_NS6detail17trampoline_kernelINS0_14default_configENS1_27lower_bound_config_selectorIalEEZNS1_14transform_implILb0ES3_S5_N6thrust23THRUST_200600_302600_NS6detail15normal_iteratorINS8_7pointerIaNS8_11hip_rocprim3tagENS8_11use_defaultESE_EEEENSA_INSB_IlSD_SE_SE_EEEEZNS1_13binary_searchIS3_S5_NSA_INS8_10device_ptrIaEEEESG_SI_NS1_21lower_bound_search_opENS9_16wrapped_functionINS8_7greaterIaEEbEEEE10hipError_tPvRmT1_T2_T3_mmT4_T5_P12ihipStream_tbEUlRKaE_EESS_SW_SX_mSY_S11_bEUlT_E_NS1_11comp_targetILNS1_3genE2ELNS1_11target_archE906ELNS1_3gpuE6ELNS1_3repE0EEENS1_30default_config_static_selectorELNS0_4arch9wavefront6targetE0EEEvSV_
; %bb.0:
	.section	.rodata,"a",@progbits
	.p2align	6, 0x0
	.amdhsa_kernel _ZN7rocprim17ROCPRIM_400000_NS6detail17trampoline_kernelINS0_14default_configENS1_27lower_bound_config_selectorIalEEZNS1_14transform_implILb0ES3_S5_N6thrust23THRUST_200600_302600_NS6detail15normal_iteratorINS8_7pointerIaNS8_11hip_rocprim3tagENS8_11use_defaultESE_EEEENSA_INSB_IlSD_SE_SE_EEEEZNS1_13binary_searchIS3_S5_NSA_INS8_10device_ptrIaEEEESG_SI_NS1_21lower_bound_search_opENS9_16wrapped_functionINS8_7greaterIaEEbEEEE10hipError_tPvRmT1_T2_T3_mmT4_T5_P12ihipStream_tbEUlRKaE_EESS_SW_SX_mSY_S11_bEUlT_E_NS1_11comp_targetILNS1_3genE2ELNS1_11target_archE906ELNS1_3gpuE6ELNS1_3repE0EEENS1_30default_config_static_selectorELNS0_4arch9wavefront6targetE0EEEvSV_
		.amdhsa_group_segment_fixed_size 0
		.amdhsa_private_segment_fixed_size 0
		.amdhsa_kernarg_size 56
		.amdhsa_user_sgpr_count 2
		.amdhsa_user_sgpr_dispatch_ptr 0
		.amdhsa_user_sgpr_queue_ptr 0
		.amdhsa_user_sgpr_kernarg_segment_ptr 1
		.amdhsa_user_sgpr_dispatch_id 0
		.amdhsa_user_sgpr_kernarg_preload_length 0
		.amdhsa_user_sgpr_kernarg_preload_offset 0
		.amdhsa_user_sgpr_private_segment_size 0
		.amdhsa_wavefront_size32 1
		.amdhsa_uses_dynamic_stack 0
		.amdhsa_enable_private_segment 0
		.amdhsa_system_sgpr_workgroup_id_x 1
		.amdhsa_system_sgpr_workgroup_id_y 0
		.amdhsa_system_sgpr_workgroup_id_z 0
		.amdhsa_system_sgpr_workgroup_info 0
		.amdhsa_system_vgpr_workitem_id 0
		.amdhsa_next_free_vgpr 1
		.amdhsa_next_free_sgpr 1
		.amdhsa_named_barrier_count 0
		.amdhsa_reserve_vcc 0
		.amdhsa_float_round_mode_32 0
		.amdhsa_float_round_mode_16_64 0
		.amdhsa_float_denorm_mode_32 3
		.amdhsa_float_denorm_mode_16_64 3
		.amdhsa_fp16_overflow 0
		.amdhsa_memory_ordered 1
		.amdhsa_forward_progress 1
		.amdhsa_inst_pref_size 0
		.amdhsa_round_robin_scheduling 0
		.amdhsa_exception_fp_ieee_invalid_op 0
		.amdhsa_exception_fp_denorm_src 0
		.amdhsa_exception_fp_ieee_div_zero 0
		.amdhsa_exception_fp_ieee_overflow 0
		.amdhsa_exception_fp_ieee_underflow 0
		.amdhsa_exception_fp_ieee_inexact 0
		.amdhsa_exception_int_div_zero 0
	.end_amdhsa_kernel
	.section	.text._ZN7rocprim17ROCPRIM_400000_NS6detail17trampoline_kernelINS0_14default_configENS1_27lower_bound_config_selectorIalEEZNS1_14transform_implILb0ES3_S5_N6thrust23THRUST_200600_302600_NS6detail15normal_iteratorINS8_7pointerIaNS8_11hip_rocprim3tagENS8_11use_defaultESE_EEEENSA_INSB_IlSD_SE_SE_EEEEZNS1_13binary_searchIS3_S5_NSA_INS8_10device_ptrIaEEEESG_SI_NS1_21lower_bound_search_opENS9_16wrapped_functionINS8_7greaterIaEEbEEEE10hipError_tPvRmT1_T2_T3_mmT4_T5_P12ihipStream_tbEUlRKaE_EESS_SW_SX_mSY_S11_bEUlT_E_NS1_11comp_targetILNS1_3genE2ELNS1_11target_archE906ELNS1_3gpuE6ELNS1_3repE0EEENS1_30default_config_static_selectorELNS0_4arch9wavefront6targetE0EEEvSV_,"axG",@progbits,_ZN7rocprim17ROCPRIM_400000_NS6detail17trampoline_kernelINS0_14default_configENS1_27lower_bound_config_selectorIalEEZNS1_14transform_implILb0ES3_S5_N6thrust23THRUST_200600_302600_NS6detail15normal_iteratorINS8_7pointerIaNS8_11hip_rocprim3tagENS8_11use_defaultESE_EEEENSA_INSB_IlSD_SE_SE_EEEEZNS1_13binary_searchIS3_S5_NSA_INS8_10device_ptrIaEEEESG_SI_NS1_21lower_bound_search_opENS9_16wrapped_functionINS8_7greaterIaEEbEEEE10hipError_tPvRmT1_T2_T3_mmT4_T5_P12ihipStream_tbEUlRKaE_EESS_SW_SX_mSY_S11_bEUlT_E_NS1_11comp_targetILNS1_3genE2ELNS1_11target_archE906ELNS1_3gpuE6ELNS1_3repE0EEENS1_30default_config_static_selectorELNS0_4arch9wavefront6targetE0EEEvSV_,comdat
.Lfunc_end5:
	.size	_ZN7rocprim17ROCPRIM_400000_NS6detail17trampoline_kernelINS0_14default_configENS1_27lower_bound_config_selectorIalEEZNS1_14transform_implILb0ES3_S5_N6thrust23THRUST_200600_302600_NS6detail15normal_iteratorINS8_7pointerIaNS8_11hip_rocprim3tagENS8_11use_defaultESE_EEEENSA_INSB_IlSD_SE_SE_EEEEZNS1_13binary_searchIS3_S5_NSA_INS8_10device_ptrIaEEEESG_SI_NS1_21lower_bound_search_opENS9_16wrapped_functionINS8_7greaterIaEEbEEEE10hipError_tPvRmT1_T2_T3_mmT4_T5_P12ihipStream_tbEUlRKaE_EESS_SW_SX_mSY_S11_bEUlT_E_NS1_11comp_targetILNS1_3genE2ELNS1_11target_archE906ELNS1_3gpuE6ELNS1_3repE0EEENS1_30default_config_static_selectorELNS0_4arch9wavefront6targetE0EEEvSV_, .Lfunc_end5-_ZN7rocprim17ROCPRIM_400000_NS6detail17trampoline_kernelINS0_14default_configENS1_27lower_bound_config_selectorIalEEZNS1_14transform_implILb0ES3_S5_N6thrust23THRUST_200600_302600_NS6detail15normal_iteratorINS8_7pointerIaNS8_11hip_rocprim3tagENS8_11use_defaultESE_EEEENSA_INSB_IlSD_SE_SE_EEEEZNS1_13binary_searchIS3_S5_NSA_INS8_10device_ptrIaEEEESG_SI_NS1_21lower_bound_search_opENS9_16wrapped_functionINS8_7greaterIaEEbEEEE10hipError_tPvRmT1_T2_T3_mmT4_T5_P12ihipStream_tbEUlRKaE_EESS_SW_SX_mSY_S11_bEUlT_E_NS1_11comp_targetILNS1_3genE2ELNS1_11target_archE906ELNS1_3gpuE6ELNS1_3repE0EEENS1_30default_config_static_selectorELNS0_4arch9wavefront6targetE0EEEvSV_
                                        ; -- End function
	.set _ZN7rocprim17ROCPRIM_400000_NS6detail17trampoline_kernelINS0_14default_configENS1_27lower_bound_config_selectorIalEEZNS1_14transform_implILb0ES3_S5_N6thrust23THRUST_200600_302600_NS6detail15normal_iteratorINS8_7pointerIaNS8_11hip_rocprim3tagENS8_11use_defaultESE_EEEENSA_INSB_IlSD_SE_SE_EEEEZNS1_13binary_searchIS3_S5_NSA_INS8_10device_ptrIaEEEESG_SI_NS1_21lower_bound_search_opENS9_16wrapped_functionINS8_7greaterIaEEbEEEE10hipError_tPvRmT1_T2_T3_mmT4_T5_P12ihipStream_tbEUlRKaE_EESS_SW_SX_mSY_S11_bEUlT_E_NS1_11comp_targetILNS1_3genE2ELNS1_11target_archE906ELNS1_3gpuE6ELNS1_3repE0EEENS1_30default_config_static_selectorELNS0_4arch9wavefront6targetE0EEEvSV_.num_vgpr, 0
	.set _ZN7rocprim17ROCPRIM_400000_NS6detail17trampoline_kernelINS0_14default_configENS1_27lower_bound_config_selectorIalEEZNS1_14transform_implILb0ES3_S5_N6thrust23THRUST_200600_302600_NS6detail15normal_iteratorINS8_7pointerIaNS8_11hip_rocprim3tagENS8_11use_defaultESE_EEEENSA_INSB_IlSD_SE_SE_EEEEZNS1_13binary_searchIS3_S5_NSA_INS8_10device_ptrIaEEEESG_SI_NS1_21lower_bound_search_opENS9_16wrapped_functionINS8_7greaterIaEEbEEEE10hipError_tPvRmT1_T2_T3_mmT4_T5_P12ihipStream_tbEUlRKaE_EESS_SW_SX_mSY_S11_bEUlT_E_NS1_11comp_targetILNS1_3genE2ELNS1_11target_archE906ELNS1_3gpuE6ELNS1_3repE0EEENS1_30default_config_static_selectorELNS0_4arch9wavefront6targetE0EEEvSV_.num_agpr, 0
	.set _ZN7rocprim17ROCPRIM_400000_NS6detail17trampoline_kernelINS0_14default_configENS1_27lower_bound_config_selectorIalEEZNS1_14transform_implILb0ES3_S5_N6thrust23THRUST_200600_302600_NS6detail15normal_iteratorINS8_7pointerIaNS8_11hip_rocprim3tagENS8_11use_defaultESE_EEEENSA_INSB_IlSD_SE_SE_EEEEZNS1_13binary_searchIS3_S5_NSA_INS8_10device_ptrIaEEEESG_SI_NS1_21lower_bound_search_opENS9_16wrapped_functionINS8_7greaterIaEEbEEEE10hipError_tPvRmT1_T2_T3_mmT4_T5_P12ihipStream_tbEUlRKaE_EESS_SW_SX_mSY_S11_bEUlT_E_NS1_11comp_targetILNS1_3genE2ELNS1_11target_archE906ELNS1_3gpuE6ELNS1_3repE0EEENS1_30default_config_static_selectorELNS0_4arch9wavefront6targetE0EEEvSV_.numbered_sgpr, 0
	.set _ZN7rocprim17ROCPRIM_400000_NS6detail17trampoline_kernelINS0_14default_configENS1_27lower_bound_config_selectorIalEEZNS1_14transform_implILb0ES3_S5_N6thrust23THRUST_200600_302600_NS6detail15normal_iteratorINS8_7pointerIaNS8_11hip_rocprim3tagENS8_11use_defaultESE_EEEENSA_INSB_IlSD_SE_SE_EEEEZNS1_13binary_searchIS3_S5_NSA_INS8_10device_ptrIaEEEESG_SI_NS1_21lower_bound_search_opENS9_16wrapped_functionINS8_7greaterIaEEbEEEE10hipError_tPvRmT1_T2_T3_mmT4_T5_P12ihipStream_tbEUlRKaE_EESS_SW_SX_mSY_S11_bEUlT_E_NS1_11comp_targetILNS1_3genE2ELNS1_11target_archE906ELNS1_3gpuE6ELNS1_3repE0EEENS1_30default_config_static_selectorELNS0_4arch9wavefront6targetE0EEEvSV_.num_named_barrier, 0
	.set _ZN7rocprim17ROCPRIM_400000_NS6detail17trampoline_kernelINS0_14default_configENS1_27lower_bound_config_selectorIalEEZNS1_14transform_implILb0ES3_S5_N6thrust23THRUST_200600_302600_NS6detail15normal_iteratorINS8_7pointerIaNS8_11hip_rocprim3tagENS8_11use_defaultESE_EEEENSA_INSB_IlSD_SE_SE_EEEEZNS1_13binary_searchIS3_S5_NSA_INS8_10device_ptrIaEEEESG_SI_NS1_21lower_bound_search_opENS9_16wrapped_functionINS8_7greaterIaEEbEEEE10hipError_tPvRmT1_T2_T3_mmT4_T5_P12ihipStream_tbEUlRKaE_EESS_SW_SX_mSY_S11_bEUlT_E_NS1_11comp_targetILNS1_3genE2ELNS1_11target_archE906ELNS1_3gpuE6ELNS1_3repE0EEENS1_30default_config_static_selectorELNS0_4arch9wavefront6targetE0EEEvSV_.private_seg_size, 0
	.set _ZN7rocprim17ROCPRIM_400000_NS6detail17trampoline_kernelINS0_14default_configENS1_27lower_bound_config_selectorIalEEZNS1_14transform_implILb0ES3_S5_N6thrust23THRUST_200600_302600_NS6detail15normal_iteratorINS8_7pointerIaNS8_11hip_rocprim3tagENS8_11use_defaultESE_EEEENSA_INSB_IlSD_SE_SE_EEEEZNS1_13binary_searchIS3_S5_NSA_INS8_10device_ptrIaEEEESG_SI_NS1_21lower_bound_search_opENS9_16wrapped_functionINS8_7greaterIaEEbEEEE10hipError_tPvRmT1_T2_T3_mmT4_T5_P12ihipStream_tbEUlRKaE_EESS_SW_SX_mSY_S11_bEUlT_E_NS1_11comp_targetILNS1_3genE2ELNS1_11target_archE906ELNS1_3gpuE6ELNS1_3repE0EEENS1_30default_config_static_selectorELNS0_4arch9wavefront6targetE0EEEvSV_.uses_vcc, 0
	.set _ZN7rocprim17ROCPRIM_400000_NS6detail17trampoline_kernelINS0_14default_configENS1_27lower_bound_config_selectorIalEEZNS1_14transform_implILb0ES3_S5_N6thrust23THRUST_200600_302600_NS6detail15normal_iteratorINS8_7pointerIaNS8_11hip_rocprim3tagENS8_11use_defaultESE_EEEENSA_INSB_IlSD_SE_SE_EEEEZNS1_13binary_searchIS3_S5_NSA_INS8_10device_ptrIaEEEESG_SI_NS1_21lower_bound_search_opENS9_16wrapped_functionINS8_7greaterIaEEbEEEE10hipError_tPvRmT1_T2_T3_mmT4_T5_P12ihipStream_tbEUlRKaE_EESS_SW_SX_mSY_S11_bEUlT_E_NS1_11comp_targetILNS1_3genE2ELNS1_11target_archE906ELNS1_3gpuE6ELNS1_3repE0EEENS1_30default_config_static_selectorELNS0_4arch9wavefront6targetE0EEEvSV_.uses_flat_scratch, 0
	.set _ZN7rocprim17ROCPRIM_400000_NS6detail17trampoline_kernelINS0_14default_configENS1_27lower_bound_config_selectorIalEEZNS1_14transform_implILb0ES3_S5_N6thrust23THRUST_200600_302600_NS6detail15normal_iteratorINS8_7pointerIaNS8_11hip_rocprim3tagENS8_11use_defaultESE_EEEENSA_INSB_IlSD_SE_SE_EEEEZNS1_13binary_searchIS3_S5_NSA_INS8_10device_ptrIaEEEESG_SI_NS1_21lower_bound_search_opENS9_16wrapped_functionINS8_7greaterIaEEbEEEE10hipError_tPvRmT1_T2_T3_mmT4_T5_P12ihipStream_tbEUlRKaE_EESS_SW_SX_mSY_S11_bEUlT_E_NS1_11comp_targetILNS1_3genE2ELNS1_11target_archE906ELNS1_3gpuE6ELNS1_3repE0EEENS1_30default_config_static_selectorELNS0_4arch9wavefront6targetE0EEEvSV_.has_dyn_sized_stack, 0
	.set _ZN7rocprim17ROCPRIM_400000_NS6detail17trampoline_kernelINS0_14default_configENS1_27lower_bound_config_selectorIalEEZNS1_14transform_implILb0ES3_S5_N6thrust23THRUST_200600_302600_NS6detail15normal_iteratorINS8_7pointerIaNS8_11hip_rocprim3tagENS8_11use_defaultESE_EEEENSA_INSB_IlSD_SE_SE_EEEEZNS1_13binary_searchIS3_S5_NSA_INS8_10device_ptrIaEEEESG_SI_NS1_21lower_bound_search_opENS9_16wrapped_functionINS8_7greaterIaEEbEEEE10hipError_tPvRmT1_T2_T3_mmT4_T5_P12ihipStream_tbEUlRKaE_EESS_SW_SX_mSY_S11_bEUlT_E_NS1_11comp_targetILNS1_3genE2ELNS1_11target_archE906ELNS1_3gpuE6ELNS1_3repE0EEENS1_30default_config_static_selectorELNS0_4arch9wavefront6targetE0EEEvSV_.has_recursion, 0
	.set _ZN7rocprim17ROCPRIM_400000_NS6detail17trampoline_kernelINS0_14default_configENS1_27lower_bound_config_selectorIalEEZNS1_14transform_implILb0ES3_S5_N6thrust23THRUST_200600_302600_NS6detail15normal_iteratorINS8_7pointerIaNS8_11hip_rocprim3tagENS8_11use_defaultESE_EEEENSA_INSB_IlSD_SE_SE_EEEEZNS1_13binary_searchIS3_S5_NSA_INS8_10device_ptrIaEEEESG_SI_NS1_21lower_bound_search_opENS9_16wrapped_functionINS8_7greaterIaEEbEEEE10hipError_tPvRmT1_T2_T3_mmT4_T5_P12ihipStream_tbEUlRKaE_EESS_SW_SX_mSY_S11_bEUlT_E_NS1_11comp_targetILNS1_3genE2ELNS1_11target_archE906ELNS1_3gpuE6ELNS1_3repE0EEENS1_30default_config_static_selectorELNS0_4arch9wavefront6targetE0EEEvSV_.has_indirect_call, 0
	.section	.AMDGPU.csdata,"",@progbits
; Kernel info:
; codeLenInByte = 0
; TotalNumSgprs: 0
; NumVgprs: 0
; ScratchSize: 0
; MemoryBound: 0
; FloatMode: 240
; IeeeMode: 1
; LDSByteSize: 0 bytes/workgroup (compile time only)
; SGPRBlocks: 0
; VGPRBlocks: 0
; NumSGPRsForWavesPerEU: 1
; NumVGPRsForWavesPerEU: 1
; NamedBarCnt: 0
; Occupancy: 16
; WaveLimiterHint : 0
; COMPUTE_PGM_RSRC2:SCRATCH_EN: 0
; COMPUTE_PGM_RSRC2:USER_SGPR: 2
; COMPUTE_PGM_RSRC2:TRAP_HANDLER: 0
; COMPUTE_PGM_RSRC2:TGID_X_EN: 1
; COMPUTE_PGM_RSRC2:TGID_Y_EN: 0
; COMPUTE_PGM_RSRC2:TGID_Z_EN: 0
; COMPUTE_PGM_RSRC2:TIDIG_COMP_CNT: 0
	.section	.text._ZN7rocprim17ROCPRIM_400000_NS6detail17trampoline_kernelINS0_14default_configENS1_27lower_bound_config_selectorIalEEZNS1_14transform_implILb0ES3_S5_N6thrust23THRUST_200600_302600_NS6detail15normal_iteratorINS8_7pointerIaNS8_11hip_rocprim3tagENS8_11use_defaultESE_EEEENSA_INSB_IlSD_SE_SE_EEEEZNS1_13binary_searchIS3_S5_NSA_INS8_10device_ptrIaEEEESG_SI_NS1_21lower_bound_search_opENS9_16wrapped_functionINS8_7greaterIaEEbEEEE10hipError_tPvRmT1_T2_T3_mmT4_T5_P12ihipStream_tbEUlRKaE_EESS_SW_SX_mSY_S11_bEUlT_E_NS1_11comp_targetILNS1_3genE10ELNS1_11target_archE1201ELNS1_3gpuE5ELNS1_3repE0EEENS1_30default_config_static_selectorELNS0_4arch9wavefront6targetE0EEEvSV_,"axG",@progbits,_ZN7rocprim17ROCPRIM_400000_NS6detail17trampoline_kernelINS0_14default_configENS1_27lower_bound_config_selectorIalEEZNS1_14transform_implILb0ES3_S5_N6thrust23THRUST_200600_302600_NS6detail15normal_iteratorINS8_7pointerIaNS8_11hip_rocprim3tagENS8_11use_defaultESE_EEEENSA_INSB_IlSD_SE_SE_EEEEZNS1_13binary_searchIS3_S5_NSA_INS8_10device_ptrIaEEEESG_SI_NS1_21lower_bound_search_opENS9_16wrapped_functionINS8_7greaterIaEEbEEEE10hipError_tPvRmT1_T2_T3_mmT4_T5_P12ihipStream_tbEUlRKaE_EESS_SW_SX_mSY_S11_bEUlT_E_NS1_11comp_targetILNS1_3genE10ELNS1_11target_archE1201ELNS1_3gpuE5ELNS1_3repE0EEENS1_30default_config_static_selectorELNS0_4arch9wavefront6targetE0EEEvSV_,comdat
	.protected	_ZN7rocprim17ROCPRIM_400000_NS6detail17trampoline_kernelINS0_14default_configENS1_27lower_bound_config_selectorIalEEZNS1_14transform_implILb0ES3_S5_N6thrust23THRUST_200600_302600_NS6detail15normal_iteratorINS8_7pointerIaNS8_11hip_rocprim3tagENS8_11use_defaultESE_EEEENSA_INSB_IlSD_SE_SE_EEEEZNS1_13binary_searchIS3_S5_NSA_INS8_10device_ptrIaEEEESG_SI_NS1_21lower_bound_search_opENS9_16wrapped_functionINS8_7greaterIaEEbEEEE10hipError_tPvRmT1_T2_T3_mmT4_T5_P12ihipStream_tbEUlRKaE_EESS_SW_SX_mSY_S11_bEUlT_E_NS1_11comp_targetILNS1_3genE10ELNS1_11target_archE1201ELNS1_3gpuE5ELNS1_3repE0EEENS1_30default_config_static_selectorELNS0_4arch9wavefront6targetE0EEEvSV_ ; -- Begin function _ZN7rocprim17ROCPRIM_400000_NS6detail17trampoline_kernelINS0_14default_configENS1_27lower_bound_config_selectorIalEEZNS1_14transform_implILb0ES3_S5_N6thrust23THRUST_200600_302600_NS6detail15normal_iteratorINS8_7pointerIaNS8_11hip_rocprim3tagENS8_11use_defaultESE_EEEENSA_INSB_IlSD_SE_SE_EEEEZNS1_13binary_searchIS3_S5_NSA_INS8_10device_ptrIaEEEESG_SI_NS1_21lower_bound_search_opENS9_16wrapped_functionINS8_7greaterIaEEbEEEE10hipError_tPvRmT1_T2_T3_mmT4_T5_P12ihipStream_tbEUlRKaE_EESS_SW_SX_mSY_S11_bEUlT_E_NS1_11comp_targetILNS1_3genE10ELNS1_11target_archE1201ELNS1_3gpuE5ELNS1_3repE0EEENS1_30default_config_static_selectorELNS0_4arch9wavefront6targetE0EEEvSV_
	.globl	_ZN7rocprim17ROCPRIM_400000_NS6detail17trampoline_kernelINS0_14default_configENS1_27lower_bound_config_selectorIalEEZNS1_14transform_implILb0ES3_S5_N6thrust23THRUST_200600_302600_NS6detail15normal_iteratorINS8_7pointerIaNS8_11hip_rocprim3tagENS8_11use_defaultESE_EEEENSA_INSB_IlSD_SE_SE_EEEEZNS1_13binary_searchIS3_S5_NSA_INS8_10device_ptrIaEEEESG_SI_NS1_21lower_bound_search_opENS9_16wrapped_functionINS8_7greaterIaEEbEEEE10hipError_tPvRmT1_T2_T3_mmT4_T5_P12ihipStream_tbEUlRKaE_EESS_SW_SX_mSY_S11_bEUlT_E_NS1_11comp_targetILNS1_3genE10ELNS1_11target_archE1201ELNS1_3gpuE5ELNS1_3repE0EEENS1_30default_config_static_selectorELNS0_4arch9wavefront6targetE0EEEvSV_
	.p2align	8
	.type	_ZN7rocprim17ROCPRIM_400000_NS6detail17trampoline_kernelINS0_14default_configENS1_27lower_bound_config_selectorIalEEZNS1_14transform_implILb0ES3_S5_N6thrust23THRUST_200600_302600_NS6detail15normal_iteratorINS8_7pointerIaNS8_11hip_rocprim3tagENS8_11use_defaultESE_EEEENSA_INSB_IlSD_SE_SE_EEEEZNS1_13binary_searchIS3_S5_NSA_INS8_10device_ptrIaEEEESG_SI_NS1_21lower_bound_search_opENS9_16wrapped_functionINS8_7greaterIaEEbEEEE10hipError_tPvRmT1_T2_T3_mmT4_T5_P12ihipStream_tbEUlRKaE_EESS_SW_SX_mSY_S11_bEUlT_E_NS1_11comp_targetILNS1_3genE10ELNS1_11target_archE1201ELNS1_3gpuE5ELNS1_3repE0EEENS1_30default_config_static_selectorELNS0_4arch9wavefront6targetE0EEEvSV_,@function
_ZN7rocprim17ROCPRIM_400000_NS6detail17trampoline_kernelINS0_14default_configENS1_27lower_bound_config_selectorIalEEZNS1_14transform_implILb0ES3_S5_N6thrust23THRUST_200600_302600_NS6detail15normal_iteratorINS8_7pointerIaNS8_11hip_rocprim3tagENS8_11use_defaultESE_EEEENSA_INSB_IlSD_SE_SE_EEEEZNS1_13binary_searchIS3_S5_NSA_INS8_10device_ptrIaEEEESG_SI_NS1_21lower_bound_search_opENS9_16wrapped_functionINS8_7greaterIaEEbEEEE10hipError_tPvRmT1_T2_T3_mmT4_T5_P12ihipStream_tbEUlRKaE_EESS_SW_SX_mSY_S11_bEUlT_E_NS1_11comp_targetILNS1_3genE10ELNS1_11target_archE1201ELNS1_3gpuE5ELNS1_3repE0EEENS1_30default_config_static_selectorELNS0_4arch9wavefront6targetE0EEEvSV_: ; @_ZN7rocprim17ROCPRIM_400000_NS6detail17trampoline_kernelINS0_14default_configENS1_27lower_bound_config_selectorIalEEZNS1_14transform_implILb0ES3_S5_N6thrust23THRUST_200600_302600_NS6detail15normal_iteratorINS8_7pointerIaNS8_11hip_rocprim3tagENS8_11use_defaultESE_EEEENSA_INSB_IlSD_SE_SE_EEEEZNS1_13binary_searchIS3_S5_NSA_INS8_10device_ptrIaEEEESG_SI_NS1_21lower_bound_search_opENS9_16wrapped_functionINS8_7greaterIaEEbEEEE10hipError_tPvRmT1_T2_T3_mmT4_T5_P12ihipStream_tbEUlRKaE_EESS_SW_SX_mSY_S11_bEUlT_E_NS1_11comp_targetILNS1_3genE10ELNS1_11target_archE1201ELNS1_3gpuE5ELNS1_3repE0EEENS1_30default_config_static_selectorELNS0_4arch9wavefront6targetE0EEEvSV_
; %bb.0:
	.section	.rodata,"a",@progbits
	.p2align	6, 0x0
	.amdhsa_kernel _ZN7rocprim17ROCPRIM_400000_NS6detail17trampoline_kernelINS0_14default_configENS1_27lower_bound_config_selectorIalEEZNS1_14transform_implILb0ES3_S5_N6thrust23THRUST_200600_302600_NS6detail15normal_iteratorINS8_7pointerIaNS8_11hip_rocprim3tagENS8_11use_defaultESE_EEEENSA_INSB_IlSD_SE_SE_EEEEZNS1_13binary_searchIS3_S5_NSA_INS8_10device_ptrIaEEEESG_SI_NS1_21lower_bound_search_opENS9_16wrapped_functionINS8_7greaterIaEEbEEEE10hipError_tPvRmT1_T2_T3_mmT4_T5_P12ihipStream_tbEUlRKaE_EESS_SW_SX_mSY_S11_bEUlT_E_NS1_11comp_targetILNS1_3genE10ELNS1_11target_archE1201ELNS1_3gpuE5ELNS1_3repE0EEENS1_30default_config_static_selectorELNS0_4arch9wavefront6targetE0EEEvSV_
		.amdhsa_group_segment_fixed_size 0
		.amdhsa_private_segment_fixed_size 0
		.amdhsa_kernarg_size 56
		.amdhsa_user_sgpr_count 2
		.amdhsa_user_sgpr_dispatch_ptr 0
		.amdhsa_user_sgpr_queue_ptr 0
		.amdhsa_user_sgpr_kernarg_segment_ptr 1
		.amdhsa_user_sgpr_dispatch_id 0
		.amdhsa_user_sgpr_kernarg_preload_length 0
		.amdhsa_user_sgpr_kernarg_preload_offset 0
		.amdhsa_user_sgpr_private_segment_size 0
		.amdhsa_wavefront_size32 1
		.amdhsa_uses_dynamic_stack 0
		.amdhsa_enable_private_segment 0
		.amdhsa_system_sgpr_workgroup_id_x 1
		.amdhsa_system_sgpr_workgroup_id_y 0
		.amdhsa_system_sgpr_workgroup_id_z 0
		.amdhsa_system_sgpr_workgroup_info 0
		.amdhsa_system_vgpr_workitem_id 0
		.amdhsa_next_free_vgpr 1
		.amdhsa_next_free_sgpr 1
		.amdhsa_named_barrier_count 0
		.amdhsa_reserve_vcc 0
		.amdhsa_float_round_mode_32 0
		.amdhsa_float_round_mode_16_64 0
		.amdhsa_float_denorm_mode_32 3
		.amdhsa_float_denorm_mode_16_64 3
		.amdhsa_fp16_overflow 0
		.amdhsa_memory_ordered 1
		.amdhsa_forward_progress 1
		.amdhsa_inst_pref_size 0
		.amdhsa_round_robin_scheduling 0
		.amdhsa_exception_fp_ieee_invalid_op 0
		.amdhsa_exception_fp_denorm_src 0
		.amdhsa_exception_fp_ieee_div_zero 0
		.amdhsa_exception_fp_ieee_overflow 0
		.amdhsa_exception_fp_ieee_underflow 0
		.amdhsa_exception_fp_ieee_inexact 0
		.amdhsa_exception_int_div_zero 0
	.end_amdhsa_kernel
	.section	.text._ZN7rocprim17ROCPRIM_400000_NS6detail17trampoline_kernelINS0_14default_configENS1_27lower_bound_config_selectorIalEEZNS1_14transform_implILb0ES3_S5_N6thrust23THRUST_200600_302600_NS6detail15normal_iteratorINS8_7pointerIaNS8_11hip_rocprim3tagENS8_11use_defaultESE_EEEENSA_INSB_IlSD_SE_SE_EEEEZNS1_13binary_searchIS3_S5_NSA_INS8_10device_ptrIaEEEESG_SI_NS1_21lower_bound_search_opENS9_16wrapped_functionINS8_7greaterIaEEbEEEE10hipError_tPvRmT1_T2_T3_mmT4_T5_P12ihipStream_tbEUlRKaE_EESS_SW_SX_mSY_S11_bEUlT_E_NS1_11comp_targetILNS1_3genE10ELNS1_11target_archE1201ELNS1_3gpuE5ELNS1_3repE0EEENS1_30default_config_static_selectorELNS0_4arch9wavefront6targetE0EEEvSV_,"axG",@progbits,_ZN7rocprim17ROCPRIM_400000_NS6detail17trampoline_kernelINS0_14default_configENS1_27lower_bound_config_selectorIalEEZNS1_14transform_implILb0ES3_S5_N6thrust23THRUST_200600_302600_NS6detail15normal_iteratorINS8_7pointerIaNS8_11hip_rocprim3tagENS8_11use_defaultESE_EEEENSA_INSB_IlSD_SE_SE_EEEEZNS1_13binary_searchIS3_S5_NSA_INS8_10device_ptrIaEEEESG_SI_NS1_21lower_bound_search_opENS9_16wrapped_functionINS8_7greaterIaEEbEEEE10hipError_tPvRmT1_T2_T3_mmT4_T5_P12ihipStream_tbEUlRKaE_EESS_SW_SX_mSY_S11_bEUlT_E_NS1_11comp_targetILNS1_3genE10ELNS1_11target_archE1201ELNS1_3gpuE5ELNS1_3repE0EEENS1_30default_config_static_selectorELNS0_4arch9wavefront6targetE0EEEvSV_,comdat
.Lfunc_end6:
	.size	_ZN7rocprim17ROCPRIM_400000_NS6detail17trampoline_kernelINS0_14default_configENS1_27lower_bound_config_selectorIalEEZNS1_14transform_implILb0ES3_S5_N6thrust23THRUST_200600_302600_NS6detail15normal_iteratorINS8_7pointerIaNS8_11hip_rocprim3tagENS8_11use_defaultESE_EEEENSA_INSB_IlSD_SE_SE_EEEEZNS1_13binary_searchIS3_S5_NSA_INS8_10device_ptrIaEEEESG_SI_NS1_21lower_bound_search_opENS9_16wrapped_functionINS8_7greaterIaEEbEEEE10hipError_tPvRmT1_T2_T3_mmT4_T5_P12ihipStream_tbEUlRKaE_EESS_SW_SX_mSY_S11_bEUlT_E_NS1_11comp_targetILNS1_3genE10ELNS1_11target_archE1201ELNS1_3gpuE5ELNS1_3repE0EEENS1_30default_config_static_selectorELNS0_4arch9wavefront6targetE0EEEvSV_, .Lfunc_end6-_ZN7rocprim17ROCPRIM_400000_NS6detail17trampoline_kernelINS0_14default_configENS1_27lower_bound_config_selectorIalEEZNS1_14transform_implILb0ES3_S5_N6thrust23THRUST_200600_302600_NS6detail15normal_iteratorINS8_7pointerIaNS8_11hip_rocprim3tagENS8_11use_defaultESE_EEEENSA_INSB_IlSD_SE_SE_EEEEZNS1_13binary_searchIS3_S5_NSA_INS8_10device_ptrIaEEEESG_SI_NS1_21lower_bound_search_opENS9_16wrapped_functionINS8_7greaterIaEEbEEEE10hipError_tPvRmT1_T2_T3_mmT4_T5_P12ihipStream_tbEUlRKaE_EESS_SW_SX_mSY_S11_bEUlT_E_NS1_11comp_targetILNS1_3genE10ELNS1_11target_archE1201ELNS1_3gpuE5ELNS1_3repE0EEENS1_30default_config_static_selectorELNS0_4arch9wavefront6targetE0EEEvSV_
                                        ; -- End function
	.set _ZN7rocprim17ROCPRIM_400000_NS6detail17trampoline_kernelINS0_14default_configENS1_27lower_bound_config_selectorIalEEZNS1_14transform_implILb0ES3_S5_N6thrust23THRUST_200600_302600_NS6detail15normal_iteratorINS8_7pointerIaNS8_11hip_rocprim3tagENS8_11use_defaultESE_EEEENSA_INSB_IlSD_SE_SE_EEEEZNS1_13binary_searchIS3_S5_NSA_INS8_10device_ptrIaEEEESG_SI_NS1_21lower_bound_search_opENS9_16wrapped_functionINS8_7greaterIaEEbEEEE10hipError_tPvRmT1_T2_T3_mmT4_T5_P12ihipStream_tbEUlRKaE_EESS_SW_SX_mSY_S11_bEUlT_E_NS1_11comp_targetILNS1_3genE10ELNS1_11target_archE1201ELNS1_3gpuE5ELNS1_3repE0EEENS1_30default_config_static_selectorELNS0_4arch9wavefront6targetE0EEEvSV_.num_vgpr, 0
	.set _ZN7rocprim17ROCPRIM_400000_NS6detail17trampoline_kernelINS0_14default_configENS1_27lower_bound_config_selectorIalEEZNS1_14transform_implILb0ES3_S5_N6thrust23THRUST_200600_302600_NS6detail15normal_iteratorINS8_7pointerIaNS8_11hip_rocprim3tagENS8_11use_defaultESE_EEEENSA_INSB_IlSD_SE_SE_EEEEZNS1_13binary_searchIS3_S5_NSA_INS8_10device_ptrIaEEEESG_SI_NS1_21lower_bound_search_opENS9_16wrapped_functionINS8_7greaterIaEEbEEEE10hipError_tPvRmT1_T2_T3_mmT4_T5_P12ihipStream_tbEUlRKaE_EESS_SW_SX_mSY_S11_bEUlT_E_NS1_11comp_targetILNS1_3genE10ELNS1_11target_archE1201ELNS1_3gpuE5ELNS1_3repE0EEENS1_30default_config_static_selectorELNS0_4arch9wavefront6targetE0EEEvSV_.num_agpr, 0
	.set _ZN7rocprim17ROCPRIM_400000_NS6detail17trampoline_kernelINS0_14default_configENS1_27lower_bound_config_selectorIalEEZNS1_14transform_implILb0ES3_S5_N6thrust23THRUST_200600_302600_NS6detail15normal_iteratorINS8_7pointerIaNS8_11hip_rocprim3tagENS8_11use_defaultESE_EEEENSA_INSB_IlSD_SE_SE_EEEEZNS1_13binary_searchIS3_S5_NSA_INS8_10device_ptrIaEEEESG_SI_NS1_21lower_bound_search_opENS9_16wrapped_functionINS8_7greaterIaEEbEEEE10hipError_tPvRmT1_T2_T3_mmT4_T5_P12ihipStream_tbEUlRKaE_EESS_SW_SX_mSY_S11_bEUlT_E_NS1_11comp_targetILNS1_3genE10ELNS1_11target_archE1201ELNS1_3gpuE5ELNS1_3repE0EEENS1_30default_config_static_selectorELNS0_4arch9wavefront6targetE0EEEvSV_.numbered_sgpr, 0
	.set _ZN7rocprim17ROCPRIM_400000_NS6detail17trampoline_kernelINS0_14default_configENS1_27lower_bound_config_selectorIalEEZNS1_14transform_implILb0ES3_S5_N6thrust23THRUST_200600_302600_NS6detail15normal_iteratorINS8_7pointerIaNS8_11hip_rocprim3tagENS8_11use_defaultESE_EEEENSA_INSB_IlSD_SE_SE_EEEEZNS1_13binary_searchIS3_S5_NSA_INS8_10device_ptrIaEEEESG_SI_NS1_21lower_bound_search_opENS9_16wrapped_functionINS8_7greaterIaEEbEEEE10hipError_tPvRmT1_T2_T3_mmT4_T5_P12ihipStream_tbEUlRKaE_EESS_SW_SX_mSY_S11_bEUlT_E_NS1_11comp_targetILNS1_3genE10ELNS1_11target_archE1201ELNS1_3gpuE5ELNS1_3repE0EEENS1_30default_config_static_selectorELNS0_4arch9wavefront6targetE0EEEvSV_.num_named_barrier, 0
	.set _ZN7rocprim17ROCPRIM_400000_NS6detail17trampoline_kernelINS0_14default_configENS1_27lower_bound_config_selectorIalEEZNS1_14transform_implILb0ES3_S5_N6thrust23THRUST_200600_302600_NS6detail15normal_iteratorINS8_7pointerIaNS8_11hip_rocprim3tagENS8_11use_defaultESE_EEEENSA_INSB_IlSD_SE_SE_EEEEZNS1_13binary_searchIS3_S5_NSA_INS8_10device_ptrIaEEEESG_SI_NS1_21lower_bound_search_opENS9_16wrapped_functionINS8_7greaterIaEEbEEEE10hipError_tPvRmT1_T2_T3_mmT4_T5_P12ihipStream_tbEUlRKaE_EESS_SW_SX_mSY_S11_bEUlT_E_NS1_11comp_targetILNS1_3genE10ELNS1_11target_archE1201ELNS1_3gpuE5ELNS1_3repE0EEENS1_30default_config_static_selectorELNS0_4arch9wavefront6targetE0EEEvSV_.private_seg_size, 0
	.set _ZN7rocprim17ROCPRIM_400000_NS6detail17trampoline_kernelINS0_14default_configENS1_27lower_bound_config_selectorIalEEZNS1_14transform_implILb0ES3_S5_N6thrust23THRUST_200600_302600_NS6detail15normal_iteratorINS8_7pointerIaNS8_11hip_rocprim3tagENS8_11use_defaultESE_EEEENSA_INSB_IlSD_SE_SE_EEEEZNS1_13binary_searchIS3_S5_NSA_INS8_10device_ptrIaEEEESG_SI_NS1_21lower_bound_search_opENS9_16wrapped_functionINS8_7greaterIaEEbEEEE10hipError_tPvRmT1_T2_T3_mmT4_T5_P12ihipStream_tbEUlRKaE_EESS_SW_SX_mSY_S11_bEUlT_E_NS1_11comp_targetILNS1_3genE10ELNS1_11target_archE1201ELNS1_3gpuE5ELNS1_3repE0EEENS1_30default_config_static_selectorELNS0_4arch9wavefront6targetE0EEEvSV_.uses_vcc, 0
	.set _ZN7rocprim17ROCPRIM_400000_NS6detail17trampoline_kernelINS0_14default_configENS1_27lower_bound_config_selectorIalEEZNS1_14transform_implILb0ES3_S5_N6thrust23THRUST_200600_302600_NS6detail15normal_iteratorINS8_7pointerIaNS8_11hip_rocprim3tagENS8_11use_defaultESE_EEEENSA_INSB_IlSD_SE_SE_EEEEZNS1_13binary_searchIS3_S5_NSA_INS8_10device_ptrIaEEEESG_SI_NS1_21lower_bound_search_opENS9_16wrapped_functionINS8_7greaterIaEEbEEEE10hipError_tPvRmT1_T2_T3_mmT4_T5_P12ihipStream_tbEUlRKaE_EESS_SW_SX_mSY_S11_bEUlT_E_NS1_11comp_targetILNS1_3genE10ELNS1_11target_archE1201ELNS1_3gpuE5ELNS1_3repE0EEENS1_30default_config_static_selectorELNS0_4arch9wavefront6targetE0EEEvSV_.uses_flat_scratch, 0
	.set _ZN7rocprim17ROCPRIM_400000_NS6detail17trampoline_kernelINS0_14default_configENS1_27lower_bound_config_selectorIalEEZNS1_14transform_implILb0ES3_S5_N6thrust23THRUST_200600_302600_NS6detail15normal_iteratorINS8_7pointerIaNS8_11hip_rocprim3tagENS8_11use_defaultESE_EEEENSA_INSB_IlSD_SE_SE_EEEEZNS1_13binary_searchIS3_S5_NSA_INS8_10device_ptrIaEEEESG_SI_NS1_21lower_bound_search_opENS9_16wrapped_functionINS8_7greaterIaEEbEEEE10hipError_tPvRmT1_T2_T3_mmT4_T5_P12ihipStream_tbEUlRKaE_EESS_SW_SX_mSY_S11_bEUlT_E_NS1_11comp_targetILNS1_3genE10ELNS1_11target_archE1201ELNS1_3gpuE5ELNS1_3repE0EEENS1_30default_config_static_selectorELNS0_4arch9wavefront6targetE0EEEvSV_.has_dyn_sized_stack, 0
	.set _ZN7rocprim17ROCPRIM_400000_NS6detail17trampoline_kernelINS0_14default_configENS1_27lower_bound_config_selectorIalEEZNS1_14transform_implILb0ES3_S5_N6thrust23THRUST_200600_302600_NS6detail15normal_iteratorINS8_7pointerIaNS8_11hip_rocprim3tagENS8_11use_defaultESE_EEEENSA_INSB_IlSD_SE_SE_EEEEZNS1_13binary_searchIS3_S5_NSA_INS8_10device_ptrIaEEEESG_SI_NS1_21lower_bound_search_opENS9_16wrapped_functionINS8_7greaterIaEEbEEEE10hipError_tPvRmT1_T2_T3_mmT4_T5_P12ihipStream_tbEUlRKaE_EESS_SW_SX_mSY_S11_bEUlT_E_NS1_11comp_targetILNS1_3genE10ELNS1_11target_archE1201ELNS1_3gpuE5ELNS1_3repE0EEENS1_30default_config_static_selectorELNS0_4arch9wavefront6targetE0EEEvSV_.has_recursion, 0
	.set _ZN7rocprim17ROCPRIM_400000_NS6detail17trampoline_kernelINS0_14default_configENS1_27lower_bound_config_selectorIalEEZNS1_14transform_implILb0ES3_S5_N6thrust23THRUST_200600_302600_NS6detail15normal_iteratorINS8_7pointerIaNS8_11hip_rocprim3tagENS8_11use_defaultESE_EEEENSA_INSB_IlSD_SE_SE_EEEEZNS1_13binary_searchIS3_S5_NSA_INS8_10device_ptrIaEEEESG_SI_NS1_21lower_bound_search_opENS9_16wrapped_functionINS8_7greaterIaEEbEEEE10hipError_tPvRmT1_T2_T3_mmT4_T5_P12ihipStream_tbEUlRKaE_EESS_SW_SX_mSY_S11_bEUlT_E_NS1_11comp_targetILNS1_3genE10ELNS1_11target_archE1201ELNS1_3gpuE5ELNS1_3repE0EEENS1_30default_config_static_selectorELNS0_4arch9wavefront6targetE0EEEvSV_.has_indirect_call, 0
	.section	.AMDGPU.csdata,"",@progbits
; Kernel info:
; codeLenInByte = 0
; TotalNumSgprs: 0
; NumVgprs: 0
; ScratchSize: 0
; MemoryBound: 0
; FloatMode: 240
; IeeeMode: 1
; LDSByteSize: 0 bytes/workgroup (compile time only)
; SGPRBlocks: 0
; VGPRBlocks: 0
; NumSGPRsForWavesPerEU: 1
; NumVGPRsForWavesPerEU: 1
; NamedBarCnt: 0
; Occupancy: 16
; WaveLimiterHint : 0
; COMPUTE_PGM_RSRC2:SCRATCH_EN: 0
; COMPUTE_PGM_RSRC2:USER_SGPR: 2
; COMPUTE_PGM_RSRC2:TRAP_HANDLER: 0
; COMPUTE_PGM_RSRC2:TGID_X_EN: 1
; COMPUTE_PGM_RSRC2:TGID_Y_EN: 0
; COMPUTE_PGM_RSRC2:TGID_Z_EN: 0
; COMPUTE_PGM_RSRC2:TIDIG_COMP_CNT: 0
	.section	.text._ZN7rocprim17ROCPRIM_400000_NS6detail17trampoline_kernelINS0_14default_configENS1_27lower_bound_config_selectorIalEEZNS1_14transform_implILb0ES3_S5_N6thrust23THRUST_200600_302600_NS6detail15normal_iteratorINS8_7pointerIaNS8_11hip_rocprim3tagENS8_11use_defaultESE_EEEENSA_INSB_IlSD_SE_SE_EEEEZNS1_13binary_searchIS3_S5_NSA_INS8_10device_ptrIaEEEESG_SI_NS1_21lower_bound_search_opENS9_16wrapped_functionINS8_7greaterIaEEbEEEE10hipError_tPvRmT1_T2_T3_mmT4_T5_P12ihipStream_tbEUlRKaE_EESS_SW_SX_mSY_S11_bEUlT_E_NS1_11comp_targetILNS1_3genE10ELNS1_11target_archE1200ELNS1_3gpuE4ELNS1_3repE0EEENS1_30default_config_static_selectorELNS0_4arch9wavefront6targetE0EEEvSV_,"axG",@progbits,_ZN7rocprim17ROCPRIM_400000_NS6detail17trampoline_kernelINS0_14default_configENS1_27lower_bound_config_selectorIalEEZNS1_14transform_implILb0ES3_S5_N6thrust23THRUST_200600_302600_NS6detail15normal_iteratorINS8_7pointerIaNS8_11hip_rocprim3tagENS8_11use_defaultESE_EEEENSA_INSB_IlSD_SE_SE_EEEEZNS1_13binary_searchIS3_S5_NSA_INS8_10device_ptrIaEEEESG_SI_NS1_21lower_bound_search_opENS9_16wrapped_functionINS8_7greaterIaEEbEEEE10hipError_tPvRmT1_T2_T3_mmT4_T5_P12ihipStream_tbEUlRKaE_EESS_SW_SX_mSY_S11_bEUlT_E_NS1_11comp_targetILNS1_3genE10ELNS1_11target_archE1200ELNS1_3gpuE4ELNS1_3repE0EEENS1_30default_config_static_selectorELNS0_4arch9wavefront6targetE0EEEvSV_,comdat
	.protected	_ZN7rocprim17ROCPRIM_400000_NS6detail17trampoline_kernelINS0_14default_configENS1_27lower_bound_config_selectorIalEEZNS1_14transform_implILb0ES3_S5_N6thrust23THRUST_200600_302600_NS6detail15normal_iteratorINS8_7pointerIaNS8_11hip_rocprim3tagENS8_11use_defaultESE_EEEENSA_INSB_IlSD_SE_SE_EEEEZNS1_13binary_searchIS3_S5_NSA_INS8_10device_ptrIaEEEESG_SI_NS1_21lower_bound_search_opENS9_16wrapped_functionINS8_7greaterIaEEbEEEE10hipError_tPvRmT1_T2_T3_mmT4_T5_P12ihipStream_tbEUlRKaE_EESS_SW_SX_mSY_S11_bEUlT_E_NS1_11comp_targetILNS1_3genE10ELNS1_11target_archE1200ELNS1_3gpuE4ELNS1_3repE0EEENS1_30default_config_static_selectorELNS0_4arch9wavefront6targetE0EEEvSV_ ; -- Begin function _ZN7rocprim17ROCPRIM_400000_NS6detail17trampoline_kernelINS0_14default_configENS1_27lower_bound_config_selectorIalEEZNS1_14transform_implILb0ES3_S5_N6thrust23THRUST_200600_302600_NS6detail15normal_iteratorINS8_7pointerIaNS8_11hip_rocprim3tagENS8_11use_defaultESE_EEEENSA_INSB_IlSD_SE_SE_EEEEZNS1_13binary_searchIS3_S5_NSA_INS8_10device_ptrIaEEEESG_SI_NS1_21lower_bound_search_opENS9_16wrapped_functionINS8_7greaterIaEEbEEEE10hipError_tPvRmT1_T2_T3_mmT4_T5_P12ihipStream_tbEUlRKaE_EESS_SW_SX_mSY_S11_bEUlT_E_NS1_11comp_targetILNS1_3genE10ELNS1_11target_archE1200ELNS1_3gpuE4ELNS1_3repE0EEENS1_30default_config_static_selectorELNS0_4arch9wavefront6targetE0EEEvSV_
	.globl	_ZN7rocprim17ROCPRIM_400000_NS6detail17trampoline_kernelINS0_14default_configENS1_27lower_bound_config_selectorIalEEZNS1_14transform_implILb0ES3_S5_N6thrust23THRUST_200600_302600_NS6detail15normal_iteratorINS8_7pointerIaNS8_11hip_rocprim3tagENS8_11use_defaultESE_EEEENSA_INSB_IlSD_SE_SE_EEEEZNS1_13binary_searchIS3_S5_NSA_INS8_10device_ptrIaEEEESG_SI_NS1_21lower_bound_search_opENS9_16wrapped_functionINS8_7greaterIaEEbEEEE10hipError_tPvRmT1_T2_T3_mmT4_T5_P12ihipStream_tbEUlRKaE_EESS_SW_SX_mSY_S11_bEUlT_E_NS1_11comp_targetILNS1_3genE10ELNS1_11target_archE1200ELNS1_3gpuE4ELNS1_3repE0EEENS1_30default_config_static_selectorELNS0_4arch9wavefront6targetE0EEEvSV_
	.p2align	8
	.type	_ZN7rocprim17ROCPRIM_400000_NS6detail17trampoline_kernelINS0_14default_configENS1_27lower_bound_config_selectorIalEEZNS1_14transform_implILb0ES3_S5_N6thrust23THRUST_200600_302600_NS6detail15normal_iteratorINS8_7pointerIaNS8_11hip_rocprim3tagENS8_11use_defaultESE_EEEENSA_INSB_IlSD_SE_SE_EEEEZNS1_13binary_searchIS3_S5_NSA_INS8_10device_ptrIaEEEESG_SI_NS1_21lower_bound_search_opENS9_16wrapped_functionINS8_7greaterIaEEbEEEE10hipError_tPvRmT1_T2_T3_mmT4_T5_P12ihipStream_tbEUlRKaE_EESS_SW_SX_mSY_S11_bEUlT_E_NS1_11comp_targetILNS1_3genE10ELNS1_11target_archE1200ELNS1_3gpuE4ELNS1_3repE0EEENS1_30default_config_static_selectorELNS0_4arch9wavefront6targetE0EEEvSV_,@function
_ZN7rocprim17ROCPRIM_400000_NS6detail17trampoline_kernelINS0_14default_configENS1_27lower_bound_config_selectorIalEEZNS1_14transform_implILb0ES3_S5_N6thrust23THRUST_200600_302600_NS6detail15normal_iteratorINS8_7pointerIaNS8_11hip_rocprim3tagENS8_11use_defaultESE_EEEENSA_INSB_IlSD_SE_SE_EEEEZNS1_13binary_searchIS3_S5_NSA_INS8_10device_ptrIaEEEESG_SI_NS1_21lower_bound_search_opENS9_16wrapped_functionINS8_7greaterIaEEbEEEE10hipError_tPvRmT1_T2_T3_mmT4_T5_P12ihipStream_tbEUlRKaE_EESS_SW_SX_mSY_S11_bEUlT_E_NS1_11comp_targetILNS1_3genE10ELNS1_11target_archE1200ELNS1_3gpuE4ELNS1_3repE0EEENS1_30default_config_static_selectorELNS0_4arch9wavefront6targetE0EEEvSV_: ; @_ZN7rocprim17ROCPRIM_400000_NS6detail17trampoline_kernelINS0_14default_configENS1_27lower_bound_config_selectorIalEEZNS1_14transform_implILb0ES3_S5_N6thrust23THRUST_200600_302600_NS6detail15normal_iteratorINS8_7pointerIaNS8_11hip_rocprim3tagENS8_11use_defaultESE_EEEENSA_INSB_IlSD_SE_SE_EEEEZNS1_13binary_searchIS3_S5_NSA_INS8_10device_ptrIaEEEESG_SI_NS1_21lower_bound_search_opENS9_16wrapped_functionINS8_7greaterIaEEbEEEE10hipError_tPvRmT1_T2_T3_mmT4_T5_P12ihipStream_tbEUlRKaE_EESS_SW_SX_mSY_S11_bEUlT_E_NS1_11comp_targetILNS1_3genE10ELNS1_11target_archE1200ELNS1_3gpuE4ELNS1_3repE0EEENS1_30default_config_static_selectorELNS0_4arch9wavefront6targetE0EEEvSV_
; %bb.0:
	.section	.rodata,"a",@progbits
	.p2align	6, 0x0
	.amdhsa_kernel _ZN7rocprim17ROCPRIM_400000_NS6detail17trampoline_kernelINS0_14default_configENS1_27lower_bound_config_selectorIalEEZNS1_14transform_implILb0ES3_S5_N6thrust23THRUST_200600_302600_NS6detail15normal_iteratorINS8_7pointerIaNS8_11hip_rocprim3tagENS8_11use_defaultESE_EEEENSA_INSB_IlSD_SE_SE_EEEEZNS1_13binary_searchIS3_S5_NSA_INS8_10device_ptrIaEEEESG_SI_NS1_21lower_bound_search_opENS9_16wrapped_functionINS8_7greaterIaEEbEEEE10hipError_tPvRmT1_T2_T3_mmT4_T5_P12ihipStream_tbEUlRKaE_EESS_SW_SX_mSY_S11_bEUlT_E_NS1_11comp_targetILNS1_3genE10ELNS1_11target_archE1200ELNS1_3gpuE4ELNS1_3repE0EEENS1_30default_config_static_selectorELNS0_4arch9wavefront6targetE0EEEvSV_
		.amdhsa_group_segment_fixed_size 0
		.amdhsa_private_segment_fixed_size 0
		.amdhsa_kernarg_size 56
		.amdhsa_user_sgpr_count 2
		.amdhsa_user_sgpr_dispatch_ptr 0
		.amdhsa_user_sgpr_queue_ptr 0
		.amdhsa_user_sgpr_kernarg_segment_ptr 1
		.amdhsa_user_sgpr_dispatch_id 0
		.amdhsa_user_sgpr_kernarg_preload_length 0
		.amdhsa_user_sgpr_kernarg_preload_offset 0
		.amdhsa_user_sgpr_private_segment_size 0
		.amdhsa_wavefront_size32 1
		.amdhsa_uses_dynamic_stack 0
		.amdhsa_enable_private_segment 0
		.amdhsa_system_sgpr_workgroup_id_x 1
		.amdhsa_system_sgpr_workgroup_id_y 0
		.amdhsa_system_sgpr_workgroup_id_z 0
		.amdhsa_system_sgpr_workgroup_info 0
		.amdhsa_system_vgpr_workitem_id 0
		.amdhsa_next_free_vgpr 1
		.amdhsa_next_free_sgpr 1
		.amdhsa_named_barrier_count 0
		.amdhsa_reserve_vcc 0
		.amdhsa_float_round_mode_32 0
		.amdhsa_float_round_mode_16_64 0
		.amdhsa_float_denorm_mode_32 3
		.amdhsa_float_denorm_mode_16_64 3
		.amdhsa_fp16_overflow 0
		.amdhsa_memory_ordered 1
		.amdhsa_forward_progress 1
		.amdhsa_inst_pref_size 0
		.amdhsa_round_robin_scheduling 0
		.amdhsa_exception_fp_ieee_invalid_op 0
		.amdhsa_exception_fp_denorm_src 0
		.amdhsa_exception_fp_ieee_div_zero 0
		.amdhsa_exception_fp_ieee_overflow 0
		.amdhsa_exception_fp_ieee_underflow 0
		.amdhsa_exception_fp_ieee_inexact 0
		.amdhsa_exception_int_div_zero 0
	.end_amdhsa_kernel
	.section	.text._ZN7rocprim17ROCPRIM_400000_NS6detail17trampoline_kernelINS0_14default_configENS1_27lower_bound_config_selectorIalEEZNS1_14transform_implILb0ES3_S5_N6thrust23THRUST_200600_302600_NS6detail15normal_iteratorINS8_7pointerIaNS8_11hip_rocprim3tagENS8_11use_defaultESE_EEEENSA_INSB_IlSD_SE_SE_EEEEZNS1_13binary_searchIS3_S5_NSA_INS8_10device_ptrIaEEEESG_SI_NS1_21lower_bound_search_opENS9_16wrapped_functionINS8_7greaterIaEEbEEEE10hipError_tPvRmT1_T2_T3_mmT4_T5_P12ihipStream_tbEUlRKaE_EESS_SW_SX_mSY_S11_bEUlT_E_NS1_11comp_targetILNS1_3genE10ELNS1_11target_archE1200ELNS1_3gpuE4ELNS1_3repE0EEENS1_30default_config_static_selectorELNS0_4arch9wavefront6targetE0EEEvSV_,"axG",@progbits,_ZN7rocprim17ROCPRIM_400000_NS6detail17trampoline_kernelINS0_14default_configENS1_27lower_bound_config_selectorIalEEZNS1_14transform_implILb0ES3_S5_N6thrust23THRUST_200600_302600_NS6detail15normal_iteratorINS8_7pointerIaNS8_11hip_rocprim3tagENS8_11use_defaultESE_EEEENSA_INSB_IlSD_SE_SE_EEEEZNS1_13binary_searchIS3_S5_NSA_INS8_10device_ptrIaEEEESG_SI_NS1_21lower_bound_search_opENS9_16wrapped_functionINS8_7greaterIaEEbEEEE10hipError_tPvRmT1_T2_T3_mmT4_T5_P12ihipStream_tbEUlRKaE_EESS_SW_SX_mSY_S11_bEUlT_E_NS1_11comp_targetILNS1_3genE10ELNS1_11target_archE1200ELNS1_3gpuE4ELNS1_3repE0EEENS1_30default_config_static_selectorELNS0_4arch9wavefront6targetE0EEEvSV_,comdat
.Lfunc_end7:
	.size	_ZN7rocprim17ROCPRIM_400000_NS6detail17trampoline_kernelINS0_14default_configENS1_27lower_bound_config_selectorIalEEZNS1_14transform_implILb0ES3_S5_N6thrust23THRUST_200600_302600_NS6detail15normal_iteratorINS8_7pointerIaNS8_11hip_rocprim3tagENS8_11use_defaultESE_EEEENSA_INSB_IlSD_SE_SE_EEEEZNS1_13binary_searchIS3_S5_NSA_INS8_10device_ptrIaEEEESG_SI_NS1_21lower_bound_search_opENS9_16wrapped_functionINS8_7greaterIaEEbEEEE10hipError_tPvRmT1_T2_T3_mmT4_T5_P12ihipStream_tbEUlRKaE_EESS_SW_SX_mSY_S11_bEUlT_E_NS1_11comp_targetILNS1_3genE10ELNS1_11target_archE1200ELNS1_3gpuE4ELNS1_3repE0EEENS1_30default_config_static_selectorELNS0_4arch9wavefront6targetE0EEEvSV_, .Lfunc_end7-_ZN7rocprim17ROCPRIM_400000_NS6detail17trampoline_kernelINS0_14default_configENS1_27lower_bound_config_selectorIalEEZNS1_14transform_implILb0ES3_S5_N6thrust23THRUST_200600_302600_NS6detail15normal_iteratorINS8_7pointerIaNS8_11hip_rocprim3tagENS8_11use_defaultESE_EEEENSA_INSB_IlSD_SE_SE_EEEEZNS1_13binary_searchIS3_S5_NSA_INS8_10device_ptrIaEEEESG_SI_NS1_21lower_bound_search_opENS9_16wrapped_functionINS8_7greaterIaEEbEEEE10hipError_tPvRmT1_T2_T3_mmT4_T5_P12ihipStream_tbEUlRKaE_EESS_SW_SX_mSY_S11_bEUlT_E_NS1_11comp_targetILNS1_3genE10ELNS1_11target_archE1200ELNS1_3gpuE4ELNS1_3repE0EEENS1_30default_config_static_selectorELNS0_4arch9wavefront6targetE0EEEvSV_
                                        ; -- End function
	.set _ZN7rocprim17ROCPRIM_400000_NS6detail17trampoline_kernelINS0_14default_configENS1_27lower_bound_config_selectorIalEEZNS1_14transform_implILb0ES3_S5_N6thrust23THRUST_200600_302600_NS6detail15normal_iteratorINS8_7pointerIaNS8_11hip_rocprim3tagENS8_11use_defaultESE_EEEENSA_INSB_IlSD_SE_SE_EEEEZNS1_13binary_searchIS3_S5_NSA_INS8_10device_ptrIaEEEESG_SI_NS1_21lower_bound_search_opENS9_16wrapped_functionINS8_7greaterIaEEbEEEE10hipError_tPvRmT1_T2_T3_mmT4_T5_P12ihipStream_tbEUlRKaE_EESS_SW_SX_mSY_S11_bEUlT_E_NS1_11comp_targetILNS1_3genE10ELNS1_11target_archE1200ELNS1_3gpuE4ELNS1_3repE0EEENS1_30default_config_static_selectorELNS0_4arch9wavefront6targetE0EEEvSV_.num_vgpr, 0
	.set _ZN7rocprim17ROCPRIM_400000_NS6detail17trampoline_kernelINS0_14default_configENS1_27lower_bound_config_selectorIalEEZNS1_14transform_implILb0ES3_S5_N6thrust23THRUST_200600_302600_NS6detail15normal_iteratorINS8_7pointerIaNS8_11hip_rocprim3tagENS8_11use_defaultESE_EEEENSA_INSB_IlSD_SE_SE_EEEEZNS1_13binary_searchIS3_S5_NSA_INS8_10device_ptrIaEEEESG_SI_NS1_21lower_bound_search_opENS9_16wrapped_functionINS8_7greaterIaEEbEEEE10hipError_tPvRmT1_T2_T3_mmT4_T5_P12ihipStream_tbEUlRKaE_EESS_SW_SX_mSY_S11_bEUlT_E_NS1_11comp_targetILNS1_3genE10ELNS1_11target_archE1200ELNS1_3gpuE4ELNS1_3repE0EEENS1_30default_config_static_selectorELNS0_4arch9wavefront6targetE0EEEvSV_.num_agpr, 0
	.set _ZN7rocprim17ROCPRIM_400000_NS6detail17trampoline_kernelINS0_14default_configENS1_27lower_bound_config_selectorIalEEZNS1_14transform_implILb0ES3_S5_N6thrust23THRUST_200600_302600_NS6detail15normal_iteratorINS8_7pointerIaNS8_11hip_rocprim3tagENS8_11use_defaultESE_EEEENSA_INSB_IlSD_SE_SE_EEEEZNS1_13binary_searchIS3_S5_NSA_INS8_10device_ptrIaEEEESG_SI_NS1_21lower_bound_search_opENS9_16wrapped_functionINS8_7greaterIaEEbEEEE10hipError_tPvRmT1_T2_T3_mmT4_T5_P12ihipStream_tbEUlRKaE_EESS_SW_SX_mSY_S11_bEUlT_E_NS1_11comp_targetILNS1_3genE10ELNS1_11target_archE1200ELNS1_3gpuE4ELNS1_3repE0EEENS1_30default_config_static_selectorELNS0_4arch9wavefront6targetE0EEEvSV_.numbered_sgpr, 0
	.set _ZN7rocprim17ROCPRIM_400000_NS6detail17trampoline_kernelINS0_14default_configENS1_27lower_bound_config_selectorIalEEZNS1_14transform_implILb0ES3_S5_N6thrust23THRUST_200600_302600_NS6detail15normal_iteratorINS8_7pointerIaNS8_11hip_rocprim3tagENS8_11use_defaultESE_EEEENSA_INSB_IlSD_SE_SE_EEEEZNS1_13binary_searchIS3_S5_NSA_INS8_10device_ptrIaEEEESG_SI_NS1_21lower_bound_search_opENS9_16wrapped_functionINS8_7greaterIaEEbEEEE10hipError_tPvRmT1_T2_T3_mmT4_T5_P12ihipStream_tbEUlRKaE_EESS_SW_SX_mSY_S11_bEUlT_E_NS1_11comp_targetILNS1_3genE10ELNS1_11target_archE1200ELNS1_3gpuE4ELNS1_3repE0EEENS1_30default_config_static_selectorELNS0_4arch9wavefront6targetE0EEEvSV_.num_named_barrier, 0
	.set _ZN7rocprim17ROCPRIM_400000_NS6detail17trampoline_kernelINS0_14default_configENS1_27lower_bound_config_selectorIalEEZNS1_14transform_implILb0ES3_S5_N6thrust23THRUST_200600_302600_NS6detail15normal_iteratorINS8_7pointerIaNS8_11hip_rocprim3tagENS8_11use_defaultESE_EEEENSA_INSB_IlSD_SE_SE_EEEEZNS1_13binary_searchIS3_S5_NSA_INS8_10device_ptrIaEEEESG_SI_NS1_21lower_bound_search_opENS9_16wrapped_functionINS8_7greaterIaEEbEEEE10hipError_tPvRmT1_T2_T3_mmT4_T5_P12ihipStream_tbEUlRKaE_EESS_SW_SX_mSY_S11_bEUlT_E_NS1_11comp_targetILNS1_3genE10ELNS1_11target_archE1200ELNS1_3gpuE4ELNS1_3repE0EEENS1_30default_config_static_selectorELNS0_4arch9wavefront6targetE0EEEvSV_.private_seg_size, 0
	.set _ZN7rocprim17ROCPRIM_400000_NS6detail17trampoline_kernelINS0_14default_configENS1_27lower_bound_config_selectorIalEEZNS1_14transform_implILb0ES3_S5_N6thrust23THRUST_200600_302600_NS6detail15normal_iteratorINS8_7pointerIaNS8_11hip_rocprim3tagENS8_11use_defaultESE_EEEENSA_INSB_IlSD_SE_SE_EEEEZNS1_13binary_searchIS3_S5_NSA_INS8_10device_ptrIaEEEESG_SI_NS1_21lower_bound_search_opENS9_16wrapped_functionINS8_7greaterIaEEbEEEE10hipError_tPvRmT1_T2_T3_mmT4_T5_P12ihipStream_tbEUlRKaE_EESS_SW_SX_mSY_S11_bEUlT_E_NS1_11comp_targetILNS1_3genE10ELNS1_11target_archE1200ELNS1_3gpuE4ELNS1_3repE0EEENS1_30default_config_static_selectorELNS0_4arch9wavefront6targetE0EEEvSV_.uses_vcc, 0
	.set _ZN7rocprim17ROCPRIM_400000_NS6detail17trampoline_kernelINS0_14default_configENS1_27lower_bound_config_selectorIalEEZNS1_14transform_implILb0ES3_S5_N6thrust23THRUST_200600_302600_NS6detail15normal_iteratorINS8_7pointerIaNS8_11hip_rocprim3tagENS8_11use_defaultESE_EEEENSA_INSB_IlSD_SE_SE_EEEEZNS1_13binary_searchIS3_S5_NSA_INS8_10device_ptrIaEEEESG_SI_NS1_21lower_bound_search_opENS9_16wrapped_functionINS8_7greaterIaEEbEEEE10hipError_tPvRmT1_T2_T3_mmT4_T5_P12ihipStream_tbEUlRKaE_EESS_SW_SX_mSY_S11_bEUlT_E_NS1_11comp_targetILNS1_3genE10ELNS1_11target_archE1200ELNS1_3gpuE4ELNS1_3repE0EEENS1_30default_config_static_selectorELNS0_4arch9wavefront6targetE0EEEvSV_.uses_flat_scratch, 0
	.set _ZN7rocprim17ROCPRIM_400000_NS6detail17trampoline_kernelINS0_14default_configENS1_27lower_bound_config_selectorIalEEZNS1_14transform_implILb0ES3_S5_N6thrust23THRUST_200600_302600_NS6detail15normal_iteratorINS8_7pointerIaNS8_11hip_rocprim3tagENS8_11use_defaultESE_EEEENSA_INSB_IlSD_SE_SE_EEEEZNS1_13binary_searchIS3_S5_NSA_INS8_10device_ptrIaEEEESG_SI_NS1_21lower_bound_search_opENS9_16wrapped_functionINS8_7greaterIaEEbEEEE10hipError_tPvRmT1_T2_T3_mmT4_T5_P12ihipStream_tbEUlRKaE_EESS_SW_SX_mSY_S11_bEUlT_E_NS1_11comp_targetILNS1_3genE10ELNS1_11target_archE1200ELNS1_3gpuE4ELNS1_3repE0EEENS1_30default_config_static_selectorELNS0_4arch9wavefront6targetE0EEEvSV_.has_dyn_sized_stack, 0
	.set _ZN7rocprim17ROCPRIM_400000_NS6detail17trampoline_kernelINS0_14default_configENS1_27lower_bound_config_selectorIalEEZNS1_14transform_implILb0ES3_S5_N6thrust23THRUST_200600_302600_NS6detail15normal_iteratorINS8_7pointerIaNS8_11hip_rocprim3tagENS8_11use_defaultESE_EEEENSA_INSB_IlSD_SE_SE_EEEEZNS1_13binary_searchIS3_S5_NSA_INS8_10device_ptrIaEEEESG_SI_NS1_21lower_bound_search_opENS9_16wrapped_functionINS8_7greaterIaEEbEEEE10hipError_tPvRmT1_T2_T3_mmT4_T5_P12ihipStream_tbEUlRKaE_EESS_SW_SX_mSY_S11_bEUlT_E_NS1_11comp_targetILNS1_3genE10ELNS1_11target_archE1200ELNS1_3gpuE4ELNS1_3repE0EEENS1_30default_config_static_selectorELNS0_4arch9wavefront6targetE0EEEvSV_.has_recursion, 0
	.set _ZN7rocprim17ROCPRIM_400000_NS6detail17trampoline_kernelINS0_14default_configENS1_27lower_bound_config_selectorIalEEZNS1_14transform_implILb0ES3_S5_N6thrust23THRUST_200600_302600_NS6detail15normal_iteratorINS8_7pointerIaNS8_11hip_rocprim3tagENS8_11use_defaultESE_EEEENSA_INSB_IlSD_SE_SE_EEEEZNS1_13binary_searchIS3_S5_NSA_INS8_10device_ptrIaEEEESG_SI_NS1_21lower_bound_search_opENS9_16wrapped_functionINS8_7greaterIaEEbEEEE10hipError_tPvRmT1_T2_T3_mmT4_T5_P12ihipStream_tbEUlRKaE_EESS_SW_SX_mSY_S11_bEUlT_E_NS1_11comp_targetILNS1_3genE10ELNS1_11target_archE1200ELNS1_3gpuE4ELNS1_3repE0EEENS1_30default_config_static_selectorELNS0_4arch9wavefront6targetE0EEEvSV_.has_indirect_call, 0
	.section	.AMDGPU.csdata,"",@progbits
; Kernel info:
; codeLenInByte = 0
; TotalNumSgprs: 0
; NumVgprs: 0
; ScratchSize: 0
; MemoryBound: 0
; FloatMode: 240
; IeeeMode: 1
; LDSByteSize: 0 bytes/workgroup (compile time only)
; SGPRBlocks: 0
; VGPRBlocks: 0
; NumSGPRsForWavesPerEU: 1
; NumVGPRsForWavesPerEU: 1
; NamedBarCnt: 0
; Occupancy: 16
; WaveLimiterHint : 0
; COMPUTE_PGM_RSRC2:SCRATCH_EN: 0
; COMPUTE_PGM_RSRC2:USER_SGPR: 2
; COMPUTE_PGM_RSRC2:TRAP_HANDLER: 0
; COMPUTE_PGM_RSRC2:TGID_X_EN: 1
; COMPUTE_PGM_RSRC2:TGID_Y_EN: 0
; COMPUTE_PGM_RSRC2:TGID_Z_EN: 0
; COMPUTE_PGM_RSRC2:TIDIG_COMP_CNT: 0
	.section	.text._ZN7rocprim17ROCPRIM_400000_NS6detail17trampoline_kernelINS0_14default_configENS1_27lower_bound_config_selectorIalEEZNS1_14transform_implILb0ES3_S5_N6thrust23THRUST_200600_302600_NS6detail15normal_iteratorINS8_7pointerIaNS8_11hip_rocprim3tagENS8_11use_defaultESE_EEEENSA_INSB_IlSD_SE_SE_EEEEZNS1_13binary_searchIS3_S5_NSA_INS8_10device_ptrIaEEEESG_SI_NS1_21lower_bound_search_opENS9_16wrapped_functionINS8_7greaterIaEEbEEEE10hipError_tPvRmT1_T2_T3_mmT4_T5_P12ihipStream_tbEUlRKaE_EESS_SW_SX_mSY_S11_bEUlT_E_NS1_11comp_targetILNS1_3genE9ELNS1_11target_archE1100ELNS1_3gpuE3ELNS1_3repE0EEENS1_30default_config_static_selectorELNS0_4arch9wavefront6targetE0EEEvSV_,"axG",@progbits,_ZN7rocprim17ROCPRIM_400000_NS6detail17trampoline_kernelINS0_14default_configENS1_27lower_bound_config_selectorIalEEZNS1_14transform_implILb0ES3_S5_N6thrust23THRUST_200600_302600_NS6detail15normal_iteratorINS8_7pointerIaNS8_11hip_rocprim3tagENS8_11use_defaultESE_EEEENSA_INSB_IlSD_SE_SE_EEEEZNS1_13binary_searchIS3_S5_NSA_INS8_10device_ptrIaEEEESG_SI_NS1_21lower_bound_search_opENS9_16wrapped_functionINS8_7greaterIaEEbEEEE10hipError_tPvRmT1_T2_T3_mmT4_T5_P12ihipStream_tbEUlRKaE_EESS_SW_SX_mSY_S11_bEUlT_E_NS1_11comp_targetILNS1_3genE9ELNS1_11target_archE1100ELNS1_3gpuE3ELNS1_3repE0EEENS1_30default_config_static_selectorELNS0_4arch9wavefront6targetE0EEEvSV_,comdat
	.protected	_ZN7rocprim17ROCPRIM_400000_NS6detail17trampoline_kernelINS0_14default_configENS1_27lower_bound_config_selectorIalEEZNS1_14transform_implILb0ES3_S5_N6thrust23THRUST_200600_302600_NS6detail15normal_iteratorINS8_7pointerIaNS8_11hip_rocprim3tagENS8_11use_defaultESE_EEEENSA_INSB_IlSD_SE_SE_EEEEZNS1_13binary_searchIS3_S5_NSA_INS8_10device_ptrIaEEEESG_SI_NS1_21lower_bound_search_opENS9_16wrapped_functionINS8_7greaterIaEEbEEEE10hipError_tPvRmT1_T2_T3_mmT4_T5_P12ihipStream_tbEUlRKaE_EESS_SW_SX_mSY_S11_bEUlT_E_NS1_11comp_targetILNS1_3genE9ELNS1_11target_archE1100ELNS1_3gpuE3ELNS1_3repE0EEENS1_30default_config_static_selectorELNS0_4arch9wavefront6targetE0EEEvSV_ ; -- Begin function _ZN7rocprim17ROCPRIM_400000_NS6detail17trampoline_kernelINS0_14default_configENS1_27lower_bound_config_selectorIalEEZNS1_14transform_implILb0ES3_S5_N6thrust23THRUST_200600_302600_NS6detail15normal_iteratorINS8_7pointerIaNS8_11hip_rocprim3tagENS8_11use_defaultESE_EEEENSA_INSB_IlSD_SE_SE_EEEEZNS1_13binary_searchIS3_S5_NSA_INS8_10device_ptrIaEEEESG_SI_NS1_21lower_bound_search_opENS9_16wrapped_functionINS8_7greaterIaEEbEEEE10hipError_tPvRmT1_T2_T3_mmT4_T5_P12ihipStream_tbEUlRKaE_EESS_SW_SX_mSY_S11_bEUlT_E_NS1_11comp_targetILNS1_3genE9ELNS1_11target_archE1100ELNS1_3gpuE3ELNS1_3repE0EEENS1_30default_config_static_selectorELNS0_4arch9wavefront6targetE0EEEvSV_
	.globl	_ZN7rocprim17ROCPRIM_400000_NS6detail17trampoline_kernelINS0_14default_configENS1_27lower_bound_config_selectorIalEEZNS1_14transform_implILb0ES3_S5_N6thrust23THRUST_200600_302600_NS6detail15normal_iteratorINS8_7pointerIaNS8_11hip_rocprim3tagENS8_11use_defaultESE_EEEENSA_INSB_IlSD_SE_SE_EEEEZNS1_13binary_searchIS3_S5_NSA_INS8_10device_ptrIaEEEESG_SI_NS1_21lower_bound_search_opENS9_16wrapped_functionINS8_7greaterIaEEbEEEE10hipError_tPvRmT1_T2_T3_mmT4_T5_P12ihipStream_tbEUlRKaE_EESS_SW_SX_mSY_S11_bEUlT_E_NS1_11comp_targetILNS1_3genE9ELNS1_11target_archE1100ELNS1_3gpuE3ELNS1_3repE0EEENS1_30default_config_static_selectorELNS0_4arch9wavefront6targetE0EEEvSV_
	.p2align	8
	.type	_ZN7rocprim17ROCPRIM_400000_NS6detail17trampoline_kernelINS0_14default_configENS1_27lower_bound_config_selectorIalEEZNS1_14transform_implILb0ES3_S5_N6thrust23THRUST_200600_302600_NS6detail15normal_iteratorINS8_7pointerIaNS8_11hip_rocprim3tagENS8_11use_defaultESE_EEEENSA_INSB_IlSD_SE_SE_EEEEZNS1_13binary_searchIS3_S5_NSA_INS8_10device_ptrIaEEEESG_SI_NS1_21lower_bound_search_opENS9_16wrapped_functionINS8_7greaterIaEEbEEEE10hipError_tPvRmT1_T2_T3_mmT4_T5_P12ihipStream_tbEUlRKaE_EESS_SW_SX_mSY_S11_bEUlT_E_NS1_11comp_targetILNS1_3genE9ELNS1_11target_archE1100ELNS1_3gpuE3ELNS1_3repE0EEENS1_30default_config_static_selectorELNS0_4arch9wavefront6targetE0EEEvSV_,@function
_ZN7rocprim17ROCPRIM_400000_NS6detail17trampoline_kernelINS0_14default_configENS1_27lower_bound_config_selectorIalEEZNS1_14transform_implILb0ES3_S5_N6thrust23THRUST_200600_302600_NS6detail15normal_iteratorINS8_7pointerIaNS8_11hip_rocprim3tagENS8_11use_defaultESE_EEEENSA_INSB_IlSD_SE_SE_EEEEZNS1_13binary_searchIS3_S5_NSA_INS8_10device_ptrIaEEEESG_SI_NS1_21lower_bound_search_opENS9_16wrapped_functionINS8_7greaterIaEEbEEEE10hipError_tPvRmT1_T2_T3_mmT4_T5_P12ihipStream_tbEUlRKaE_EESS_SW_SX_mSY_S11_bEUlT_E_NS1_11comp_targetILNS1_3genE9ELNS1_11target_archE1100ELNS1_3gpuE3ELNS1_3repE0EEENS1_30default_config_static_selectorELNS0_4arch9wavefront6targetE0EEEvSV_: ; @_ZN7rocprim17ROCPRIM_400000_NS6detail17trampoline_kernelINS0_14default_configENS1_27lower_bound_config_selectorIalEEZNS1_14transform_implILb0ES3_S5_N6thrust23THRUST_200600_302600_NS6detail15normal_iteratorINS8_7pointerIaNS8_11hip_rocprim3tagENS8_11use_defaultESE_EEEENSA_INSB_IlSD_SE_SE_EEEEZNS1_13binary_searchIS3_S5_NSA_INS8_10device_ptrIaEEEESG_SI_NS1_21lower_bound_search_opENS9_16wrapped_functionINS8_7greaterIaEEbEEEE10hipError_tPvRmT1_T2_T3_mmT4_T5_P12ihipStream_tbEUlRKaE_EESS_SW_SX_mSY_S11_bEUlT_E_NS1_11comp_targetILNS1_3genE9ELNS1_11target_archE1100ELNS1_3gpuE3ELNS1_3repE0EEENS1_30default_config_static_selectorELNS0_4arch9wavefront6targetE0EEEvSV_
; %bb.0:
	.section	.rodata,"a",@progbits
	.p2align	6, 0x0
	.amdhsa_kernel _ZN7rocprim17ROCPRIM_400000_NS6detail17trampoline_kernelINS0_14default_configENS1_27lower_bound_config_selectorIalEEZNS1_14transform_implILb0ES3_S5_N6thrust23THRUST_200600_302600_NS6detail15normal_iteratorINS8_7pointerIaNS8_11hip_rocprim3tagENS8_11use_defaultESE_EEEENSA_INSB_IlSD_SE_SE_EEEEZNS1_13binary_searchIS3_S5_NSA_INS8_10device_ptrIaEEEESG_SI_NS1_21lower_bound_search_opENS9_16wrapped_functionINS8_7greaterIaEEbEEEE10hipError_tPvRmT1_T2_T3_mmT4_T5_P12ihipStream_tbEUlRKaE_EESS_SW_SX_mSY_S11_bEUlT_E_NS1_11comp_targetILNS1_3genE9ELNS1_11target_archE1100ELNS1_3gpuE3ELNS1_3repE0EEENS1_30default_config_static_selectorELNS0_4arch9wavefront6targetE0EEEvSV_
		.amdhsa_group_segment_fixed_size 0
		.amdhsa_private_segment_fixed_size 0
		.amdhsa_kernarg_size 56
		.amdhsa_user_sgpr_count 2
		.amdhsa_user_sgpr_dispatch_ptr 0
		.amdhsa_user_sgpr_queue_ptr 0
		.amdhsa_user_sgpr_kernarg_segment_ptr 1
		.amdhsa_user_sgpr_dispatch_id 0
		.amdhsa_user_sgpr_kernarg_preload_length 0
		.amdhsa_user_sgpr_kernarg_preload_offset 0
		.amdhsa_user_sgpr_private_segment_size 0
		.amdhsa_wavefront_size32 1
		.amdhsa_uses_dynamic_stack 0
		.amdhsa_enable_private_segment 0
		.amdhsa_system_sgpr_workgroup_id_x 1
		.amdhsa_system_sgpr_workgroup_id_y 0
		.amdhsa_system_sgpr_workgroup_id_z 0
		.amdhsa_system_sgpr_workgroup_info 0
		.amdhsa_system_vgpr_workitem_id 0
		.amdhsa_next_free_vgpr 1
		.amdhsa_next_free_sgpr 1
		.amdhsa_named_barrier_count 0
		.amdhsa_reserve_vcc 0
		.amdhsa_float_round_mode_32 0
		.amdhsa_float_round_mode_16_64 0
		.amdhsa_float_denorm_mode_32 3
		.amdhsa_float_denorm_mode_16_64 3
		.amdhsa_fp16_overflow 0
		.amdhsa_memory_ordered 1
		.amdhsa_forward_progress 1
		.amdhsa_inst_pref_size 0
		.amdhsa_round_robin_scheduling 0
		.amdhsa_exception_fp_ieee_invalid_op 0
		.amdhsa_exception_fp_denorm_src 0
		.amdhsa_exception_fp_ieee_div_zero 0
		.amdhsa_exception_fp_ieee_overflow 0
		.amdhsa_exception_fp_ieee_underflow 0
		.amdhsa_exception_fp_ieee_inexact 0
		.amdhsa_exception_int_div_zero 0
	.end_amdhsa_kernel
	.section	.text._ZN7rocprim17ROCPRIM_400000_NS6detail17trampoline_kernelINS0_14default_configENS1_27lower_bound_config_selectorIalEEZNS1_14transform_implILb0ES3_S5_N6thrust23THRUST_200600_302600_NS6detail15normal_iteratorINS8_7pointerIaNS8_11hip_rocprim3tagENS8_11use_defaultESE_EEEENSA_INSB_IlSD_SE_SE_EEEEZNS1_13binary_searchIS3_S5_NSA_INS8_10device_ptrIaEEEESG_SI_NS1_21lower_bound_search_opENS9_16wrapped_functionINS8_7greaterIaEEbEEEE10hipError_tPvRmT1_T2_T3_mmT4_T5_P12ihipStream_tbEUlRKaE_EESS_SW_SX_mSY_S11_bEUlT_E_NS1_11comp_targetILNS1_3genE9ELNS1_11target_archE1100ELNS1_3gpuE3ELNS1_3repE0EEENS1_30default_config_static_selectorELNS0_4arch9wavefront6targetE0EEEvSV_,"axG",@progbits,_ZN7rocprim17ROCPRIM_400000_NS6detail17trampoline_kernelINS0_14default_configENS1_27lower_bound_config_selectorIalEEZNS1_14transform_implILb0ES3_S5_N6thrust23THRUST_200600_302600_NS6detail15normal_iteratorINS8_7pointerIaNS8_11hip_rocprim3tagENS8_11use_defaultESE_EEEENSA_INSB_IlSD_SE_SE_EEEEZNS1_13binary_searchIS3_S5_NSA_INS8_10device_ptrIaEEEESG_SI_NS1_21lower_bound_search_opENS9_16wrapped_functionINS8_7greaterIaEEbEEEE10hipError_tPvRmT1_T2_T3_mmT4_T5_P12ihipStream_tbEUlRKaE_EESS_SW_SX_mSY_S11_bEUlT_E_NS1_11comp_targetILNS1_3genE9ELNS1_11target_archE1100ELNS1_3gpuE3ELNS1_3repE0EEENS1_30default_config_static_selectorELNS0_4arch9wavefront6targetE0EEEvSV_,comdat
.Lfunc_end8:
	.size	_ZN7rocprim17ROCPRIM_400000_NS6detail17trampoline_kernelINS0_14default_configENS1_27lower_bound_config_selectorIalEEZNS1_14transform_implILb0ES3_S5_N6thrust23THRUST_200600_302600_NS6detail15normal_iteratorINS8_7pointerIaNS8_11hip_rocprim3tagENS8_11use_defaultESE_EEEENSA_INSB_IlSD_SE_SE_EEEEZNS1_13binary_searchIS3_S5_NSA_INS8_10device_ptrIaEEEESG_SI_NS1_21lower_bound_search_opENS9_16wrapped_functionINS8_7greaterIaEEbEEEE10hipError_tPvRmT1_T2_T3_mmT4_T5_P12ihipStream_tbEUlRKaE_EESS_SW_SX_mSY_S11_bEUlT_E_NS1_11comp_targetILNS1_3genE9ELNS1_11target_archE1100ELNS1_3gpuE3ELNS1_3repE0EEENS1_30default_config_static_selectorELNS0_4arch9wavefront6targetE0EEEvSV_, .Lfunc_end8-_ZN7rocprim17ROCPRIM_400000_NS6detail17trampoline_kernelINS0_14default_configENS1_27lower_bound_config_selectorIalEEZNS1_14transform_implILb0ES3_S5_N6thrust23THRUST_200600_302600_NS6detail15normal_iteratorINS8_7pointerIaNS8_11hip_rocprim3tagENS8_11use_defaultESE_EEEENSA_INSB_IlSD_SE_SE_EEEEZNS1_13binary_searchIS3_S5_NSA_INS8_10device_ptrIaEEEESG_SI_NS1_21lower_bound_search_opENS9_16wrapped_functionINS8_7greaterIaEEbEEEE10hipError_tPvRmT1_T2_T3_mmT4_T5_P12ihipStream_tbEUlRKaE_EESS_SW_SX_mSY_S11_bEUlT_E_NS1_11comp_targetILNS1_3genE9ELNS1_11target_archE1100ELNS1_3gpuE3ELNS1_3repE0EEENS1_30default_config_static_selectorELNS0_4arch9wavefront6targetE0EEEvSV_
                                        ; -- End function
	.set _ZN7rocprim17ROCPRIM_400000_NS6detail17trampoline_kernelINS0_14default_configENS1_27lower_bound_config_selectorIalEEZNS1_14transform_implILb0ES3_S5_N6thrust23THRUST_200600_302600_NS6detail15normal_iteratorINS8_7pointerIaNS8_11hip_rocprim3tagENS8_11use_defaultESE_EEEENSA_INSB_IlSD_SE_SE_EEEEZNS1_13binary_searchIS3_S5_NSA_INS8_10device_ptrIaEEEESG_SI_NS1_21lower_bound_search_opENS9_16wrapped_functionINS8_7greaterIaEEbEEEE10hipError_tPvRmT1_T2_T3_mmT4_T5_P12ihipStream_tbEUlRKaE_EESS_SW_SX_mSY_S11_bEUlT_E_NS1_11comp_targetILNS1_3genE9ELNS1_11target_archE1100ELNS1_3gpuE3ELNS1_3repE0EEENS1_30default_config_static_selectorELNS0_4arch9wavefront6targetE0EEEvSV_.num_vgpr, 0
	.set _ZN7rocprim17ROCPRIM_400000_NS6detail17trampoline_kernelINS0_14default_configENS1_27lower_bound_config_selectorIalEEZNS1_14transform_implILb0ES3_S5_N6thrust23THRUST_200600_302600_NS6detail15normal_iteratorINS8_7pointerIaNS8_11hip_rocprim3tagENS8_11use_defaultESE_EEEENSA_INSB_IlSD_SE_SE_EEEEZNS1_13binary_searchIS3_S5_NSA_INS8_10device_ptrIaEEEESG_SI_NS1_21lower_bound_search_opENS9_16wrapped_functionINS8_7greaterIaEEbEEEE10hipError_tPvRmT1_T2_T3_mmT4_T5_P12ihipStream_tbEUlRKaE_EESS_SW_SX_mSY_S11_bEUlT_E_NS1_11comp_targetILNS1_3genE9ELNS1_11target_archE1100ELNS1_3gpuE3ELNS1_3repE0EEENS1_30default_config_static_selectorELNS0_4arch9wavefront6targetE0EEEvSV_.num_agpr, 0
	.set _ZN7rocprim17ROCPRIM_400000_NS6detail17trampoline_kernelINS0_14default_configENS1_27lower_bound_config_selectorIalEEZNS1_14transform_implILb0ES3_S5_N6thrust23THRUST_200600_302600_NS6detail15normal_iteratorINS8_7pointerIaNS8_11hip_rocprim3tagENS8_11use_defaultESE_EEEENSA_INSB_IlSD_SE_SE_EEEEZNS1_13binary_searchIS3_S5_NSA_INS8_10device_ptrIaEEEESG_SI_NS1_21lower_bound_search_opENS9_16wrapped_functionINS8_7greaterIaEEbEEEE10hipError_tPvRmT1_T2_T3_mmT4_T5_P12ihipStream_tbEUlRKaE_EESS_SW_SX_mSY_S11_bEUlT_E_NS1_11comp_targetILNS1_3genE9ELNS1_11target_archE1100ELNS1_3gpuE3ELNS1_3repE0EEENS1_30default_config_static_selectorELNS0_4arch9wavefront6targetE0EEEvSV_.numbered_sgpr, 0
	.set _ZN7rocprim17ROCPRIM_400000_NS6detail17trampoline_kernelINS0_14default_configENS1_27lower_bound_config_selectorIalEEZNS1_14transform_implILb0ES3_S5_N6thrust23THRUST_200600_302600_NS6detail15normal_iteratorINS8_7pointerIaNS8_11hip_rocprim3tagENS8_11use_defaultESE_EEEENSA_INSB_IlSD_SE_SE_EEEEZNS1_13binary_searchIS3_S5_NSA_INS8_10device_ptrIaEEEESG_SI_NS1_21lower_bound_search_opENS9_16wrapped_functionINS8_7greaterIaEEbEEEE10hipError_tPvRmT1_T2_T3_mmT4_T5_P12ihipStream_tbEUlRKaE_EESS_SW_SX_mSY_S11_bEUlT_E_NS1_11comp_targetILNS1_3genE9ELNS1_11target_archE1100ELNS1_3gpuE3ELNS1_3repE0EEENS1_30default_config_static_selectorELNS0_4arch9wavefront6targetE0EEEvSV_.num_named_barrier, 0
	.set _ZN7rocprim17ROCPRIM_400000_NS6detail17trampoline_kernelINS0_14default_configENS1_27lower_bound_config_selectorIalEEZNS1_14transform_implILb0ES3_S5_N6thrust23THRUST_200600_302600_NS6detail15normal_iteratorINS8_7pointerIaNS8_11hip_rocprim3tagENS8_11use_defaultESE_EEEENSA_INSB_IlSD_SE_SE_EEEEZNS1_13binary_searchIS3_S5_NSA_INS8_10device_ptrIaEEEESG_SI_NS1_21lower_bound_search_opENS9_16wrapped_functionINS8_7greaterIaEEbEEEE10hipError_tPvRmT1_T2_T3_mmT4_T5_P12ihipStream_tbEUlRKaE_EESS_SW_SX_mSY_S11_bEUlT_E_NS1_11comp_targetILNS1_3genE9ELNS1_11target_archE1100ELNS1_3gpuE3ELNS1_3repE0EEENS1_30default_config_static_selectorELNS0_4arch9wavefront6targetE0EEEvSV_.private_seg_size, 0
	.set _ZN7rocprim17ROCPRIM_400000_NS6detail17trampoline_kernelINS0_14default_configENS1_27lower_bound_config_selectorIalEEZNS1_14transform_implILb0ES3_S5_N6thrust23THRUST_200600_302600_NS6detail15normal_iteratorINS8_7pointerIaNS8_11hip_rocprim3tagENS8_11use_defaultESE_EEEENSA_INSB_IlSD_SE_SE_EEEEZNS1_13binary_searchIS3_S5_NSA_INS8_10device_ptrIaEEEESG_SI_NS1_21lower_bound_search_opENS9_16wrapped_functionINS8_7greaterIaEEbEEEE10hipError_tPvRmT1_T2_T3_mmT4_T5_P12ihipStream_tbEUlRKaE_EESS_SW_SX_mSY_S11_bEUlT_E_NS1_11comp_targetILNS1_3genE9ELNS1_11target_archE1100ELNS1_3gpuE3ELNS1_3repE0EEENS1_30default_config_static_selectorELNS0_4arch9wavefront6targetE0EEEvSV_.uses_vcc, 0
	.set _ZN7rocprim17ROCPRIM_400000_NS6detail17trampoline_kernelINS0_14default_configENS1_27lower_bound_config_selectorIalEEZNS1_14transform_implILb0ES3_S5_N6thrust23THRUST_200600_302600_NS6detail15normal_iteratorINS8_7pointerIaNS8_11hip_rocprim3tagENS8_11use_defaultESE_EEEENSA_INSB_IlSD_SE_SE_EEEEZNS1_13binary_searchIS3_S5_NSA_INS8_10device_ptrIaEEEESG_SI_NS1_21lower_bound_search_opENS9_16wrapped_functionINS8_7greaterIaEEbEEEE10hipError_tPvRmT1_T2_T3_mmT4_T5_P12ihipStream_tbEUlRKaE_EESS_SW_SX_mSY_S11_bEUlT_E_NS1_11comp_targetILNS1_3genE9ELNS1_11target_archE1100ELNS1_3gpuE3ELNS1_3repE0EEENS1_30default_config_static_selectorELNS0_4arch9wavefront6targetE0EEEvSV_.uses_flat_scratch, 0
	.set _ZN7rocprim17ROCPRIM_400000_NS6detail17trampoline_kernelINS0_14default_configENS1_27lower_bound_config_selectorIalEEZNS1_14transform_implILb0ES3_S5_N6thrust23THRUST_200600_302600_NS6detail15normal_iteratorINS8_7pointerIaNS8_11hip_rocprim3tagENS8_11use_defaultESE_EEEENSA_INSB_IlSD_SE_SE_EEEEZNS1_13binary_searchIS3_S5_NSA_INS8_10device_ptrIaEEEESG_SI_NS1_21lower_bound_search_opENS9_16wrapped_functionINS8_7greaterIaEEbEEEE10hipError_tPvRmT1_T2_T3_mmT4_T5_P12ihipStream_tbEUlRKaE_EESS_SW_SX_mSY_S11_bEUlT_E_NS1_11comp_targetILNS1_3genE9ELNS1_11target_archE1100ELNS1_3gpuE3ELNS1_3repE0EEENS1_30default_config_static_selectorELNS0_4arch9wavefront6targetE0EEEvSV_.has_dyn_sized_stack, 0
	.set _ZN7rocprim17ROCPRIM_400000_NS6detail17trampoline_kernelINS0_14default_configENS1_27lower_bound_config_selectorIalEEZNS1_14transform_implILb0ES3_S5_N6thrust23THRUST_200600_302600_NS6detail15normal_iteratorINS8_7pointerIaNS8_11hip_rocprim3tagENS8_11use_defaultESE_EEEENSA_INSB_IlSD_SE_SE_EEEEZNS1_13binary_searchIS3_S5_NSA_INS8_10device_ptrIaEEEESG_SI_NS1_21lower_bound_search_opENS9_16wrapped_functionINS8_7greaterIaEEbEEEE10hipError_tPvRmT1_T2_T3_mmT4_T5_P12ihipStream_tbEUlRKaE_EESS_SW_SX_mSY_S11_bEUlT_E_NS1_11comp_targetILNS1_3genE9ELNS1_11target_archE1100ELNS1_3gpuE3ELNS1_3repE0EEENS1_30default_config_static_selectorELNS0_4arch9wavefront6targetE0EEEvSV_.has_recursion, 0
	.set _ZN7rocprim17ROCPRIM_400000_NS6detail17trampoline_kernelINS0_14default_configENS1_27lower_bound_config_selectorIalEEZNS1_14transform_implILb0ES3_S5_N6thrust23THRUST_200600_302600_NS6detail15normal_iteratorINS8_7pointerIaNS8_11hip_rocprim3tagENS8_11use_defaultESE_EEEENSA_INSB_IlSD_SE_SE_EEEEZNS1_13binary_searchIS3_S5_NSA_INS8_10device_ptrIaEEEESG_SI_NS1_21lower_bound_search_opENS9_16wrapped_functionINS8_7greaterIaEEbEEEE10hipError_tPvRmT1_T2_T3_mmT4_T5_P12ihipStream_tbEUlRKaE_EESS_SW_SX_mSY_S11_bEUlT_E_NS1_11comp_targetILNS1_3genE9ELNS1_11target_archE1100ELNS1_3gpuE3ELNS1_3repE0EEENS1_30default_config_static_selectorELNS0_4arch9wavefront6targetE0EEEvSV_.has_indirect_call, 0
	.section	.AMDGPU.csdata,"",@progbits
; Kernel info:
; codeLenInByte = 0
; TotalNumSgprs: 0
; NumVgprs: 0
; ScratchSize: 0
; MemoryBound: 0
; FloatMode: 240
; IeeeMode: 1
; LDSByteSize: 0 bytes/workgroup (compile time only)
; SGPRBlocks: 0
; VGPRBlocks: 0
; NumSGPRsForWavesPerEU: 1
; NumVGPRsForWavesPerEU: 1
; NamedBarCnt: 0
; Occupancy: 16
; WaveLimiterHint : 0
; COMPUTE_PGM_RSRC2:SCRATCH_EN: 0
; COMPUTE_PGM_RSRC2:USER_SGPR: 2
; COMPUTE_PGM_RSRC2:TRAP_HANDLER: 0
; COMPUTE_PGM_RSRC2:TGID_X_EN: 1
; COMPUTE_PGM_RSRC2:TGID_Y_EN: 0
; COMPUTE_PGM_RSRC2:TGID_Z_EN: 0
; COMPUTE_PGM_RSRC2:TIDIG_COMP_CNT: 0
	.section	.text._ZN7rocprim17ROCPRIM_400000_NS6detail17trampoline_kernelINS0_14default_configENS1_27lower_bound_config_selectorIalEEZNS1_14transform_implILb0ES3_S5_N6thrust23THRUST_200600_302600_NS6detail15normal_iteratorINS8_7pointerIaNS8_11hip_rocprim3tagENS8_11use_defaultESE_EEEENSA_INSB_IlSD_SE_SE_EEEEZNS1_13binary_searchIS3_S5_NSA_INS8_10device_ptrIaEEEESG_SI_NS1_21lower_bound_search_opENS9_16wrapped_functionINS8_7greaterIaEEbEEEE10hipError_tPvRmT1_T2_T3_mmT4_T5_P12ihipStream_tbEUlRKaE_EESS_SW_SX_mSY_S11_bEUlT_E_NS1_11comp_targetILNS1_3genE8ELNS1_11target_archE1030ELNS1_3gpuE2ELNS1_3repE0EEENS1_30default_config_static_selectorELNS0_4arch9wavefront6targetE0EEEvSV_,"axG",@progbits,_ZN7rocprim17ROCPRIM_400000_NS6detail17trampoline_kernelINS0_14default_configENS1_27lower_bound_config_selectorIalEEZNS1_14transform_implILb0ES3_S5_N6thrust23THRUST_200600_302600_NS6detail15normal_iteratorINS8_7pointerIaNS8_11hip_rocprim3tagENS8_11use_defaultESE_EEEENSA_INSB_IlSD_SE_SE_EEEEZNS1_13binary_searchIS3_S5_NSA_INS8_10device_ptrIaEEEESG_SI_NS1_21lower_bound_search_opENS9_16wrapped_functionINS8_7greaterIaEEbEEEE10hipError_tPvRmT1_T2_T3_mmT4_T5_P12ihipStream_tbEUlRKaE_EESS_SW_SX_mSY_S11_bEUlT_E_NS1_11comp_targetILNS1_3genE8ELNS1_11target_archE1030ELNS1_3gpuE2ELNS1_3repE0EEENS1_30default_config_static_selectorELNS0_4arch9wavefront6targetE0EEEvSV_,comdat
	.protected	_ZN7rocprim17ROCPRIM_400000_NS6detail17trampoline_kernelINS0_14default_configENS1_27lower_bound_config_selectorIalEEZNS1_14transform_implILb0ES3_S5_N6thrust23THRUST_200600_302600_NS6detail15normal_iteratorINS8_7pointerIaNS8_11hip_rocprim3tagENS8_11use_defaultESE_EEEENSA_INSB_IlSD_SE_SE_EEEEZNS1_13binary_searchIS3_S5_NSA_INS8_10device_ptrIaEEEESG_SI_NS1_21lower_bound_search_opENS9_16wrapped_functionINS8_7greaterIaEEbEEEE10hipError_tPvRmT1_T2_T3_mmT4_T5_P12ihipStream_tbEUlRKaE_EESS_SW_SX_mSY_S11_bEUlT_E_NS1_11comp_targetILNS1_3genE8ELNS1_11target_archE1030ELNS1_3gpuE2ELNS1_3repE0EEENS1_30default_config_static_selectorELNS0_4arch9wavefront6targetE0EEEvSV_ ; -- Begin function _ZN7rocprim17ROCPRIM_400000_NS6detail17trampoline_kernelINS0_14default_configENS1_27lower_bound_config_selectorIalEEZNS1_14transform_implILb0ES3_S5_N6thrust23THRUST_200600_302600_NS6detail15normal_iteratorINS8_7pointerIaNS8_11hip_rocprim3tagENS8_11use_defaultESE_EEEENSA_INSB_IlSD_SE_SE_EEEEZNS1_13binary_searchIS3_S5_NSA_INS8_10device_ptrIaEEEESG_SI_NS1_21lower_bound_search_opENS9_16wrapped_functionINS8_7greaterIaEEbEEEE10hipError_tPvRmT1_T2_T3_mmT4_T5_P12ihipStream_tbEUlRKaE_EESS_SW_SX_mSY_S11_bEUlT_E_NS1_11comp_targetILNS1_3genE8ELNS1_11target_archE1030ELNS1_3gpuE2ELNS1_3repE0EEENS1_30default_config_static_selectorELNS0_4arch9wavefront6targetE0EEEvSV_
	.globl	_ZN7rocprim17ROCPRIM_400000_NS6detail17trampoline_kernelINS0_14default_configENS1_27lower_bound_config_selectorIalEEZNS1_14transform_implILb0ES3_S5_N6thrust23THRUST_200600_302600_NS6detail15normal_iteratorINS8_7pointerIaNS8_11hip_rocprim3tagENS8_11use_defaultESE_EEEENSA_INSB_IlSD_SE_SE_EEEEZNS1_13binary_searchIS3_S5_NSA_INS8_10device_ptrIaEEEESG_SI_NS1_21lower_bound_search_opENS9_16wrapped_functionINS8_7greaterIaEEbEEEE10hipError_tPvRmT1_T2_T3_mmT4_T5_P12ihipStream_tbEUlRKaE_EESS_SW_SX_mSY_S11_bEUlT_E_NS1_11comp_targetILNS1_3genE8ELNS1_11target_archE1030ELNS1_3gpuE2ELNS1_3repE0EEENS1_30default_config_static_selectorELNS0_4arch9wavefront6targetE0EEEvSV_
	.p2align	8
	.type	_ZN7rocprim17ROCPRIM_400000_NS6detail17trampoline_kernelINS0_14default_configENS1_27lower_bound_config_selectorIalEEZNS1_14transform_implILb0ES3_S5_N6thrust23THRUST_200600_302600_NS6detail15normal_iteratorINS8_7pointerIaNS8_11hip_rocprim3tagENS8_11use_defaultESE_EEEENSA_INSB_IlSD_SE_SE_EEEEZNS1_13binary_searchIS3_S5_NSA_INS8_10device_ptrIaEEEESG_SI_NS1_21lower_bound_search_opENS9_16wrapped_functionINS8_7greaterIaEEbEEEE10hipError_tPvRmT1_T2_T3_mmT4_T5_P12ihipStream_tbEUlRKaE_EESS_SW_SX_mSY_S11_bEUlT_E_NS1_11comp_targetILNS1_3genE8ELNS1_11target_archE1030ELNS1_3gpuE2ELNS1_3repE0EEENS1_30default_config_static_selectorELNS0_4arch9wavefront6targetE0EEEvSV_,@function
_ZN7rocprim17ROCPRIM_400000_NS6detail17trampoline_kernelINS0_14default_configENS1_27lower_bound_config_selectorIalEEZNS1_14transform_implILb0ES3_S5_N6thrust23THRUST_200600_302600_NS6detail15normal_iteratorINS8_7pointerIaNS8_11hip_rocprim3tagENS8_11use_defaultESE_EEEENSA_INSB_IlSD_SE_SE_EEEEZNS1_13binary_searchIS3_S5_NSA_INS8_10device_ptrIaEEEESG_SI_NS1_21lower_bound_search_opENS9_16wrapped_functionINS8_7greaterIaEEbEEEE10hipError_tPvRmT1_T2_T3_mmT4_T5_P12ihipStream_tbEUlRKaE_EESS_SW_SX_mSY_S11_bEUlT_E_NS1_11comp_targetILNS1_3genE8ELNS1_11target_archE1030ELNS1_3gpuE2ELNS1_3repE0EEENS1_30default_config_static_selectorELNS0_4arch9wavefront6targetE0EEEvSV_: ; @_ZN7rocprim17ROCPRIM_400000_NS6detail17trampoline_kernelINS0_14default_configENS1_27lower_bound_config_selectorIalEEZNS1_14transform_implILb0ES3_S5_N6thrust23THRUST_200600_302600_NS6detail15normal_iteratorINS8_7pointerIaNS8_11hip_rocprim3tagENS8_11use_defaultESE_EEEENSA_INSB_IlSD_SE_SE_EEEEZNS1_13binary_searchIS3_S5_NSA_INS8_10device_ptrIaEEEESG_SI_NS1_21lower_bound_search_opENS9_16wrapped_functionINS8_7greaterIaEEbEEEE10hipError_tPvRmT1_T2_T3_mmT4_T5_P12ihipStream_tbEUlRKaE_EESS_SW_SX_mSY_S11_bEUlT_E_NS1_11comp_targetILNS1_3genE8ELNS1_11target_archE1030ELNS1_3gpuE2ELNS1_3repE0EEENS1_30default_config_static_selectorELNS0_4arch9wavefront6targetE0EEEvSV_
; %bb.0:
	.section	.rodata,"a",@progbits
	.p2align	6, 0x0
	.amdhsa_kernel _ZN7rocprim17ROCPRIM_400000_NS6detail17trampoline_kernelINS0_14default_configENS1_27lower_bound_config_selectorIalEEZNS1_14transform_implILb0ES3_S5_N6thrust23THRUST_200600_302600_NS6detail15normal_iteratorINS8_7pointerIaNS8_11hip_rocprim3tagENS8_11use_defaultESE_EEEENSA_INSB_IlSD_SE_SE_EEEEZNS1_13binary_searchIS3_S5_NSA_INS8_10device_ptrIaEEEESG_SI_NS1_21lower_bound_search_opENS9_16wrapped_functionINS8_7greaterIaEEbEEEE10hipError_tPvRmT1_T2_T3_mmT4_T5_P12ihipStream_tbEUlRKaE_EESS_SW_SX_mSY_S11_bEUlT_E_NS1_11comp_targetILNS1_3genE8ELNS1_11target_archE1030ELNS1_3gpuE2ELNS1_3repE0EEENS1_30default_config_static_selectorELNS0_4arch9wavefront6targetE0EEEvSV_
		.amdhsa_group_segment_fixed_size 0
		.amdhsa_private_segment_fixed_size 0
		.amdhsa_kernarg_size 56
		.amdhsa_user_sgpr_count 2
		.amdhsa_user_sgpr_dispatch_ptr 0
		.amdhsa_user_sgpr_queue_ptr 0
		.amdhsa_user_sgpr_kernarg_segment_ptr 1
		.amdhsa_user_sgpr_dispatch_id 0
		.amdhsa_user_sgpr_kernarg_preload_length 0
		.amdhsa_user_sgpr_kernarg_preload_offset 0
		.amdhsa_user_sgpr_private_segment_size 0
		.amdhsa_wavefront_size32 1
		.amdhsa_uses_dynamic_stack 0
		.amdhsa_enable_private_segment 0
		.amdhsa_system_sgpr_workgroup_id_x 1
		.amdhsa_system_sgpr_workgroup_id_y 0
		.amdhsa_system_sgpr_workgroup_id_z 0
		.amdhsa_system_sgpr_workgroup_info 0
		.amdhsa_system_vgpr_workitem_id 0
		.amdhsa_next_free_vgpr 1
		.amdhsa_next_free_sgpr 1
		.amdhsa_named_barrier_count 0
		.amdhsa_reserve_vcc 0
		.amdhsa_float_round_mode_32 0
		.amdhsa_float_round_mode_16_64 0
		.amdhsa_float_denorm_mode_32 3
		.amdhsa_float_denorm_mode_16_64 3
		.amdhsa_fp16_overflow 0
		.amdhsa_memory_ordered 1
		.amdhsa_forward_progress 1
		.amdhsa_inst_pref_size 0
		.amdhsa_round_robin_scheduling 0
		.amdhsa_exception_fp_ieee_invalid_op 0
		.amdhsa_exception_fp_denorm_src 0
		.amdhsa_exception_fp_ieee_div_zero 0
		.amdhsa_exception_fp_ieee_overflow 0
		.amdhsa_exception_fp_ieee_underflow 0
		.amdhsa_exception_fp_ieee_inexact 0
		.amdhsa_exception_int_div_zero 0
	.end_amdhsa_kernel
	.section	.text._ZN7rocprim17ROCPRIM_400000_NS6detail17trampoline_kernelINS0_14default_configENS1_27lower_bound_config_selectorIalEEZNS1_14transform_implILb0ES3_S5_N6thrust23THRUST_200600_302600_NS6detail15normal_iteratorINS8_7pointerIaNS8_11hip_rocprim3tagENS8_11use_defaultESE_EEEENSA_INSB_IlSD_SE_SE_EEEEZNS1_13binary_searchIS3_S5_NSA_INS8_10device_ptrIaEEEESG_SI_NS1_21lower_bound_search_opENS9_16wrapped_functionINS8_7greaterIaEEbEEEE10hipError_tPvRmT1_T2_T3_mmT4_T5_P12ihipStream_tbEUlRKaE_EESS_SW_SX_mSY_S11_bEUlT_E_NS1_11comp_targetILNS1_3genE8ELNS1_11target_archE1030ELNS1_3gpuE2ELNS1_3repE0EEENS1_30default_config_static_selectorELNS0_4arch9wavefront6targetE0EEEvSV_,"axG",@progbits,_ZN7rocprim17ROCPRIM_400000_NS6detail17trampoline_kernelINS0_14default_configENS1_27lower_bound_config_selectorIalEEZNS1_14transform_implILb0ES3_S5_N6thrust23THRUST_200600_302600_NS6detail15normal_iteratorINS8_7pointerIaNS8_11hip_rocprim3tagENS8_11use_defaultESE_EEEENSA_INSB_IlSD_SE_SE_EEEEZNS1_13binary_searchIS3_S5_NSA_INS8_10device_ptrIaEEEESG_SI_NS1_21lower_bound_search_opENS9_16wrapped_functionINS8_7greaterIaEEbEEEE10hipError_tPvRmT1_T2_T3_mmT4_T5_P12ihipStream_tbEUlRKaE_EESS_SW_SX_mSY_S11_bEUlT_E_NS1_11comp_targetILNS1_3genE8ELNS1_11target_archE1030ELNS1_3gpuE2ELNS1_3repE0EEENS1_30default_config_static_selectorELNS0_4arch9wavefront6targetE0EEEvSV_,comdat
.Lfunc_end9:
	.size	_ZN7rocprim17ROCPRIM_400000_NS6detail17trampoline_kernelINS0_14default_configENS1_27lower_bound_config_selectorIalEEZNS1_14transform_implILb0ES3_S5_N6thrust23THRUST_200600_302600_NS6detail15normal_iteratorINS8_7pointerIaNS8_11hip_rocprim3tagENS8_11use_defaultESE_EEEENSA_INSB_IlSD_SE_SE_EEEEZNS1_13binary_searchIS3_S5_NSA_INS8_10device_ptrIaEEEESG_SI_NS1_21lower_bound_search_opENS9_16wrapped_functionINS8_7greaterIaEEbEEEE10hipError_tPvRmT1_T2_T3_mmT4_T5_P12ihipStream_tbEUlRKaE_EESS_SW_SX_mSY_S11_bEUlT_E_NS1_11comp_targetILNS1_3genE8ELNS1_11target_archE1030ELNS1_3gpuE2ELNS1_3repE0EEENS1_30default_config_static_selectorELNS0_4arch9wavefront6targetE0EEEvSV_, .Lfunc_end9-_ZN7rocprim17ROCPRIM_400000_NS6detail17trampoline_kernelINS0_14default_configENS1_27lower_bound_config_selectorIalEEZNS1_14transform_implILb0ES3_S5_N6thrust23THRUST_200600_302600_NS6detail15normal_iteratorINS8_7pointerIaNS8_11hip_rocprim3tagENS8_11use_defaultESE_EEEENSA_INSB_IlSD_SE_SE_EEEEZNS1_13binary_searchIS3_S5_NSA_INS8_10device_ptrIaEEEESG_SI_NS1_21lower_bound_search_opENS9_16wrapped_functionINS8_7greaterIaEEbEEEE10hipError_tPvRmT1_T2_T3_mmT4_T5_P12ihipStream_tbEUlRKaE_EESS_SW_SX_mSY_S11_bEUlT_E_NS1_11comp_targetILNS1_3genE8ELNS1_11target_archE1030ELNS1_3gpuE2ELNS1_3repE0EEENS1_30default_config_static_selectorELNS0_4arch9wavefront6targetE0EEEvSV_
                                        ; -- End function
	.set _ZN7rocprim17ROCPRIM_400000_NS6detail17trampoline_kernelINS0_14default_configENS1_27lower_bound_config_selectorIalEEZNS1_14transform_implILb0ES3_S5_N6thrust23THRUST_200600_302600_NS6detail15normal_iteratorINS8_7pointerIaNS8_11hip_rocprim3tagENS8_11use_defaultESE_EEEENSA_INSB_IlSD_SE_SE_EEEEZNS1_13binary_searchIS3_S5_NSA_INS8_10device_ptrIaEEEESG_SI_NS1_21lower_bound_search_opENS9_16wrapped_functionINS8_7greaterIaEEbEEEE10hipError_tPvRmT1_T2_T3_mmT4_T5_P12ihipStream_tbEUlRKaE_EESS_SW_SX_mSY_S11_bEUlT_E_NS1_11comp_targetILNS1_3genE8ELNS1_11target_archE1030ELNS1_3gpuE2ELNS1_3repE0EEENS1_30default_config_static_selectorELNS0_4arch9wavefront6targetE0EEEvSV_.num_vgpr, 0
	.set _ZN7rocprim17ROCPRIM_400000_NS6detail17trampoline_kernelINS0_14default_configENS1_27lower_bound_config_selectorIalEEZNS1_14transform_implILb0ES3_S5_N6thrust23THRUST_200600_302600_NS6detail15normal_iteratorINS8_7pointerIaNS8_11hip_rocprim3tagENS8_11use_defaultESE_EEEENSA_INSB_IlSD_SE_SE_EEEEZNS1_13binary_searchIS3_S5_NSA_INS8_10device_ptrIaEEEESG_SI_NS1_21lower_bound_search_opENS9_16wrapped_functionINS8_7greaterIaEEbEEEE10hipError_tPvRmT1_T2_T3_mmT4_T5_P12ihipStream_tbEUlRKaE_EESS_SW_SX_mSY_S11_bEUlT_E_NS1_11comp_targetILNS1_3genE8ELNS1_11target_archE1030ELNS1_3gpuE2ELNS1_3repE0EEENS1_30default_config_static_selectorELNS0_4arch9wavefront6targetE0EEEvSV_.num_agpr, 0
	.set _ZN7rocprim17ROCPRIM_400000_NS6detail17trampoline_kernelINS0_14default_configENS1_27lower_bound_config_selectorIalEEZNS1_14transform_implILb0ES3_S5_N6thrust23THRUST_200600_302600_NS6detail15normal_iteratorINS8_7pointerIaNS8_11hip_rocprim3tagENS8_11use_defaultESE_EEEENSA_INSB_IlSD_SE_SE_EEEEZNS1_13binary_searchIS3_S5_NSA_INS8_10device_ptrIaEEEESG_SI_NS1_21lower_bound_search_opENS9_16wrapped_functionINS8_7greaterIaEEbEEEE10hipError_tPvRmT1_T2_T3_mmT4_T5_P12ihipStream_tbEUlRKaE_EESS_SW_SX_mSY_S11_bEUlT_E_NS1_11comp_targetILNS1_3genE8ELNS1_11target_archE1030ELNS1_3gpuE2ELNS1_3repE0EEENS1_30default_config_static_selectorELNS0_4arch9wavefront6targetE0EEEvSV_.numbered_sgpr, 0
	.set _ZN7rocprim17ROCPRIM_400000_NS6detail17trampoline_kernelINS0_14default_configENS1_27lower_bound_config_selectorIalEEZNS1_14transform_implILb0ES3_S5_N6thrust23THRUST_200600_302600_NS6detail15normal_iteratorINS8_7pointerIaNS8_11hip_rocprim3tagENS8_11use_defaultESE_EEEENSA_INSB_IlSD_SE_SE_EEEEZNS1_13binary_searchIS3_S5_NSA_INS8_10device_ptrIaEEEESG_SI_NS1_21lower_bound_search_opENS9_16wrapped_functionINS8_7greaterIaEEbEEEE10hipError_tPvRmT1_T2_T3_mmT4_T5_P12ihipStream_tbEUlRKaE_EESS_SW_SX_mSY_S11_bEUlT_E_NS1_11comp_targetILNS1_3genE8ELNS1_11target_archE1030ELNS1_3gpuE2ELNS1_3repE0EEENS1_30default_config_static_selectorELNS0_4arch9wavefront6targetE0EEEvSV_.num_named_barrier, 0
	.set _ZN7rocprim17ROCPRIM_400000_NS6detail17trampoline_kernelINS0_14default_configENS1_27lower_bound_config_selectorIalEEZNS1_14transform_implILb0ES3_S5_N6thrust23THRUST_200600_302600_NS6detail15normal_iteratorINS8_7pointerIaNS8_11hip_rocprim3tagENS8_11use_defaultESE_EEEENSA_INSB_IlSD_SE_SE_EEEEZNS1_13binary_searchIS3_S5_NSA_INS8_10device_ptrIaEEEESG_SI_NS1_21lower_bound_search_opENS9_16wrapped_functionINS8_7greaterIaEEbEEEE10hipError_tPvRmT1_T2_T3_mmT4_T5_P12ihipStream_tbEUlRKaE_EESS_SW_SX_mSY_S11_bEUlT_E_NS1_11comp_targetILNS1_3genE8ELNS1_11target_archE1030ELNS1_3gpuE2ELNS1_3repE0EEENS1_30default_config_static_selectorELNS0_4arch9wavefront6targetE0EEEvSV_.private_seg_size, 0
	.set _ZN7rocprim17ROCPRIM_400000_NS6detail17trampoline_kernelINS0_14default_configENS1_27lower_bound_config_selectorIalEEZNS1_14transform_implILb0ES3_S5_N6thrust23THRUST_200600_302600_NS6detail15normal_iteratorINS8_7pointerIaNS8_11hip_rocprim3tagENS8_11use_defaultESE_EEEENSA_INSB_IlSD_SE_SE_EEEEZNS1_13binary_searchIS3_S5_NSA_INS8_10device_ptrIaEEEESG_SI_NS1_21lower_bound_search_opENS9_16wrapped_functionINS8_7greaterIaEEbEEEE10hipError_tPvRmT1_T2_T3_mmT4_T5_P12ihipStream_tbEUlRKaE_EESS_SW_SX_mSY_S11_bEUlT_E_NS1_11comp_targetILNS1_3genE8ELNS1_11target_archE1030ELNS1_3gpuE2ELNS1_3repE0EEENS1_30default_config_static_selectorELNS0_4arch9wavefront6targetE0EEEvSV_.uses_vcc, 0
	.set _ZN7rocprim17ROCPRIM_400000_NS6detail17trampoline_kernelINS0_14default_configENS1_27lower_bound_config_selectorIalEEZNS1_14transform_implILb0ES3_S5_N6thrust23THRUST_200600_302600_NS6detail15normal_iteratorINS8_7pointerIaNS8_11hip_rocprim3tagENS8_11use_defaultESE_EEEENSA_INSB_IlSD_SE_SE_EEEEZNS1_13binary_searchIS3_S5_NSA_INS8_10device_ptrIaEEEESG_SI_NS1_21lower_bound_search_opENS9_16wrapped_functionINS8_7greaterIaEEbEEEE10hipError_tPvRmT1_T2_T3_mmT4_T5_P12ihipStream_tbEUlRKaE_EESS_SW_SX_mSY_S11_bEUlT_E_NS1_11comp_targetILNS1_3genE8ELNS1_11target_archE1030ELNS1_3gpuE2ELNS1_3repE0EEENS1_30default_config_static_selectorELNS0_4arch9wavefront6targetE0EEEvSV_.uses_flat_scratch, 0
	.set _ZN7rocprim17ROCPRIM_400000_NS6detail17trampoline_kernelINS0_14default_configENS1_27lower_bound_config_selectorIalEEZNS1_14transform_implILb0ES3_S5_N6thrust23THRUST_200600_302600_NS6detail15normal_iteratorINS8_7pointerIaNS8_11hip_rocprim3tagENS8_11use_defaultESE_EEEENSA_INSB_IlSD_SE_SE_EEEEZNS1_13binary_searchIS3_S5_NSA_INS8_10device_ptrIaEEEESG_SI_NS1_21lower_bound_search_opENS9_16wrapped_functionINS8_7greaterIaEEbEEEE10hipError_tPvRmT1_T2_T3_mmT4_T5_P12ihipStream_tbEUlRKaE_EESS_SW_SX_mSY_S11_bEUlT_E_NS1_11comp_targetILNS1_3genE8ELNS1_11target_archE1030ELNS1_3gpuE2ELNS1_3repE0EEENS1_30default_config_static_selectorELNS0_4arch9wavefront6targetE0EEEvSV_.has_dyn_sized_stack, 0
	.set _ZN7rocprim17ROCPRIM_400000_NS6detail17trampoline_kernelINS0_14default_configENS1_27lower_bound_config_selectorIalEEZNS1_14transform_implILb0ES3_S5_N6thrust23THRUST_200600_302600_NS6detail15normal_iteratorINS8_7pointerIaNS8_11hip_rocprim3tagENS8_11use_defaultESE_EEEENSA_INSB_IlSD_SE_SE_EEEEZNS1_13binary_searchIS3_S5_NSA_INS8_10device_ptrIaEEEESG_SI_NS1_21lower_bound_search_opENS9_16wrapped_functionINS8_7greaterIaEEbEEEE10hipError_tPvRmT1_T2_T3_mmT4_T5_P12ihipStream_tbEUlRKaE_EESS_SW_SX_mSY_S11_bEUlT_E_NS1_11comp_targetILNS1_3genE8ELNS1_11target_archE1030ELNS1_3gpuE2ELNS1_3repE0EEENS1_30default_config_static_selectorELNS0_4arch9wavefront6targetE0EEEvSV_.has_recursion, 0
	.set _ZN7rocprim17ROCPRIM_400000_NS6detail17trampoline_kernelINS0_14default_configENS1_27lower_bound_config_selectorIalEEZNS1_14transform_implILb0ES3_S5_N6thrust23THRUST_200600_302600_NS6detail15normal_iteratorINS8_7pointerIaNS8_11hip_rocprim3tagENS8_11use_defaultESE_EEEENSA_INSB_IlSD_SE_SE_EEEEZNS1_13binary_searchIS3_S5_NSA_INS8_10device_ptrIaEEEESG_SI_NS1_21lower_bound_search_opENS9_16wrapped_functionINS8_7greaterIaEEbEEEE10hipError_tPvRmT1_T2_T3_mmT4_T5_P12ihipStream_tbEUlRKaE_EESS_SW_SX_mSY_S11_bEUlT_E_NS1_11comp_targetILNS1_3genE8ELNS1_11target_archE1030ELNS1_3gpuE2ELNS1_3repE0EEENS1_30default_config_static_selectorELNS0_4arch9wavefront6targetE0EEEvSV_.has_indirect_call, 0
	.section	.AMDGPU.csdata,"",@progbits
; Kernel info:
; codeLenInByte = 0
; TotalNumSgprs: 0
; NumVgprs: 0
; ScratchSize: 0
; MemoryBound: 0
; FloatMode: 240
; IeeeMode: 1
; LDSByteSize: 0 bytes/workgroup (compile time only)
; SGPRBlocks: 0
; VGPRBlocks: 0
; NumSGPRsForWavesPerEU: 1
; NumVGPRsForWavesPerEU: 1
; NamedBarCnt: 0
; Occupancy: 16
; WaveLimiterHint : 0
; COMPUTE_PGM_RSRC2:SCRATCH_EN: 0
; COMPUTE_PGM_RSRC2:USER_SGPR: 2
; COMPUTE_PGM_RSRC2:TRAP_HANDLER: 0
; COMPUTE_PGM_RSRC2:TGID_X_EN: 1
; COMPUTE_PGM_RSRC2:TGID_Y_EN: 0
; COMPUTE_PGM_RSRC2:TGID_Z_EN: 0
; COMPUTE_PGM_RSRC2:TIDIG_COMP_CNT: 0
	.section	.text._ZN6thrust23THRUST_200600_302600_NS11hip_rocprim14__parallel_for6kernelILj256ENS1_20__uninitialized_fill7functorINS0_10device_ptrIsEEsEEmLj1EEEvT0_T1_SA_,"axG",@progbits,_ZN6thrust23THRUST_200600_302600_NS11hip_rocprim14__parallel_for6kernelILj256ENS1_20__uninitialized_fill7functorINS0_10device_ptrIsEEsEEmLj1EEEvT0_T1_SA_,comdat
	.protected	_ZN6thrust23THRUST_200600_302600_NS11hip_rocprim14__parallel_for6kernelILj256ENS1_20__uninitialized_fill7functorINS0_10device_ptrIsEEsEEmLj1EEEvT0_T1_SA_ ; -- Begin function _ZN6thrust23THRUST_200600_302600_NS11hip_rocprim14__parallel_for6kernelILj256ENS1_20__uninitialized_fill7functorINS0_10device_ptrIsEEsEEmLj1EEEvT0_T1_SA_
	.globl	_ZN6thrust23THRUST_200600_302600_NS11hip_rocprim14__parallel_for6kernelILj256ENS1_20__uninitialized_fill7functorINS0_10device_ptrIsEEsEEmLj1EEEvT0_T1_SA_
	.p2align	8
	.type	_ZN6thrust23THRUST_200600_302600_NS11hip_rocprim14__parallel_for6kernelILj256ENS1_20__uninitialized_fill7functorINS0_10device_ptrIsEEsEEmLj1EEEvT0_T1_SA_,@function
_ZN6thrust23THRUST_200600_302600_NS11hip_rocprim14__parallel_for6kernelILj256ENS1_20__uninitialized_fill7functorINS0_10device_ptrIsEEsEEmLj1EEEvT0_T1_SA_: ; @_ZN6thrust23THRUST_200600_302600_NS11hip_rocprim14__parallel_for6kernelILj256ENS1_20__uninitialized_fill7functorINS0_10device_ptrIsEEsEEmLj1EEEvT0_T1_SA_
; %bb.0:
	s_load_b128 s[8:11], s[0:1], 0x10
	s_bfe_u32 s2, ttmp6, 0x4000c
	s_and_b32 s3, ttmp6, 15
	s_add_co_i32 s2, s2, 1
	s_getreg_b32 s4, hwreg(HW_REG_IB_STS2, 6, 4)
	s_mul_i32 s2, ttmp9, s2
	s_delay_alu instid0(SALU_CYCLE_1)
	s_add_co_i32 s3, s3, s2
	s_cmp_eq_u32 s4, 0
	s_load_b96 s[4:6], s[0:1], 0x0
	s_wait_xcnt 0x0
	s_cselect_b32 s0, ttmp9, s3
	s_mov_b32 s1, 0
	s_lshl_b32 s0, s0, 8
	s_wait_kmcnt 0x0
	s_add_nc_u64 s[0:1], s[10:11], s[0:1]
	s_delay_alu instid0(SALU_CYCLE_1) | instskip(NEXT) | instid1(SALU_CYCLE_1)
	s_sub_nc_u64 s[2:3], s[8:9], s[0:1]
	v_cmp_lt_u64_e64 s3, 0xff, s[2:3]
	s_and_b32 vcc_lo, exec_lo, s3
	s_mov_b32 s3, -1
	s_cbranch_vccz .LBB10_3
; %bb.1:
	s_and_not1_b32 vcc_lo, exec_lo, s3
	s_cbranch_vccz .LBB10_6
.LBB10_2:
	s_endpgm
.LBB10_3:
	v_cmp_gt_u32_e32 vcc_lo, s2, v0
	s_and_saveexec_b32 s2, vcc_lo
	s_cbranch_execz .LBB10_5
; %bb.4:
	v_mov_b32_e32 v1, s6
	s_lshl_b64 s[8:9], s[0:1], 1
	s_delay_alu instid0(SALU_CYCLE_1)
	s_add_nc_u64 s[8:9], s[4:5], s[8:9]
	flat_store_b16 v0, v1, s[8:9] scale_offset
.LBB10_5:
	s_wait_xcnt 0x0
	s_or_b32 exec_lo, exec_lo, s2
	s_cbranch_execnz .LBB10_2
.LBB10_6:
	v_mov_b32_e32 v1, s6
	s_lshl_b64 s[0:1], s[0:1], 1
	s_delay_alu instid0(SALU_CYCLE_1)
	s_add_nc_u64 s[0:1], s[4:5], s[0:1]
	flat_store_b16 v0, v1, s[0:1] scale_offset
	s_endpgm
	.section	.rodata,"a",@progbits
	.p2align	6, 0x0
	.amdhsa_kernel _ZN6thrust23THRUST_200600_302600_NS11hip_rocprim14__parallel_for6kernelILj256ENS1_20__uninitialized_fill7functorINS0_10device_ptrIsEEsEEmLj1EEEvT0_T1_SA_
		.amdhsa_group_segment_fixed_size 0
		.amdhsa_private_segment_fixed_size 0
		.amdhsa_kernarg_size 32
		.amdhsa_user_sgpr_count 2
		.amdhsa_user_sgpr_dispatch_ptr 0
		.amdhsa_user_sgpr_queue_ptr 0
		.amdhsa_user_sgpr_kernarg_segment_ptr 1
		.amdhsa_user_sgpr_dispatch_id 0
		.amdhsa_user_sgpr_kernarg_preload_length 0
		.amdhsa_user_sgpr_kernarg_preload_offset 0
		.amdhsa_user_sgpr_private_segment_size 0
		.amdhsa_wavefront_size32 1
		.amdhsa_uses_dynamic_stack 0
		.amdhsa_enable_private_segment 0
		.amdhsa_system_sgpr_workgroup_id_x 1
		.amdhsa_system_sgpr_workgroup_id_y 0
		.amdhsa_system_sgpr_workgroup_id_z 0
		.amdhsa_system_sgpr_workgroup_info 0
		.amdhsa_system_vgpr_workitem_id 0
		.amdhsa_next_free_vgpr 2
		.amdhsa_next_free_sgpr 12
		.amdhsa_named_barrier_count 0
		.amdhsa_reserve_vcc 1
		.amdhsa_float_round_mode_32 0
		.amdhsa_float_round_mode_16_64 0
		.amdhsa_float_denorm_mode_32 3
		.amdhsa_float_denorm_mode_16_64 3
		.amdhsa_fp16_overflow 0
		.amdhsa_memory_ordered 1
		.amdhsa_forward_progress 1
		.amdhsa_inst_pref_size 2
		.amdhsa_round_robin_scheduling 0
		.amdhsa_exception_fp_ieee_invalid_op 0
		.amdhsa_exception_fp_denorm_src 0
		.amdhsa_exception_fp_ieee_div_zero 0
		.amdhsa_exception_fp_ieee_overflow 0
		.amdhsa_exception_fp_ieee_underflow 0
		.amdhsa_exception_fp_ieee_inexact 0
		.amdhsa_exception_int_div_zero 0
	.end_amdhsa_kernel
	.section	.text._ZN6thrust23THRUST_200600_302600_NS11hip_rocprim14__parallel_for6kernelILj256ENS1_20__uninitialized_fill7functorINS0_10device_ptrIsEEsEEmLj1EEEvT0_T1_SA_,"axG",@progbits,_ZN6thrust23THRUST_200600_302600_NS11hip_rocprim14__parallel_for6kernelILj256ENS1_20__uninitialized_fill7functorINS0_10device_ptrIsEEsEEmLj1EEEvT0_T1_SA_,comdat
.Lfunc_end10:
	.size	_ZN6thrust23THRUST_200600_302600_NS11hip_rocprim14__parallel_for6kernelILj256ENS1_20__uninitialized_fill7functorINS0_10device_ptrIsEEsEEmLj1EEEvT0_T1_SA_, .Lfunc_end10-_ZN6thrust23THRUST_200600_302600_NS11hip_rocprim14__parallel_for6kernelILj256ENS1_20__uninitialized_fill7functorINS0_10device_ptrIsEEsEEmLj1EEEvT0_T1_SA_
                                        ; -- End function
	.set _ZN6thrust23THRUST_200600_302600_NS11hip_rocprim14__parallel_for6kernelILj256ENS1_20__uninitialized_fill7functorINS0_10device_ptrIsEEsEEmLj1EEEvT0_T1_SA_.num_vgpr, 2
	.set _ZN6thrust23THRUST_200600_302600_NS11hip_rocprim14__parallel_for6kernelILj256ENS1_20__uninitialized_fill7functorINS0_10device_ptrIsEEsEEmLj1EEEvT0_T1_SA_.num_agpr, 0
	.set _ZN6thrust23THRUST_200600_302600_NS11hip_rocprim14__parallel_for6kernelILj256ENS1_20__uninitialized_fill7functorINS0_10device_ptrIsEEsEEmLj1EEEvT0_T1_SA_.numbered_sgpr, 12
	.set _ZN6thrust23THRUST_200600_302600_NS11hip_rocprim14__parallel_for6kernelILj256ENS1_20__uninitialized_fill7functorINS0_10device_ptrIsEEsEEmLj1EEEvT0_T1_SA_.num_named_barrier, 0
	.set _ZN6thrust23THRUST_200600_302600_NS11hip_rocprim14__parallel_for6kernelILj256ENS1_20__uninitialized_fill7functorINS0_10device_ptrIsEEsEEmLj1EEEvT0_T1_SA_.private_seg_size, 0
	.set _ZN6thrust23THRUST_200600_302600_NS11hip_rocprim14__parallel_for6kernelILj256ENS1_20__uninitialized_fill7functorINS0_10device_ptrIsEEsEEmLj1EEEvT0_T1_SA_.uses_vcc, 1
	.set _ZN6thrust23THRUST_200600_302600_NS11hip_rocprim14__parallel_for6kernelILj256ENS1_20__uninitialized_fill7functorINS0_10device_ptrIsEEsEEmLj1EEEvT0_T1_SA_.uses_flat_scratch, 0
	.set _ZN6thrust23THRUST_200600_302600_NS11hip_rocprim14__parallel_for6kernelILj256ENS1_20__uninitialized_fill7functorINS0_10device_ptrIsEEsEEmLj1EEEvT0_T1_SA_.has_dyn_sized_stack, 0
	.set _ZN6thrust23THRUST_200600_302600_NS11hip_rocprim14__parallel_for6kernelILj256ENS1_20__uninitialized_fill7functorINS0_10device_ptrIsEEsEEmLj1EEEvT0_T1_SA_.has_recursion, 0
	.set _ZN6thrust23THRUST_200600_302600_NS11hip_rocprim14__parallel_for6kernelILj256ENS1_20__uninitialized_fill7functorINS0_10device_ptrIsEEsEEmLj1EEEvT0_T1_SA_.has_indirect_call, 0
	.section	.AMDGPU.csdata,"",@progbits
; Kernel info:
; codeLenInByte = 204
; TotalNumSgprs: 14
; NumVgprs: 2
; ScratchSize: 0
; MemoryBound: 0
; FloatMode: 240
; IeeeMode: 1
; LDSByteSize: 0 bytes/workgroup (compile time only)
; SGPRBlocks: 0
; VGPRBlocks: 0
; NumSGPRsForWavesPerEU: 14
; NumVGPRsForWavesPerEU: 2
; NamedBarCnt: 0
; Occupancy: 16
; WaveLimiterHint : 0
; COMPUTE_PGM_RSRC2:SCRATCH_EN: 0
; COMPUTE_PGM_RSRC2:USER_SGPR: 2
; COMPUTE_PGM_RSRC2:TRAP_HANDLER: 0
; COMPUTE_PGM_RSRC2:TGID_X_EN: 1
; COMPUTE_PGM_RSRC2:TGID_Y_EN: 0
; COMPUTE_PGM_RSRC2:TGID_Z_EN: 0
; COMPUTE_PGM_RSRC2:TIDIG_COMP_CNT: 0
	.section	.text._ZN7rocprim17ROCPRIM_400000_NS6detail17trampoline_kernelINS0_14default_configENS1_27lower_bound_config_selectorIslEEZNS1_14transform_implILb0ES3_S5_N6thrust23THRUST_200600_302600_NS6detail15normal_iteratorINS8_7pointerIsNS8_11hip_rocprim3tagENS8_11use_defaultESE_EEEENSA_INSB_IlSD_SE_SE_EEEEZNS1_13binary_searchIS3_S5_NSA_INS8_10device_ptrIsEEEESG_SI_NS1_21lower_bound_search_opENS9_16wrapped_functionINS8_7greaterIsEEbEEEE10hipError_tPvRmT1_T2_T3_mmT4_T5_P12ihipStream_tbEUlRKsE_EESS_SW_SX_mSY_S11_bEUlT_E_NS1_11comp_targetILNS1_3genE0ELNS1_11target_archE4294967295ELNS1_3gpuE0ELNS1_3repE0EEENS1_30default_config_static_selectorELNS0_4arch9wavefront6targetE0EEEvSV_,"axG",@progbits,_ZN7rocprim17ROCPRIM_400000_NS6detail17trampoline_kernelINS0_14default_configENS1_27lower_bound_config_selectorIslEEZNS1_14transform_implILb0ES3_S5_N6thrust23THRUST_200600_302600_NS6detail15normal_iteratorINS8_7pointerIsNS8_11hip_rocprim3tagENS8_11use_defaultESE_EEEENSA_INSB_IlSD_SE_SE_EEEEZNS1_13binary_searchIS3_S5_NSA_INS8_10device_ptrIsEEEESG_SI_NS1_21lower_bound_search_opENS9_16wrapped_functionINS8_7greaterIsEEbEEEE10hipError_tPvRmT1_T2_T3_mmT4_T5_P12ihipStream_tbEUlRKsE_EESS_SW_SX_mSY_S11_bEUlT_E_NS1_11comp_targetILNS1_3genE0ELNS1_11target_archE4294967295ELNS1_3gpuE0ELNS1_3repE0EEENS1_30default_config_static_selectorELNS0_4arch9wavefront6targetE0EEEvSV_,comdat
	.protected	_ZN7rocprim17ROCPRIM_400000_NS6detail17trampoline_kernelINS0_14default_configENS1_27lower_bound_config_selectorIslEEZNS1_14transform_implILb0ES3_S5_N6thrust23THRUST_200600_302600_NS6detail15normal_iteratorINS8_7pointerIsNS8_11hip_rocprim3tagENS8_11use_defaultESE_EEEENSA_INSB_IlSD_SE_SE_EEEEZNS1_13binary_searchIS3_S5_NSA_INS8_10device_ptrIsEEEESG_SI_NS1_21lower_bound_search_opENS9_16wrapped_functionINS8_7greaterIsEEbEEEE10hipError_tPvRmT1_T2_T3_mmT4_T5_P12ihipStream_tbEUlRKsE_EESS_SW_SX_mSY_S11_bEUlT_E_NS1_11comp_targetILNS1_3genE0ELNS1_11target_archE4294967295ELNS1_3gpuE0ELNS1_3repE0EEENS1_30default_config_static_selectorELNS0_4arch9wavefront6targetE0EEEvSV_ ; -- Begin function _ZN7rocprim17ROCPRIM_400000_NS6detail17trampoline_kernelINS0_14default_configENS1_27lower_bound_config_selectorIslEEZNS1_14transform_implILb0ES3_S5_N6thrust23THRUST_200600_302600_NS6detail15normal_iteratorINS8_7pointerIsNS8_11hip_rocprim3tagENS8_11use_defaultESE_EEEENSA_INSB_IlSD_SE_SE_EEEEZNS1_13binary_searchIS3_S5_NSA_INS8_10device_ptrIsEEEESG_SI_NS1_21lower_bound_search_opENS9_16wrapped_functionINS8_7greaterIsEEbEEEE10hipError_tPvRmT1_T2_T3_mmT4_T5_P12ihipStream_tbEUlRKsE_EESS_SW_SX_mSY_S11_bEUlT_E_NS1_11comp_targetILNS1_3genE0ELNS1_11target_archE4294967295ELNS1_3gpuE0ELNS1_3repE0EEENS1_30default_config_static_selectorELNS0_4arch9wavefront6targetE0EEEvSV_
	.globl	_ZN7rocprim17ROCPRIM_400000_NS6detail17trampoline_kernelINS0_14default_configENS1_27lower_bound_config_selectorIslEEZNS1_14transform_implILb0ES3_S5_N6thrust23THRUST_200600_302600_NS6detail15normal_iteratorINS8_7pointerIsNS8_11hip_rocprim3tagENS8_11use_defaultESE_EEEENSA_INSB_IlSD_SE_SE_EEEEZNS1_13binary_searchIS3_S5_NSA_INS8_10device_ptrIsEEEESG_SI_NS1_21lower_bound_search_opENS9_16wrapped_functionINS8_7greaterIsEEbEEEE10hipError_tPvRmT1_T2_T3_mmT4_T5_P12ihipStream_tbEUlRKsE_EESS_SW_SX_mSY_S11_bEUlT_E_NS1_11comp_targetILNS1_3genE0ELNS1_11target_archE4294967295ELNS1_3gpuE0ELNS1_3repE0EEENS1_30default_config_static_selectorELNS0_4arch9wavefront6targetE0EEEvSV_
	.p2align	8
	.type	_ZN7rocprim17ROCPRIM_400000_NS6detail17trampoline_kernelINS0_14default_configENS1_27lower_bound_config_selectorIslEEZNS1_14transform_implILb0ES3_S5_N6thrust23THRUST_200600_302600_NS6detail15normal_iteratorINS8_7pointerIsNS8_11hip_rocprim3tagENS8_11use_defaultESE_EEEENSA_INSB_IlSD_SE_SE_EEEEZNS1_13binary_searchIS3_S5_NSA_INS8_10device_ptrIsEEEESG_SI_NS1_21lower_bound_search_opENS9_16wrapped_functionINS8_7greaterIsEEbEEEE10hipError_tPvRmT1_T2_T3_mmT4_T5_P12ihipStream_tbEUlRKsE_EESS_SW_SX_mSY_S11_bEUlT_E_NS1_11comp_targetILNS1_3genE0ELNS1_11target_archE4294967295ELNS1_3gpuE0ELNS1_3repE0EEENS1_30default_config_static_selectorELNS0_4arch9wavefront6targetE0EEEvSV_,@function
_ZN7rocprim17ROCPRIM_400000_NS6detail17trampoline_kernelINS0_14default_configENS1_27lower_bound_config_selectorIslEEZNS1_14transform_implILb0ES3_S5_N6thrust23THRUST_200600_302600_NS6detail15normal_iteratorINS8_7pointerIsNS8_11hip_rocprim3tagENS8_11use_defaultESE_EEEENSA_INSB_IlSD_SE_SE_EEEEZNS1_13binary_searchIS3_S5_NSA_INS8_10device_ptrIsEEEESG_SI_NS1_21lower_bound_search_opENS9_16wrapped_functionINS8_7greaterIsEEbEEEE10hipError_tPvRmT1_T2_T3_mmT4_T5_P12ihipStream_tbEUlRKsE_EESS_SW_SX_mSY_S11_bEUlT_E_NS1_11comp_targetILNS1_3genE0ELNS1_11target_archE4294967295ELNS1_3gpuE0ELNS1_3repE0EEENS1_30default_config_static_selectorELNS0_4arch9wavefront6targetE0EEEvSV_: ; @_ZN7rocprim17ROCPRIM_400000_NS6detail17trampoline_kernelINS0_14default_configENS1_27lower_bound_config_selectorIslEEZNS1_14transform_implILb0ES3_S5_N6thrust23THRUST_200600_302600_NS6detail15normal_iteratorINS8_7pointerIsNS8_11hip_rocprim3tagENS8_11use_defaultESE_EEEENSA_INSB_IlSD_SE_SE_EEEEZNS1_13binary_searchIS3_S5_NSA_INS8_10device_ptrIsEEEESG_SI_NS1_21lower_bound_search_opENS9_16wrapped_functionINS8_7greaterIsEEbEEEE10hipError_tPvRmT1_T2_T3_mmT4_T5_P12ihipStream_tbEUlRKsE_EESS_SW_SX_mSY_S11_bEUlT_E_NS1_11comp_targetILNS1_3genE0ELNS1_11target_archE4294967295ELNS1_3gpuE0ELNS1_3repE0EEENS1_30default_config_static_selectorELNS0_4arch9wavefront6targetE0EEEvSV_
; %bb.0:
	s_load_b256 s[4:11], s[0:1], 0x0
	s_wait_kmcnt 0x0
	s_clause 0x1
	s_load_b32 s9, s[0:1], 0x38
	s_load_b128 s[12:15], s[0:1], 0x20
	s_wait_xcnt 0x0
	s_bfe_u32 s0, ttmp6, 0x4000c
	s_and_b32 s1, ttmp6, 15
	s_add_co_i32 s0, s0, 1
	s_getreg_b32 s16, hwreg(HW_REG_IB_STS2, 6, 4)
	s_mul_i32 s0, ttmp9, s0
	s_mov_b32 s17, 0
	s_add_co_i32 s18, s1, s0
	s_lshl_b64 s[0:1], s[6:7], 1
	s_lshl_b64 s[2:3], s[6:7], 3
	s_cmp_eq_u32 s16, 0
	s_add_nc_u64 s[6:7], s[4:5], s[0:1]
	s_cselect_b32 s1, ttmp9, s18
	s_add_nc_u64 s[4:5], s[10:11], s[2:3]
	s_lshl_b32 s16, s1, 10
	s_wait_kmcnt 0x0
	s_add_co_i32 s9, s9, -1
	s_lshl_b64 s[2:3], s[16:17], 1
	s_mov_b32 s0, -1
	s_cmp_lg_u32 s1, s9
	s_add_nc_u64 s[6:7], s[6:7], s[2:3]
	s_cbranch_scc0 .LBB11_5
; %bb.1:
	s_clause 0x2
	flat_load_u16 v8, v0, s[6:7] offset:512 scale_offset
	flat_load_u16 v10, v0, s[6:7] offset:1024 scale_offset
	;; [unrolled: 1-line block ×3, first 2 shown]
	v_mov_b32_e32 v3, 0
	s_cmp_lg_u64 s[14:15], 0
	s_cselect_b32 s0, -1, 0
	s_cmp_eq_u64 s[14:15], 0
	s_cbranch_scc1 .LBB11_6
; %bb.2:
	v_lshlrev_b32_e32 v2, 1, v0
	v_mov_b64_e32 v[4:5], s[14:15]
	s_mov_b32 s1, 0
	s_delay_alu instid0(VALU_DEP_2)
	v_add_nc_u64_e32 v[2:3], s[6:7], v[2:3]
	flat_load_u16 v6, v[2:3]
	s_wait_xcnt 0x0
	v_mov_b64_e32 v[2:3], 0
.LBB11_3:                               ; =>This Inner Loop Header: Depth=1
	s_delay_alu instid0(VALU_DEP_1) | instskip(NEXT) | instid1(VALU_DEP_1)
	v_sub_nc_u64_e32 v[12:13], v[4:5], v[2:3]
	v_lshrrev_b64 v[14:15], 1, v[12:13]
	v_lshrrev_b64 v[12:13], 6, v[12:13]
	s_delay_alu instid0(VALU_DEP_2) | instskip(NEXT) | instid1(VALU_DEP_1)
	v_add_nc_u64_e32 v[14:15], v[14:15], v[2:3]
	v_add_nc_u64_e32 v[12:13], v[14:15], v[12:13]
	s_delay_alu instid0(VALU_DEP_1)
	v_lshl_add_u64 v[14:15], v[12:13], 1, s[12:13]
	global_load_u16 v7, v[14:15], off
	s_wait_xcnt 0x0
	v_add_nc_u64_e32 v[14:15], 1, v[12:13]
	s_wait_loadcnt_dscnt 0x0
	v_cmp_gt_i16_e32 vcc_lo, v7, v6
	v_dual_cndmask_b32 v5, v13, v5 :: v_dual_cndmask_b32 v4, v12, v4
	s_delay_alu instid0(VALU_DEP_3) | instskip(NEXT) | instid1(VALU_DEP_1)
	v_dual_cndmask_b32 v3, v3, v15 :: v_dual_cndmask_b32 v2, v2, v14
	v_cmp_ge_u64_e32 vcc_lo, v[2:3], v[4:5]
	s_or_b32 s1, vcc_lo, s1
	s_delay_alu instid0(SALU_CYCLE_1)
	s_and_not1_b32 exec_lo, exec_lo, s1
	s_cbranch_execnz .LBB11_3
; %bb.4:
	s_or_b32 exec_lo, exec_lo, s1
	v_mov_b64_e32 v[4:5], 0
	v_cndmask_b32_e64 v11, 0, 1, s0
	s_and_not1_b32 vcc_lo, exec_lo, s0
	s_cbranch_vccz .LBB11_7
	s_branch .LBB11_10
.LBB11_5:
	s_mov_b32 s3, s17
                                        ; implicit-def: $vgpr8_vgpr9
                                        ; implicit-def: $vgpr12_vgpr13
	s_and_b32 vcc_lo, exec_lo, s0
	s_cbranch_vccnz .LBB11_19
	s_branch .LBB11_52
.LBB11_6:
	v_mov_b64_e32 v[2:3], 0
	v_mov_b64_e32 v[4:5], 0
	v_cndmask_b32_e64 v11, 0, 1, s0
	s_and_not1_b32 vcc_lo, exec_lo, s0
	s_cbranch_vccnz .LBB11_10
.LBB11_7:
	v_mov_b64_e32 v[6:7], s[14:15]
	s_mov_b32 s0, 0
.LBB11_8:                               ; =>This Inner Loop Header: Depth=1
	s_delay_alu instid0(VALU_DEP_1) | instskip(NEXT) | instid1(VALU_DEP_1)
	v_sub_nc_u64_e32 v[12:13], v[6:7], v[4:5]
	v_lshrrev_b64 v[14:15], 1, v[12:13]
	v_lshrrev_b64 v[12:13], 6, v[12:13]
	s_delay_alu instid0(VALU_DEP_2) | instskip(NEXT) | instid1(VALU_DEP_1)
	v_add_nc_u64_e32 v[14:15], v[14:15], v[4:5]
	v_add_nc_u64_e32 v[12:13], v[14:15], v[12:13]
	s_delay_alu instid0(VALU_DEP_1)
	v_lshl_add_u64 v[14:15], v[12:13], 1, s[12:13]
	global_load_u16 v9, v[14:15], off
	s_wait_xcnt 0x0
	v_add_nc_u64_e32 v[14:15], 1, v[12:13]
	s_wait_loadcnt_dscnt 0x2
	v_cmp_gt_i16_e32 vcc_lo, v9, v8
	v_dual_cndmask_b32 v7, v13, v7 :: v_dual_cndmask_b32 v6, v12, v6
	s_delay_alu instid0(VALU_DEP_3) | instskip(NEXT) | instid1(VALU_DEP_1)
	v_dual_cndmask_b32 v5, v5, v15 :: v_dual_cndmask_b32 v4, v4, v14
	v_cmp_ge_u64_e32 vcc_lo, v[4:5], v[6:7]
	s_or_b32 s0, vcc_lo, s0
	s_delay_alu instid0(SALU_CYCLE_1)
	s_and_not1_b32 exec_lo, exec_lo, s0
	s_cbranch_execnz .LBB11_8
; %bb.9:
	s_or_b32 exec_lo, exec_lo, s0
.LBB11_10:
	s_delay_alu instid0(VALU_DEP_1)
	v_cmp_ne_u32_e32 vcc_lo, 1, v11
	v_mov_b64_e32 v[6:7], 0
	s_cbranch_vccnz .LBB11_14
; %bb.11:
	s_wait_loadcnt_dscnt 0x202
	v_mov_b64_e32 v[8:9], s[14:15]
	s_mov_b32 s0, 0
.LBB11_12:                              ; =>This Inner Loop Header: Depth=1
	s_delay_alu instid0(VALU_DEP_1) | instskip(NEXT) | instid1(VALU_DEP_1)
	v_sub_nc_u64_e32 v[12:13], v[8:9], v[6:7]
	v_lshrrev_b64 v[14:15], 1, v[12:13]
	v_lshrrev_b64 v[12:13], 6, v[12:13]
	s_delay_alu instid0(VALU_DEP_2) | instskip(NEXT) | instid1(VALU_DEP_1)
	v_add_nc_u64_e32 v[14:15], v[14:15], v[6:7]
	v_add_nc_u64_e32 v[12:13], v[14:15], v[12:13]
	s_delay_alu instid0(VALU_DEP_1)
	v_lshl_add_u64 v[14:15], v[12:13], 1, s[12:13]
	global_load_u16 v16, v[14:15], off
	s_wait_xcnt 0x0
	v_add_nc_u64_e32 v[14:15], 1, v[12:13]
	s_wait_loadcnt_dscnt 0x1
	v_cmp_gt_i16_e32 vcc_lo, v16, v10
	v_dual_cndmask_b32 v9, v13, v9 :: v_dual_cndmask_b32 v8, v12, v8
	s_delay_alu instid0(VALU_DEP_3) | instskip(NEXT) | instid1(VALU_DEP_1)
	v_dual_cndmask_b32 v7, v7, v15 :: v_dual_cndmask_b32 v6, v6, v14
	v_cmp_ge_u64_e32 vcc_lo, v[6:7], v[8:9]
	s_or_b32 s0, vcc_lo, s0
	s_delay_alu instid0(SALU_CYCLE_1)
	s_and_not1_b32 exec_lo, exec_lo, s0
	s_cbranch_execnz .LBB11_12
; %bb.13:
	s_or_b32 exec_lo, exec_lo, s0
.LBB11_14:
	v_cmp_ne_u32_e32 vcc_lo, 1, v11
	s_wait_loadcnt_dscnt 0x202
	v_mov_b64_e32 v[8:9], 0
	s_cbranch_vccnz .LBB11_18
; %bb.15:
	s_wait_loadcnt_dscnt 0x101
	v_mov_b64_e32 v[10:11], s[14:15]
	s_mov_b32 s0, 0
.LBB11_16:                              ; =>This Inner Loop Header: Depth=1
	s_delay_alu instid0(VALU_DEP_1) | instskip(NEXT) | instid1(VALU_DEP_1)
	v_sub_nc_u64_e32 v[12:13], v[10:11], v[8:9]
	v_lshrrev_b64 v[14:15], 1, v[12:13]
	v_lshrrev_b64 v[12:13], 6, v[12:13]
	s_delay_alu instid0(VALU_DEP_2) | instskip(NEXT) | instid1(VALU_DEP_1)
	v_add_nc_u64_e32 v[14:15], v[14:15], v[8:9]
	v_add_nc_u64_e32 v[12:13], v[14:15], v[12:13]
	s_delay_alu instid0(VALU_DEP_1)
	v_lshl_add_u64 v[14:15], v[12:13], 1, s[12:13]
	global_load_u16 v16, v[14:15], off
	s_wait_xcnt 0x0
	v_add_nc_u64_e32 v[14:15], 1, v[12:13]
	s_wait_loadcnt_dscnt 0x0
	v_cmp_gt_i16_e32 vcc_lo, v16, v1
	v_dual_cndmask_b32 v11, v13, v11 :: v_dual_cndmask_b32 v10, v12, v10
	s_delay_alu instid0(VALU_DEP_3) | instskip(NEXT) | instid1(VALU_DEP_1)
	v_dual_cndmask_b32 v9, v9, v15 :: v_dual_cndmask_b32 v8, v8, v14
	v_cmp_ge_u64_e32 vcc_lo, v[8:9], v[10:11]
	s_or_b32 s0, vcc_lo, s0
	s_delay_alu instid0(SALU_CYCLE_1)
	s_and_not1_b32 exec_lo, exec_lo, s0
	s_cbranch_execnz .LBB11_16
; %bb.17:
	s_or_b32 exec_lo, exec_lo, s0
.LBB11_18:
	s_wait_loadcnt_dscnt 0x101
	v_dual_mov_b32 v11, 0 :: v_dual_lshlrev_b32 v10, 3, v0
	s_lshl_b64 s[0:1], s[16:17], 3
	s_mov_b32 s3, -1
	s_add_nc_u64 s[10:11], s[4:5], s[0:1]
	s_delay_alu instid0(VALU_DEP_1) | instid1(SALU_CYCLE_1)
	v_add_nc_u64_e32 v[12:13], s[10:11], v[10:11]
	s_clause 0x2
	flat_store_b64 v0, v[2:3], s[10:11] scale_offset
	flat_store_b64 v0, v[4:5], s[10:11] offset:2048 scale_offset
	flat_store_b64 v0, v[6:7], s[10:11] offset:4096 scale_offset
	s_branch .LBB11_52
.LBB11_19:
	s_wait_xcnt 0x2
	v_mov_b32_e32 v2, 0
	s_sub_co_i32 s3, s8, s16
	s_delay_alu instid0(SALU_CYCLE_1) | instskip(NEXT) | instid1(VALU_DEP_2)
	v_cmp_gt_u32_e64 s0, s3, v0
	v_mov_b32_e32 v3, v2
	s_wait_xcnt 0x0
	s_and_saveexec_b32 s1, s0
	s_cbranch_execz .LBB11_21
; %bb.20:
	s_wait_loadcnt_dscnt 0x3
	flat_load_u16 v1, v0, s[6:7] scale_offset
	v_mov_b32_e32 v5, v2
	s_wait_loadcnt_dscnt 0x0
	v_and_b32_e32 v4, 0xffff, v1
	s_delay_alu instid0(VALU_DEP_1)
	v_mov_b64_e32 v[2:3], v[4:5]
.LBB11_21:
	s_wait_xcnt 0x0
	s_or_b32 exec_lo, exec_lo, s1
	s_wait_loadcnt_dscnt 0x3
	v_or_b32_e32 v1, 0x100, v0
	s_delay_alu instid0(VALU_DEP_1)
	v_cmp_gt_u32_e64 s1, s3, v1
	s_and_saveexec_b32 s2, s1
	s_cbranch_execz .LBB11_23
; %bb.22:
	flat_load_u16 v1, v0, s[6:7] offset:512 scale_offset
	s_wait_loadcnt_dscnt 0x0
	v_perm_b32 v2, v1, v2, 0x5040100
.LBB11_23:
	s_wait_xcnt 0x0
	s_or_b32 exec_lo, exec_lo, s2
	v_or_b32_e32 v1, 0x200, v0
	s_delay_alu instid0(VALU_DEP_1)
	v_cmp_gt_u32_e64 s2, s3, v1
	s_and_saveexec_b32 s8, s2
	s_cbranch_execz .LBB11_25
; %bb.24:
	flat_load_u16 v1, v0, s[6:7] offset:1024 scale_offset
	s_wait_loadcnt_dscnt 0x0
	v_bfi_b32 v3, 0xffff, v1, v3
.LBB11_25:
	s_wait_xcnt 0x0
	s_or_b32 exec_lo, exec_lo, s8
	v_or_b32_e32 v1, 0x300, v0
	s_delay_alu instid0(VALU_DEP_1)
	v_cmp_gt_u32_e64 s3, s3, v1
	s_and_saveexec_b32 s8, s3
	s_cbranch_execz .LBB11_27
; %bb.26:
	flat_load_u16 v1, v0, s[6:7] offset:1536 scale_offset
	s_wait_loadcnt_dscnt 0x0
	v_perm_b32 v3, v1, v3, 0x5040100
.LBB11_27:
	s_wait_xcnt 0x0
	s_or_b32 exec_lo, exec_lo, s8
	s_cmp_lg_u64 s[14:15], 0
                                        ; implicit-def: $vgpr4_vgpr5
	s_cselect_b32 s6, -1, 0
	s_and_saveexec_b32 s7, s0
	s_cbranch_execz .LBB11_32
; %bb.28:
	v_mov_b64_e32 v[4:5], 0
	s_and_not1_b32 vcc_lo, exec_lo, s6
	s_cbranch_vccnz .LBB11_32
; %bb.29:
	v_mov_b64_e32 v[6:7], s[14:15]
	s_mov_b32 s8, 0
.LBB11_30:                              ; =>This Inner Loop Header: Depth=1
	s_delay_alu instid0(VALU_DEP_1) | instskip(NEXT) | instid1(VALU_DEP_1)
	v_sub_nc_u64_e32 v[8:9], v[6:7], v[4:5]
	v_lshrrev_b64 v[10:11], 1, v[8:9]
	v_lshrrev_b64 v[8:9], 6, v[8:9]
	s_delay_alu instid0(VALU_DEP_2) | instskip(NEXT) | instid1(VALU_DEP_1)
	v_add_nc_u64_e32 v[10:11], v[10:11], v[4:5]
	v_add_nc_u64_e32 v[8:9], v[10:11], v[8:9]
	s_delay_alu instid0(VALU_DEP_1)
	v_lshl_add_u64 v[10:11], v[8:9], 1, s[12:13]
	global_load_u16 v1, v[10:11], off
	s_wait_xcnt 0x0
	v_add_nc_u64_e32 v[10:11], 1, v[8:9]
	s_wait_loadcnt 0x0
	v_cmp_gt_i16_e32 vcc_lo, v1, v2
	v_dual_cndmask_b32 v7, v9, v7 :: v_dual_cndmask_b32 v6, v8, v6
	s_delay_alu instid0(VALU_DEP_3) | instskip(NEXT) | instid1(VALU_DEP_1)
	v_dual_cndmask_b32 v5, v5, v11 :: v_dual_cndmask_b32 v4, v4, v10
	v_cmp_ge_u64_e32 vcc_lo, v[4:5], v[6:7]
	s_or_b32 s8, vcc_lo, s8
	s_delay_alu instid0(SALU_CYCLE_1)
	s_and_not1_b32 exec_lo, exec_lo, s8
	s_cbranch_execnz .LBB11_30
; %bb.31:
	s_or_b32 exec_lo, exec_lo, s8
.LBB11_32:
	s_delay_alu instid0(SALU_CYCLE_1)
	s_or_b32 exec_lo, exec_lo, s7
                                        ; implicit-def: $vgpr6_vgpr7
	s_and_saveexec_b32 s7, s1
	s_cbranch_execz .LBB11_37
; %bb.33:
	v_mov_b64_e32 v[6:7], 0
	s_and_not1_b32 vcc_lo, exec_lo, s6
	s_cbranch_vccnz .LBB11_37
; %bb.34:
	v_mov_b64_e32 v[8:9], s[14:15]
	v_lshrrev_b32_e32 v1, 16, v2
	s_mov_b32 s8, 0
.LBB11_35:                              ; =>This Inner Loop Header: Depth=1
	s_delay_alu instid0(VALU_DEP_2) | instskip(NEXT) | instid1(VALU_DEP_1)
	v_sub_nc_u64_e32 v[10:11], v[8:9], v[6:7]
	v_lshrrev_b64 v[12:13], 1, v[10:11]
	v_lshrrev_b64 v[10:11], 6, v[10:11]
	s_delay_alu instid0(VALU_DEP_2) | instskip(NEXT) | instid1(VALU_DEP_1)
	v_add_nc_u64_e32 v[12:13], v[12:13], v[6:7]
	v_add_nc_u64_e32 v[10:11], v[12:13], v[10:11]
	s_delay_alu instid0(VALU_DEP_1)
	v_lshl_add_u64 v[12:13], v[10:11], 1, s[12:13]
	global_load_u16 v2, v[12:13], off
	s_wait_xcnt 0x0
	v_add_nc_u64_e32 v[12:13], 1, v[10:11]
	s_wait_loadcnt 0x0
	v_cmp_gt_i16_e32 vcc_lo, v2, v1
	v_dual_cndmask_b32 v9, v11, v9 :: v_dual_cndmask_b32 v8, v10, v8
	s_delay_alu instid0(VALU_DEP_3) | instskip(NEXT) | instid1(VALU_DEP_1)
	v_dual_cndmask_b32 v7, v7, v13 :: v_dual_cndmask_b32 v6, v6, v12
	v_cmp_ge_u64_e32 vcc_lo, v[6:7], v[8:9]
	s_or_b32 s8, vcc_lo, s8
	s_delay_alu instid0(SALU_CYCLE_1)
	s_and_not1_b32 exec_lo, exec_lo, s8
	s_cbranch_execnz .LBB11_35
; %bb.36:
	s_or_b32 exec_lo, exec_lo, s8
.LBB11_37:
	s_delay_alu instid0(SALU_CYCLE_1)
	s_or_b32 exec_lo, exec_lo, s7
                                        ; implicit-def: $vgpr10_vgpr11
	s_and_saveexec_b32 s7, s2
	s_cbranch_execz .LBB11_42
; %bb.38:
	v_mov_b64_e32 v[10:11], 0
	s_and_not1_b32 vcc_lo, exec_lo, s6
	s_cbranch_vccnz .LBB11_42
; %bb.39:
	v_mov_b64_e32 v[8:9], s[14:15]
	s_mov_b32 s8, 0
.LBB11_40:                              ; =>This Inner Loop Header: Depth=1
	s_delay_alu instid0(VALU_DEP_1) | instskip(NEXT) | instid1(VALU_DEP_1)
	v_sub_nc_u64_e32 v[12:13], v[8:9], v[10:11]
	v_lshrrev_b64 v[14:15], 1, v[12:13]
	v_lshrrev_b64 v[12:13], 6, v[12:13]
	s_delay_alu instid0(VALU_DEP_2) | instskip(NEXT) | instid1(VALU_DEP_1)
	v_add_nc_u64_e32 v[14:15], v[14:15], v[10:11]
	v_add_nc_u64_e32 v[12:13], v[14:15], v[12:13]
	s_delay_alu instid0(VALU_DEP_1)
	v_lshl_add_u64 v[14:15], v[12:13], 1, s[12:13]
	global_load_u16 v1, v[14:15], off
	s_wait_xcnt 0x0
	v_add_nc_u64_e32 v[14:15], 1, v[12:13]
	s_wait_loadcnt 0x0
	v_cmp_gt_i16_e32 vcc_lo, v1, v3
	v_dual_cndmask_b32 v9, v13, v9 :: v_dual_cndmask_b32 v8, v12, v8
	s_delay_alu instid0(VALU_DEP_3) | instskip(NEXT) | instid1(VALU_DEP_1)
	v_dual_cndmask_b32 v11, v11, v15 :: v_dual_cndmask_b32 v10, v10, v14
	v_cmp_ge_u64_e32 vcc_lo, v[10:11], v[8:9]
	s_or_b32 s8, vcc_lo, s8
	s_delay_alu instid0(SALU_CYCLE_1)
	s_and_not1_b32 exec_lo, exec_lo, s8
	s_cbranch_execnz .LBB11_40
; %bb.41:
	s_or_b32 exec_lo, exec_lo, s8
.LBB11_42:
	s_delay_alu instid0(SALU_CYCLE_1)
	s_or_b32 exec_lo, exec_lo, s7
                                        ; implicit-def: $vgpr8_vgpr9
	s_and_saveexec_b32 s7, s3
	s_cbranch_execz .LBB11_47
; %bb.43:
	v_mov_b64_e32 v[8:9], 0
	s_and_not1_b32 vcc_lo, exec_lo, s6
	s_cbranch_vccnz .LBB11_47
; %bb.44:
	v_lshrrev_b32_e32 v1, 16, v3
	v_mov_b64_e32 v[2:3], s[14:15]
	s_mov_b32 s6, 0
.LBB11_45:                              ; =>This Inner Loop Header: Depth=1
	s_delay_alu instid0(VALU_DEP_1) | instskip(NEXT) | instid1(VALU_DEP_1)
	v_sub_nc_u64_e32 v[12:13], v[2:3], v[8:9]
	v_lshrrev_b64 v[14:15], 1, v[12:13]
	v_lshrrev_b64 v[12:13], 6, v[12:13]
	s_delay_alu instid0(VALU_DEP_2) | instskip(NEXT) | instid1(VALU_DEP_1)
	v_add_nc_u64_e32 v[14:15], v[14:15], v[8:9]
	v_add_nc_u64_e32 v[12:13], v[14:15], v[12:13]
	s_delay_alu instid0(VALU_DEP_1)
	v_lshl_add_u64 v[14:15], v[12:13], 1, s[12:13]
	global_load_u16 v16, v[14:15], off
	s_wait_xcnt 0x0
	v_add_nc_u64_e32 v[14:15], 1, v[12:13]
	s_wait_loadcnt 0x0
	v_cmp_gt_i16_e32 vcc_lo, v16, v1
	v_dual_cndmask_b32 v3, v13, v3 :: v_dual_cndmask_b32 v2, v12, v2
	s_delay_alu instid0(VALU_DEP_3) | instskip(NEXT) | instid1(VALU_DEP_1)
	v_dual_cndmask_b32 v9, v9, v15 :: v_dual_cndmask_b32 v8, v8, v14
	v_cmp_ge_u64_e32 vcc_lo, v[8:9], v[2:3]
	s_or_b32 s6, vcc_lo, s6
	s_delay_alu instid0(SALU_CYCLE_1)
	s_and_not1_b32 exec_lo, exec_lo, s6
	s_cbranch_execnz .LBB11_45
; %bb.46:
	s_or_b32 exec_lo, exec_lo, s6
.LBB11_47:
	s_delay_alu instid0(SALU_CYCLE_1) | instskip(SKIP_2) | instid1(SALU_CYCLE_1)
	s_or_b32 exec_lo, exec_lo, s7
	v_dual_mov_b32 v1, 0 :: v_dual_lshlrev_b32 v0, 3, v0
	s_lshl_b64 s[6:7], s[16:17], 3
	s_add_nc_u64 s[4:5], s[4:5], s[6:7]
	s_delay_alu instid0(VALU_DEP_1) | instid1(SALU_CYCLE_1)
	v_add_nc_u64_e32 v[12:13], s[4:5], v[0:1]
	s_and_saveexec_b32 s4, s0
	s_delay_alu instid0(SALU_CYCLE_1)
	s_xor_b32 s0, exec_lo, s4
	s_cbranch_execnz .LBB11_55
; %bb.48:
	s_or_b32 exec_lo, exec_lo, s0
	s_and_saveexec_b32 s0, s1
	s_cbranch_execnz .LBB11_56
.LBB11_49:
	s_or_b32 exec_lo, exec_lo, s0
	s_and_saveexec_b32 s0, s2
	s_cbranch_execz .LBB11_51
.LBB11_50:
	flat_store_b64 v[12:13], v[10:11] offset:4096
.LBB11_51:
	s_wait_xcnt 0x0
	s_or_b32 exec_lo, exec_lo, s0
.LBB11_52:
	s_wait_xcnt 0x0
	s_and_saveexec_b32 s0, s3
	s_cbranch_execnz .LBB11_54
; %bb.53:
	s_endpgm
.LBB11_54:
	flat_store_b64 v[12:13], v[8:9] offset:6144
	s_endpgm
.LBB11_55:
	flat_store_b64 v[12:13], v[4:5]
	s_wait_xcnt 0x0
	s_or_b32 exec_lo, exec_lo, s0
	s_and_saveexec_b32 s0, s1
	s_cbranch_execz .LBB11_49
.LBB11_56:
	flat_store_b64 v[12:13], v[6:7] offset:2048
	s_wait_xcnt 0x0
	s_or_b32 exec_lo, exec_lo, s0
	s_and_saveexec_b32 s0, s2
	s_cbranch_execnz .LBB11_50
	s_branch .LBB11_51
	.section	.rodata,"a",@progbits
	.p2align	6, 0x0
	.amdhsa_kernel _ZN7rocprim17ROCPRIM_400000_NS6detail17trampoline_kernelINS0_14default_configENS1_27lower_bound_config_selectorIslEEZNS1_14transform_implILb0ES3_S5_N6thrust23THRUST_200600_302600_NS6detail15normal_iteratorINS8_7pointerIsNS8_11hip_rocprim3tagENS8_11use_defaultESE_EEEENSA_INSB_IlSD_SE_SE_EEEEZNS1_13binary_searchIS3_S5_NSA_INS8_10device_ptrIsEEEESG_SI_NS1_21lower_bound_search_opENS9_16wrapped_functionINS8_7greaterIsEEbEEEE10hipError_tPvRmT1_T2_T3_mmT4_T5_P12ihipStream_tbEUlRKsE_EESS_SW_SX_mSY_S11_bEUlT_E_NS1_11comp_targetILNS1_3genE0ELNS1_11target_archE4294967295ELNS1_3gpuE0ELNS1_3repE0EEENS1_30default_config_static_selectorELNS0_4arch9wavefront6targetE0EEEvSV_
		.amdhsa_group_segment_fixed_size 0
		.amdhsa_private_segment_fixed_size 0
		.amdhsa_kernarg_size 312
		.amdhsa_user_sgpr_count 2
		.amdhsa_user_sgpr_dispatch_ptr 0
		.amdhsa_user_sgpr_queue_ptr 0
		.amdhsa_user_sgpr_kernarg_segment_ptr 1
		.amdhsa_user_sgpr_dispatch_id 0
		.amdhsa_user_sgpr_kernarg_preload_length 0
		.amdhsa_user_sgpr_kernarg_preload_offset 0
		.amdhsa_user_sgpr_private_segment_size 0
		.amdhsa_wavefront_size32 1
		.amdhsa_uses_dynamic_stack 0
		.amdhsa_enable_private_segment 0
		.amdhsa_system_sgpr_workgroup_id_x 1
		.amdhsa_system_sgpr_workgroup_id_y 0
		.amdhsa_system_sgpr_workgroup_id_z 0
		.amdhsa_system_sgpr_workgroup_info 0
		.amdhsa_system_vgpr_workitem_id 0
		.amdhsa_next_free_vgpr 17
		.amdhsa_next_free_sgpr 19
		.amdhsa_named_barrier_count 0
		.amdhsa_reserve_vcc 1
		.amdhsa_float_round_mode_32 0
		.amdhsa_float_round_mode_16_64 0
		.amdhsa_float_denorm_mode_32 3
		.amdhsa_float_denorm_mode_16_64 3
		.amdhsa_fp16_overflow 0
		.amdhsa_memory_ordered 1
		.amdhsa_forward_progress 1
		.amdhsa_inst_pref_size 16
		.amdhsa_round_robin_scheduling 0
		.amdhsa_exception_fp_ieee_invalid_op 0
		.amdhsa_exception_fp_denorm_src 0
		.amdhsa_exception_fp_ieee_div_zero 0
		.amdhsa_exception_fp_ieee_overflow 0
		.amdhsa_exception_fp_ieee_underflow 0
		.amdhsa_exception_fp_ieee_inexact 0
		.amdhsa_exception_int_div_zero 0
	.end_amdhsa_kernel
	.section	.text._ZN7rocprim17ROCPRIM_400000_NS6detail17trampoline_kernelINS0_14default_configENS1_27lower_bound_config_selectorIslEEZNS1_14transform_implILb0ES3_S5_N6thrust23THRUST_200600_302600_NS6detail15normal_iteratorINS8_7pointerIsNS8_11hip_rocprim3tagENS8_11use_defaultESE_EEEENSA_INSB_IlSD_SE_SE_EEEEZNS1_13binary_searchIS3_S5_NSA_INS8_10device_ptrIsEEEESG_SI_NS1_21lower_bound_search_opENS9_16wrapped_functionINS8_7greaterIsEEbEEEE10hipError_tPvRmT1_T2_T3_mmT4_T5_P12ihipStream_tbEUlRKsE_EESS_SW_SX_mSY_S11_bEUlT_E_NS1_11comp_targetILNS1_3genE0ELNS1_11target_archE4294967295ELNS1_3gpuE0ELNS1_3repE0EEENS1_30default_config_static_selectorELNS0_4arch9wavefront6targetE0EEEvSV_,"axG",@progbits,_ZN7rocprim17ROCPRIM_400000_NS6detail17trampoline_kernelINS0_14default_configENS1_27lower_bound_config_selectorIslEEZNS1_14transform_implILb0ES3_S5_N6thrust23THRUST_200600_302600_NS6detail15normal_iteratorINS8_7pointerIsNS8_11hip_rocprim3tagENS8_11use_defaultESE_EEEENSA_INSB_IlSD_SE_SE_EEEEZNS1_13binary_searchIS3_S5_NSA_INS8_10device_ptrIsEEEESG_SI_NS1_21lower_bound_search_opENS9_16wrapped_functionINS8_7greaterIsEEbEEEE10hipError_tPvRmT1_T2_T3_mmT4_T5_P12ihipStream_tbEUlRKsE_EESS_SW_SX_mSY_S11_bEUlT_E_NS1_11comp_targetILNS1_3genE0ELNS1_11target_archE4294967295ELNS1_3gpuE0ELNS1_3repE0EEENS1_30default_config_static_selectorELNS0_4arch9wavefront6targetE0EEEvSV_,comdat
.Lfunc_end11:
	.size	_ZN7rocprim17ROCPRIM_400000_NS6detail17trampoline_kernelINS0_14default_configENS1_27lower_bound_config_selectorIslEEZNS1_14transform_implILb0ES3_S5_N6thrust23THRUST_200600_302600_NS6detail15normal_iteratorINS8_7pointerIsNS8_11hip_rocprim3tagENS8_11use_defaultESE_EEEENSA_INSB_IlSD_SE_SE_EEEEZNS1_13binary_searchIS3_S5_NSA_INS8_10device_ptrIsEEEESG_SI_NS1_21lower_bound_search_opENS9_16wrapped_functionINS8_7greaterIsEEbEEEE10hipError_tPvRmT1_T2_T3_mmT4_T5_P12ihipStream_tbEUlRKsE_EESS_SW_SX_mSY_S11_bEUlT_E_NS1_11comp_targetILNS1_3genE0ELNS1_11target_archE4294967295ELNS1_3gpuE0ELNS1_3repE0EEENS1_30default_config_static_selectorELNS0_4arch9wavefront6targetE0EEEvSV_, .Lfunc_end11-_ZN7rocprim17ROCPRIM_400000_NS6detail17trampoline_kernelINS0_14default_configENS1_27lower_bound_config_selectorIslEEZNS1_14transform_implILb0ES3_S5_N6thrust23THRUST_200600_302600_NS6detail15normal_iteratorINS8_7pointerIsNS8_11hip_rocprim3tagENS8_11use_defaultESE_EEEENSA_INSB_IlSD_SE_SE_EEEEZNS1_13binary_searchIS3_S5_NSA_INS8_10device_ptrIsEEEESG_SI_NS1_21lower_bound_search_opENS9_16wrapped_functionINS8_7greaterIsEEbEEEE10hipError_tPvRmT1_T2_T3_mmT4_T5_P12ihipStream_tbEUlRKsE_EESS_SW_SX_mSY_S11_bEUlT_E_NS1_11comp_targetILNS1_3genE0ELNS1_11target_archE4294967295ELNS1_3gpuE0ELNS1_3repE0EEENS1_30default_config_static_selectorELNS0_4arch9wavefront6targetE0EEEvSV_
                                        ; -- End function
	.set _ZN7rocprim17ROCPRIM_400000_NS6detail17trampoline_kernelINS0_14default_configENS1_27lower_bound_config_selectorIslEEZNS1_14transform_implILb0ES3_S5_N6thrust23THRUST_200600_302600_NS6detail15normal_iteratorINS8_7pointerIsNS8_11hip_rocprim3tagENS8_11use_defaultESE_EEEENSA_INSB_IlSD_SE_SE_EEEEZNS1_13binary_searchIS3_S5_NSA_INS8_10device_ptrIsEEEESG_SI_NS1_21lower_bound_search_opENS9_16wrapped_functionINS8_7greaterIsEEbEEEE10hipError_tPvRmT1_T2_T3_mmT4_T5_P12ihipStream_tbEUlRKsE_EESS_SW_SX_mSY_S11_bEUlT_E_NS1_11comp_targetILNS1_3genE0ELNS1_11target_archE4294967295ELNS1_3gpuE0ELNS1_3repE0EEENS1_30default_config_static_selectorELNS0_4arch9wavefront6targetE0EEEvSV_.num_vgpr, 17
	.set _ZN7rocprim17ROCPRIM_400000_NS6detail17trampoline_kernelINS0_14default_configENS1_27lower_bound_config_selectorIslEEZNS1_14transform_implILb0ES3_S5_N6thrust23THRUST_200600_302600_NS6detail15normal_iteratorINS8_7pointerIsNS8_11hip_rocprim3tagENS8_11use_defaultESE_EEEENSA_INSB_IlSD_SE_SE_EEEEZNS1_13binary_searchIS3_S5_NSA_INS8_10device_ptrIsEEEESG_SI_NS1_21lower_bound_search_opENS9_16wrapped_functionINS8_7greaterIsEEbEEEE10hipError_tPvRmT1_T2_T3_mmT4_T5_P12ihipStream_tbEUlRKsE_EESS_SW_SX_mSY_S11_bEUlT_E_NS1_11comp_targetILNS1_3genE0ELNS1_11target_archE4294967295ELNS1_3gpuE0ELNS1_3repE0EEENS1_30default_config_static_selectorELNS0_4arch9wavefront6targetE0EEEvSV_.num_agpr, 0
	.set _ZN7rocprim17ROCPRIM_400000_NS6detail17trampoline_kernelINS0_14default_configENS1_27lower_bound_config_selectorIslEEZNS1_14transform_implILb0ES3_S5_N6thrust23THRUST_200600_302600_NS6detail15normal_iteratorINS8_7pointerIsNS8_11hip_rocprim3tagENS8_11use_defaultESE_EEEENSA_INSB_IlSD_SE_SE_EEEEZNS1_13binary_searchIS3_S5_NSA_INS8_10device_ptrIsEEEESG_SI_NS1_21lower_bound_search_opENS9_16wrapped_functionINS8_7greaterIsEEbEEEE10hipError_tPvRmT1_T2_T3_mmT4_T5_P12ihipStream_tbEUlRKsE_EESS_SW_SX_mSY_S11_bEUlT_E_NS1_11comp_targetILNS1_3genE0ELNS1_11target_archE4294967295ELNS1_3gpuE0ELNS1_3repE0EEENS1_30default_config_static_selectorELNS0_4arch9wavefront6targetE0EEEvSV_.numbered_sgpr, 19
	.set _ZN7rocprim17ROCPRIM_400000_NS6detail17trampoline_kernelINS0_14default_configENS1_27lower_bound_config_selectorIslEEZNS1_14transform_implILb0ES3_S5_N6thrust23THRUST_200600_302600_NS6detail15normal_iteratorINS8_7pointerIsNS8_11hip_rocprim3tagENS8_11use_defaultESE_EEEENSA_INSB_IlSD_SE_SE_EEEEZNS1_13binary_searchIS3_S5_NSA_INS8_10device_ptrIsEEEESG_SI_NS1_21lower_bound_search_opENS9_16wrapped_functionINS8_7greaterIsEEbEEEE10hipError_tPvRmT1_T2_T3_mmT4_T5_P12ihipStream_tbEUlRKsE_EESS_SW_SX_mSY_S11_bEUlT_E_NS1_11comp_targetILNS1_3genE0ELNS1_11target_archE4294967295ELNS1_3gpuE0ELNS1_3repE0EEENS1_30default_config_static_selectorELNS0_4arch9wavefront6targetE0EEEvSV_.num_named_barrier, 0
	.set _ZN7rocprim17ROCPRIM_400000_NS6detail17trampoline_kernelINS0_14default_configENS1_27lower_bound_config_selectorIslEEZNS1_14transform_implILb0ES3_S5_N6thrust23THRUST_200600_302600_NS6detail15normal_iteratorINS8_7pointerIsNS8_11hip_rocprim3tagENS8_11use_defaultESE_EEEENSA_INSB_IlSD_SE_SE_EEEEZNS1_13binary_searchIS3_S5_NSA_INS8_10device_ptrIsEEEESG_SI_NS1_21lower_bound_search_opENS9_16wrapped_functionINS8_7greaterIsEEbEEEE10hipError_tPvRmT1_T2_T3_mmT4_T5_P12ihipStream_tbEUlRKsE_EESS_SW_SX_mSY_S11_bEUlT_E_NS1_11comp_targetILNS1_3genE0ELNS1_11target_archE4294967295ELNS1_3gpuE0ELNS1_3repE0EEENS1_30default_config_static_selectorELNS0_4arch9wavefront6targetE0EEEvSV_.private_seg_size, 0
	.set _ZN7rocprim17ROCPRIM_400000_NS6detail17trampoline_kernelINS0_14default_configENS1_27lower_bound_config_selectorIslEEZNS1_14transform_implILb0ES3_S5_N6thrust23THRUST_200600_302600_NS6detail15normal_iteratorINS8_7pointerIsNS8_11hip_rocprim3tagENS8_11use_defaultESE_EEEENSA_INSB_IlSD_SE_SE_EEEEZNS1_13binary_searchIS3_S5_NSA_INS8_10device_ptrIsEEEESG_SI_NS1_21lower_bound_search_opENS9_16wrapped_functionINS8_7greaterIsEEbEEEE10hipError_tPvRmT1_T2_T3_mmT4_T5_P12ihipStream_tbEUlRKsE_EESS_SW_SX_mSY_S11_bEUlT_E_NS1_11comp_targetILNS1_3genE0ELNS1_11target_archE4294967295ELNS1_3gpuE0ELNS1_3repE0EEENS1_30default_config_static_selectorELNS0_4arch9wavefront6targetE0EEEvSV_.uses_vcc, 1
	.set _ZN7rocprim17ROCPRIM_400000_NS6detail17trampoline_kernelINS0_14default_configENS1_27lower_bound_config_selectorIslEEZNS1_14transform_implILb0ES3_S5_N6thrust23THRUST_200600_302600_NS6detail15normal_iteratorINS8_7pointerIsNS8_11hip_rocprim3tagENS8_11use_defaultESE_EEEENSA_INSB_IlSD_SE_SE_EEEEZNS1_13binary_searchIS3_S5_NSA_INS8_10device_ptrIsEEEESG_SI_NS1_21lower_bound_search_opENS9_16wrapped_functionINS8_7greaterIsEEbEEEE10hipError_tPvRmT1_T2_T3_mmT4_T5_P12ihipStream_tbEUlRKsE_EESS_SW_SX_mSY_S11_bEUlT_E_NS1_11comp_targetILNS1_3genE0ELNS1_11target_archE4294967295ELNS1_3gpuE0ELNS1_3repE0EEENS1_30default_config_static_selectorELNS0_4arch9wavefront6targetE0EEEvSV_.uses_flat_scratch, 1
	.set _ZN7rocprim17ROCPRIM_400000_NS6detail17trampoline_kernelINS0_14default_configENS1_27lower_bound_config_selectorIslEEZNS1_14transform_implILb0ES3_S5_N6thrust23THRUST_200600_302600_NS6detail15normal_iteratorINS8_7pointerIsNS8_11hip_rocprim3tagENS8_11use_defaultESE_EEEENSA_INSB_IlSD_SE_SE_EEEEZNS1_13binary_searchIS3_S5_NSA_INS8_10device_ptrIsEEEESG_SI_NS1_21lower_bound_search_opENS9_16wrapped_functionINS8_7greaterIsEEbEEEE10hipError_tPvRmT1_T2_T3_mmT4_T5_P12ihipStream_tbEUlRKsE_EESS_SW_SX_mSY_S11_bEUlT_E_NS1_11comp_targetILNS1_3genE0ELNS1_11target_archE4294967295ELNS1_3gpuE0ELNS1_3repE0EEENS1_30default_config_static_selectorELNS0_4arch9wavefront6targetE0EEEvSV_.has_dyn_sized_stack, 0
	.set _ZN7rocprim17ROCPRIM_400000_NS6detail17trampoline_kernelINS0_14default_configENS1_27lower_bound_config_selectorIslEEZNS1_14transform_implILb0ES3_S5_N6thrust23THRUST_200600_302600_NS6detail15normal_iteratorINS8_7pointerIsNS8_11hip_rocprim3tagENS8_11use_defaultESE_EEEENSA_INSB_IlSD_SE_SE_EEEEZNS1_13binary_searchIS3_S5_NSA_INS8_10device_ptrIsEEEESG_SI_NS1_21lower_bound_search_opENS9_16wrapped_functionINS8_7greaterIsEEbEEEE10hipError_tPvRmT1_T2_T3_mmT4_T5_P12ihipStream_tbEUlRKsE_EESS_SW_SX_mSY_S11_bEUlT_E_NS1_11comp_targetILNS1_3genE0ELNS1_11target_archE4294967295ELNS1_3gpuE0ELNS1_3repE0EEENS1_30default_config_static_selectorELNS0_4arch9wavefront6targetE0EEEvSV_.has_recursion, 0
	.set _ZN7rocprim17ROCPRIM_400000_NS6detail17trampoline_kernelINS0_14default_configENS1_27lower_bound_config_selectorIslEEZNS1_14transform_implILb0ES3_S5_N6thrust23THRUST_200600_302600_NS6detail15normal_iteratorINS8_7pointerIsNS8_11hip_rocprim3tagENS8_11use_defaultESE_EEEENSA_INSB_IlSD_SE_SE_EEEEZNS1_13binary_searchIS3_S5_NSA_INS8_10device_ptrIsEEEESG_SI_NS1_21lower_bound_search_opENS9_16wrapped_functionINS8_7greaterIsEEbEEEE10hipError_tPvRmT1_T2_T3_mmT4_T5_P12ihipStream_tbEUlRKsE_EESS_SW_SX_mSY_S11_bEUlT_E_NS1_11comp_targetILNS1_3genE0ELNS1_11target_archE4294967295ELNS1_3gpuE0ELNS1_3repE0EEENS1_30default_config_static_selectorELNS0_4arch9wavefront6targetE0EEEvSV_.has_indirect_call, 0
	.section	.AMDGPU.csdata,"",@progbits
; Kernel info:
; codeLenInByte = 2008
; TotalNumSgprs: 21
; NumVgprs: 17
; ScratchSize: 0
; MemoryBound: 0
; FloatMode: 240
; IeeeMode: 1
; LDSByteSize: 0 bytes/workgroup (compile time only)
; SGPRBlocks: 0
; VGPRBlocks: 1
; NumSGPRsForWavesPerEU: 21
; NumVGPRsForWavesPerEU: 17
; NamedBarCnt: 0
; Occupancy: 16
; WaveLimiterHint : 1
; COMPUTE_PGM_RSRC2:SCRATCH_EN: 0
; COMPUTE_PGM_RSRC2:USER_SGPR: 2
; COMPUTE_PGM_RSRC2:TRAP_HANDLER: 0
; COMPUTE_PGM_RSRC2:TGID_X_EN: 1
; COMPUTE_PGM_RSRC2:TGID_Y_EN: 0
; COMPUTE_PGM_RSRC2:TGID_Z_EN: 0
; COMPUTE_PGM_RSRC2:TIDIG_COMP_CNT: 0
	.section	.text._ZN7rocprim17ROCPRIM_400000_NS6detail17trampoline_kernelINS0_14default_configENS1_27lower_bound_config_selectorIslEEZNS1_14transform_implILb0ES3_S5_N6thrust23THRUST_200600_302600_NS6detail15normal_iteratorINS8_7pointerIsNS8_11hip_rocprim3tagENS8_11use_defaultESE_EEEENSA_INSB_IlSD_SE_SE_EEEEZNS1_13binary_searchIS3_S5_NSA_INS8_10device_ptrIsEEEESG_SI_NS1_21lower_bound_search_opENS9_16wrapped_functionINS8_7greaterIsEEbEEEE10hipError_tPvRmT1_T2_T3_mmT4_T5_P12ihipStream_tbEUlRKsE_EESS_SW_SX_mSY_S11_bEUlT_E_NS1_11comp_targetILNS1_3genE5ELNS1_11target_archE942ELNS1_3gpuE9ELNS1_3repE0EEENS1_30default_config_static_selectorELNS0_4arch9wavefront6targetE0EEEvSV_,"axG",@progbits,_ZN7rocprim17ROCPRIM_400000_NS6detail17trampoline_kernelINS0_14default_configENS1_27lower_bound_config_selectorIslEEZNS1_14transform_implILb0ES3_S5_N6thrust23THRUST_200600_302600_NS6detail15normal_iteratorINS8_7pointerIsNS8_11hip_rocprim3tagENS8_11use_defaultESE_EEEENSA_INSB_IlSD_SE_SE_EEEEZNS1_13binary_searchIS3_S5_NSA_INS8_10device_ptrIsEEEESG_SI_NS1_21lower_bound_search_opENS9_16wrapped_functionINS8_7greaterIsEEbEEEE10hipError_tPvRmT1_T2_T3_mmT4_T5_P12ihipStream_tbEUlRKsE_EESS_SW_SX_mSY_S11_bEUlT_E_NS1_11comp_targetILNS1_3genE5ELNS1_11target_archE942ELNS1_3gpuE9ELNS1_3repE0EEENS1_30default_config_static_selectorELNS0_4arch9wavefront6targetE0EEEvSV_,comdat
	.protected	_ZN7rocprim17ROCPRIM_400000_NS6detail17trampoline_kernelINS0_14default_configENS1_27lower_bound_config_selectorIslEEZNS1_14transform_implILb0ES3_S5_N6thrust23THRUST_200600_302600_NS6detail15normal_iteratorINS8_7pointerIsNS8_11hip_rocprim3tagENS8_11use_defaultESE_EEEENSA_INSB_IlSD_SE_SE_EEEEZNS1_13binary_searchIS3_S5_NSA_INS8_10device_ptrIsEEEESG_SI_NS1_21lower_bound_search_opENS9_16wrapped_functionINS8_7greaterIsEEbEEEE10hipError_tPvRmT1_T2_T3_mmT4_T5_P12ihipStream_tbEUlRKsE_EESS_SW_SX_mSY_S11_bEUlT_E_NS1_11comp_targetILNS1_3genE5ELNS1_11target_archE942ELNS1_3gpuE9ELNS1_3repE0EEENS1_30default_config_static_selectorELNS0_4arch9wavefront6targetE0EEEvSV_ ; -- Begin function _ZN7rocprim17ROCPRIM_400000_NS6detail17trampoline_kernelINS0_14default_configENS1_27lower_bound_config_selectorIslEEZNS1_14transform_implILb0ES3_S5_N6thrust23THRUST_200600_302600_NS6detail15normal_iteratorINS8_7pointerIsNS8_11hip_rocprim3tagENS8_11use_defaultESE_EEEENSA_INSB_IlSD_SE_SE_EEEEZNS1_13binary_searchIS3_S5_NSA_INS8_10device_ptrIsEEEESG_SI_NS1_21lower_bound_search_opENS9_16wrapped_functionINS8_7greaterIsEEbEEEE10hipError_tPvRmT1_T2_T3_mmT4_T5_P12ihipStream_tbEUlRKsE_EESS_SW_SX_mSY_S11_bEUlT_E_NS1_11comp_targetILNS1_3genE5ELNS1_11target_archE942ELNS1_3gpuE9ELNS1_3repE0EEENS1_30default_config_static_selectorELNS0_4arch9wavefront6targetE0EEEvSV_
	.globl	_ZN7rocprim17ROCPRIM_400000_NS6detail17trampoline_kernelINS0_14default_configENS1_27lower_bound_config_selectorIslEEZNS1_14transform_implILb0ES3_S5_N6thrust23THRUST_200600_302600_NS6detail15normal_iteratorINS8_7pointerIsNS8_11hip_rocprim3tagENS8_11use_defaultESE_EEEENSA_INSB_IlSD_SE_SE_EEEEZNS1_13binary_searchIS3_S5_NSA_INS8_10device_ptrIsEEEESG_SI_NS1_21lower_bound_search_opENS9_16wrapped_functionINS8_7greaterIsEEbEEEE10hipError_tPvRmT1_T2_T3_mmT4_T5_P12ihipStream_tbEUlRKsE_EESS_SW_SX_mSY_S11_bEUlT_E_NS1_11comp_targetILNS1_3genE5ELNS1_11target_archE942ELNS1_3gpuE9ELNS1_3repE0EEENS1_30default_config_static_selectorELNS0_4arch9wavefront6targetE0EEEvSV_
	.p2align	8
	.type	_ZN7rocprim17ROCPRIM_400000_NS6detail17trampoline_kernelINS0_14default_configENS1_27lower_bound_config_selectorIslEEZNS1_14transform_implILb0ES3_S5_N6thrust23THRUST_200600_302600_NS6detail15normal_iteratorINS8_7pointerIsNS8_11hip_rocprim3tagENS8_11use_defaultESE_EEEENSA_INSB_IlSD_SE_SE_EEEEZNS1_13binary_searchIS3_S5_NSA_INS8_10device_ptrIsEEEESG_SI_NS1_21lower_bound_search_opENS9_16wrapped_functionINS8_7greaterIsEEbEEEE10hipError_tPvRmT1_T2_T3_mmT4_T5_P12ihipStream_tbEUlRKsE_EESS_SW_SX_mSY_S11_bEUlT_E_NS1_11comp_targetILNS1_3genE5ELNS1_11target_archE942ELNS1_3gpuE9ELNS1_3repE0EEENS1_30default_config_static_selectorELNS0_4arch9wavefront6targetE0EEEvSV_,@function
_ZN7rocprim17ROCPRIM_400000_NS6detail17trampoline_kernelINS0_14default_configENS1_27lower_bound_config_selectorIslEEZNS1_14transform_implILb0ES3_S5_N6thrust23THRUST_200600_302600_NS6detail15normal_iteratorINS8_7pointerIsNS8_11hip_rocprim3tagENS8_11use_defaultESE_EEEENSA_INSB_IlSD_SE_SE_EEEEZNS1_13binary_searchIS3_S5_NSA_INS8_10device_ptrIsEEEESG_SI_NS1_21lower_bound_search_opENS9_16wrapped_functionINS8_7greaterIsEEbEEEE10hipError_tPvRmT1_T2_T3_mmT4_T5_P12ihipStream_tbEUlRKsE_EESS_SW_SX_mSY_S11_bEUlT_E_NS1_11comp_targetILNS1_3genE5ELNS1_11target_archE942ELNS1_3gpuE9ELNS1_3repE0EEENS1_30default_config_static_selectorELNS0_4arch9wavefront6targetE0EEEvSV_: ; @_ZN7rocprim17ROCPRIM_400000_NS6detail17trampoline_kernelINS0_14default_configENS1_27lower_bound_config_selectorIslEEZNS1_14transform_implILb0ES3_S5_N6thrust23THRUST_200600_302600_NS6detail15normal_iteratorINS8_7pointerIsNS8_11hip_rocprim3tagENS8_11use_defaultESE_EEEENSA_INSB_IlSD_SE_SE_EEEEZNS1_13binary_searchIS3_S5_NSA_INS8_10device_ptrIsEEEESG_SI_NS1_21lower_bound_search_opENS9_16wrapped_functionINS8_7greaterIsEEbEEEE10hipError_tPvRmT1_T2_T3_mmT4_T5_P12ihipStream_tbEUlRKsE_EESS_SW_SX_mSY_S11_bEUlT_E_NS1_11comp_targetILNS1_3genE5ELNS1_11target_archE942ELNS1_3gpuE9ELNS1_3repE0EEENS1_30default_config_static_selectorELNS0_4arch9wavefront6targetE0EEEvSV_
; %bb.0:
	.section	.rodata,"a",@progbits
	.p2align	6, 0x0
	.amdhsa_kernel _ZN7rocprim17ROCPRIM_400000_NS6detail17trampoline_kernelINS0_14default_configENS1_27lower_bound_config_selectorIslEEZNS1_14transform_implILb0ES3_S5_N6thrust23THRUST_200600_302600_NS6detail15normal_iteratorINS8_7pointerIsNS8_11hip_rocprim3tagENS8_11use_defaultESE_EEEENSA_INSB_IlSD_SE_SE_EEEEZNS1_13binary_searchIS3_S5_NSA_INS8_10device_ptrIsEEEESG_SI_NS1_21lower_bound_search_opENS9_16wrapped_functionINS8_7greaterIsEEbEEEE10hipError_tPvRmT1_T2_T3_mmT4_T5_P12ihipStream_tbEUlRKsE_EESS_SW_SX_mSY_S11_bEUlT_E_NS1_11comp_targetILNS1_3genE5ELNS1_11target_archE942ELNS1_3gpuE9ELNS1_3repE0EEENS1_30default_config_static_selectorELNS0_4arch9wavefront6targetE0EEEvSV_
		.amdhsa_group_segment_fixed_size 0
		.amdhsa_private_segment_fixed_size 0
		.amdhsa_kernarg_size 56
		.amdhsa_user_sgpr_count 2
		.amdhsa_user_sgpr_dispatch_ptr 0
		.amdhsa_user_sgpr_queue_ptr 0
		.amdhsa_user_sgpr_kernarg_segment_ptr 1
		.amdhsa_user_sgpr_dispatch_id 0
		.amdhsa_user_sgpr_kernarg_preload_length 0
		.amdhsa_user_sgpr_kernarg_preload_offset 0
		.amdhsa_user_sgpr_private_segment_size 0
		.amdhsa_wavefront_size32 1
		.amdhsa_uses_dynamic_stack 0
		.amdhsa_enable_private_segment 0
		.amdhsa_system_sgpr_workgroup_id_x 1
		.amdhsa_system_sgpr_workgroup_id_y 0
		.amdhsa_system_sgpr_workgroup_id_z 0
		.amdhsa_system_sgpr_workgroup_info 0
		.amdhsa_system_vgpr_workitem_id 0
		.amdhsa_next_free_vgpr 1
		.amdhsa_next_free_sgpr 1
		.amdhsa_named_barrier_count 0
		.amdhsa_reserve_vcc 0
		.amdhsa_float_round_mode_32 0
		.amdhsa_float_round_mode_16_64 0
		.amdhsa_float_denorm_mode_32 3
		.amdhsa_float_denorm_mode_16_64 3
		.amdhsa_fp16_overflow 0
		.amdhsa_memory_ordered 1
		.amdhsa_forward_progress 1
		.amdhsa_inst_pref_size 0
		.amdhsa_round_robin_scheduling 0
		.amdhsa_exception_fp_ieee_invalid_op 0
		.amdhsa_exception_fp_denorm_src 0
		.amdhsa_exception_fp_ieee_div_zero 0
		.amdhsa_exception_fp_ieee_overflow 0
		.amdhsa_exception_fp_ieee_underflow 0
		.amdhsa_exception_fp_ieee_inexact 0
		.amdhsa_exception_int_div_zero 0
	.end_amdhsa_kernel
	.section	.text._ZN7rocprim17ROCPRIM_400000_NS6detail17trampoline_kernelINS0_14default_configENS1_27lower_bound_config_selectorIslEEZNS1_14transform_implILb0ES3_S5_N6thrust23THRUST_200600_302600_NS6detail15normal_iteratorINS8_7pointerIsNS8_11hip_rocprim3tagENS8_11use_defaultESE_EEEENSA_INSB_IlSD_SE_SE_EEEEZNS1_13binary_searchIS3_S5_NSA_INS8_10device_ptrIsEEEESG_SI_NS1_21lower_bound_search_opENS9_16wrapped_functionINS8_7greaterIsEEbEEEE10hipError_tPvRmT1_T2_T3_mmT4_T5_P12ihipStream_tbEUlRKsE_EESS_SW_SX_mSY_S11_bEUlT_E_NS1_11comp_targetILNS1_3genE5ELNS1_11target_archE942ELNS1_3gpuE9ELNS1_3repE0EEENS1_30default_config_static_selectorELNS0_4arch9wavefront6targetE0EEEvSV_,"axG",@progbits,_ZN7rocprim17ROCPRIM_400000_NS6detail17trampoline_kernelINS0_14default_configENS1_27lower_bound_config_selectorIslEEZNS1_14transform_implILb0ES3_S5_N6thrust23THRUST_200600_302600_NS6detail15normal_iteratorINS8_7pointerIsNS8_11hip_rocprim3tagENS8_11use_defaultESE_EEEENSA_INSB_IlSD_SE_SE_EEEEZNS1_13binary_searchIS3_S5_NSA_INS8_10device_ptrIsEEEESG_SI_NS1_21lower_bound_search_opENS9_16wrapped_functionINS8_7greaterIsEEbEEEE10hipError_tPvRmT1_T2_T3_mmT4_T5_P12ihipStream_tbEUlRKsE_EESS_SW_SX_mSY_S11_bEUlT_E_NS1_11comp_targetILNS1_3genE5ELNS1_11target_archE942ELNS1_3gpuE9ELNS1_3repE0EEENS1_30default_config_static_selectorELNS0_4arch9wavefront6targetE0EEEvSV_,comdat
.Lfunc_end12:
	.size	_ZN7rocprim17ROCPRIM_400000_NS6detail17trampoline_kernelINS0_14default_configENS1_27lower_bound_config_selectorIslEEZNS1_14transform_implILb0ES3_S5_N6thrust23THRUST_200600_302600_NS6detail15normal_iteratorINS8_7pointerIsNS8_11hip_rocprim3tagENS8_11use_defaultESE_EEEENSA_INSB_IlSD_SE_SE_EEEEZNS1_13binary_searchIS3_S5_NSA_INS8_10device_ptrIsEEEESG_SI_NS1_21lower_bound_search_opENS9_16wrapped_functionINS8_7greaterIsEEbEEEE10hipError_tPvRmT1_T2_T3_mmT4_T5_P12ihipStream_tbEUlRKsE_EESS_SW_SX_mSY_S11_bEUlT_E_NS1_11comp_targetILNS1_3genE5ELNS1_11target_archE942ELNS1_3gpuE9ELNS1_3repE0EEENS1_30default_config_static_selectorELNS0_4arch9wavefront6targetE0EEEvSV_, .Lfunc_end12-_ZN7rocprim17ROCPRIM_400000_NS6detail17trampoline_kernelINS0_14default_configENS1_27lower_bound_config_selectorIslEEZNS1_14transform_implILb0ES3_S5_N6thrust23THRUST_200600_302600_NS6detail15normal_iteratorINS8_7pointerIsNS8_11hip_rocprim3tagENS8_11use_defaultESE_EEEENSA_INSB_IlSD_SE_SE_EEEEZNS1_13binary_searchIS3_S5_NSA_INS8_10device_ptrIsEEEESG_SI_NS1_21lower_bound_search_opENS9_16wrapped_functionINS8_7greaterIsEEbEEEE10hipError_tPvRmT1_T2_T3_mmT4_T5_P12ihipStream_tbEUlRKsE_EESS_SW_SX_mSY_S11_bEUlT_E_NS1_11comp_targetILNS1_3genE5ELNS1_11target_archE942ELNS1_3gpuE9ELNS1_3repE0EEENS1_30default_config_static_selectorELNS0_4arch9wavefront6targetE0EEEvSV_
                                        ; -- End function
	.set _ZN7rocprim17ROCPRIM_400000_NS6detail17trampoline_kernelINS0_14default_configENS1_27lower_bound_config_selectorIslEEZNS1_14transform_implILb0ES3_S5_N6thrust23THRUST_200600_302600_NS6detail15normal_iteratorINS8_7pointerIsNS8_11hip_rocprim3tagENS8_11use_defaultESE_EEEENSA_INSB_IlSD_SE_SE_EEEEZNS1_13binary_searchIS3_S5_NSA_INS8_10device_ptrIsEEEESG_SI_NS1_21lower_bound_search_opENS9_16wrapped_functionINS8_7greaterIsEEbEEEE10hipError_tPvRmT1_T2_T3_mmT4_T5_P12ihipStream_tbEUlRKsE_EESS_SW_SX_mSY_S11_bEUlT_E_NS1_11comp_targetILNS1_3genE5ELNS1_11target_archE942ELNS1_3gpuE9ELNS1_3repE0EEENS1_30default_config_static_selectorELNS0_4arch9wavefront6targetE0EEEvSV_.num_vgpr, 0
	.set _ZN7rocprim17ROCPRIM_400000_NS6detail17trampoline_kernelINS0_14default_configENS1_27lower_bound_config_selectorIslEEZNS1_14transform_implILb0ES3_S5_N6thrust23THRUST_200600_302600_NS6detail15normal_iteratorINS8_7pointerIsNS8_11hip_rocprim3tagENS8_11use_defaultESE_EEEENSA_INSB_IlSD_SE_SE_EEEEZNS1_13binary_searchIS3_S5_NSA_INS8_10device_ptrIsEEEESG_SI_NS1_21lower_bound_search_opENS9_16wrapped_functionINS8_7greaterIsEEbEEEE10hipError_tPvRmT1_T2_T3_mmT4_T5_P12ihipStream_tbEUlRKsE_EESS_SW_SX_mSY_S11_bEUlT_E_NS1_11comp_targetILNS1_3genE5ELNS1_11target_archE942ELNS1_3gpuE9ELNS1_3repE0EEENS1_30default_config_static_selectorELNS0_4arch9wavefront6targetE0EEEvSV_.num_agpr, 0
	.set _ZN7rocprim17ROCPRIM_400000_NS6detail17trampoline_kernelINS0_14default_configENS1_27lower_bound_config_selectorIslEEZNS1_14transform_implILb0ES3_S5_N6thrust23THRUST_200600_302600_NS6detail15normal_iteratorINS8_7pointerIsNS8_11hip_rocprim3tagENS8_11use_defaultESE_EEEENSA_INSB_IlSD_SE_SE_EEEEZNS1_13binary_searchIS3_S5_NSA_INS8_10device_ptrIsEEEESG_SI_NS1_21lower_bound_search_opENS9_16wrapped_functionINS8_7greaterIsEEbEEEE10hipError_tPvRmT1_T2_T3_mmT4_T5_P12ihipStream_tbEUlRKsE_EESS_SW_SX_mSY_S11_bEUlT_E_NS1_11comp_targetILNS1_3genE5ELNS1_11target_archE942ELNS1_3gpuE9ELNS1_3repE0EEENS1_30default_config_static_selectorELNS0_4arch9wavefront6targetE0EEEvSV_.numbered_sgpr, 0
	.set _ZN7rocprim17ROCPRIM_400000_NS6detail17trampoline_kernelINS0_14default_configENS1_27lower_bound_config_selectorIslEEZNS1_14transform_implILb0ES3_S5_N6thrust23THRUST_200600_302600_NS6detail15normal_iteratorINS8_7pointerIsNS8_11hip_rocprim3tagENS8_11use_defaultESE_EEEENSA_INSB_IlSD_SE_SE_EEEEZNS1_13binary_searchIS3_S5_NSA_INS8_10device_ptrIsEEEESG_SI_NS1_21lower_bound_search_opENS9_16wrapped_functionINS8_7greaterIsEEbEEEE10hipError_tPvRmT1_T2_T3_mmT4_T5_P12ihipStream_tbEUlRKsE_EESS_SW_SX_mSY_S11_bEUlT_E_NS1_11comp_targetILNS1_3genE5ELNS1_11target_archE942ELNS1_3gpuE9ELNS1_3repE0EEENS1_30default_config_static_selectorELNS0_4arch9wavefront6targetE0EEEvSV_.num_named_barrier, 0
	.set _ZN7rocprim17ROCPRIM_400000_NS6detail17trampoline_kernelINS0_14default_configENS1_27lower_bound_config_selectorIslEEZNS1_14transform_implILb0ES3_S5_N6thrust23THRUST_200600_302600_NS6detail15normal_iteratorINS8_7pointerIsNS8_11hip_rocprim3tagENS8_11use_defaultESE_EEEENSA_INSB_IlSD_SE_SE_EEEEZNS1_13binary_searchIS3_S5_NSA_INS8_10device_ptrIsEEEESG_SI_NS1_21lower_bound_search_opENS9_16wrapped_functionINS8_7greaterIsEEbEEEE10hipError_tPvRmT1_T2_T3_mmT4_T5_P12ihipStream_tbEUlRKsE_EESS_SW_SX_mSY_S11_bEUlT_E_NS1_11comp_targetILNS1_3genE5ELNS1_11target_archE942ELNS1_3gpuE9ELNS1_3repE0EEENS1_30default_config_static_selectorELNS0_4arch9wavefront6targetE0EEEvSV_.private_seg_size, 0
	.set _ZN7rocprim17ROCPRIM_400000_NS6detail17trampoline_kernelINS0_14default_configENS1_27lower_bound_config_selectorIslEEZNS1_14transform_implILb0ES3_S5_N6thrust23THRUST_200600_302600_NS6detail15normal_iteratorINS8_7pointerIsNS8_11hip_rocprim3tagENS8_11use_defaultESE_EEEENSA_INSB_IlSD_SE_SE_EEEEZNS1_13binary_searchIS3_S5_NSA_INS8_10device_ptrIsEEEESG_SI_NS1_21lower_bound_search_opENS9_16wrapped_functionINS8_7greaterIsEEbEEEE10hipError_tPvRmT1_T2_T3_mmT4_T5_P12ihipStream_tbEUlRKsE_EESS_SW_SX_mSY_S11_bEUlT_E_NS1_11comp_targetILNS1_3genE5ELNS1_11target_archE942ELNS1_3gpuE9ELNS1_3repE0EEENS1_30default_config_static_selectorELNS0_4arch9wavefront6targetE0EEEvSV_.uses_vcc, 0
	.set _ZN7rocprim17ROCPRIM_400000_NS6detail17trampoline_kernelINS0_14default_configENS1_27lower_bound_config_selectorIslEEZNS1_14transform_implILb0ES3_S5_N6thrust23THRUST_200600_302600_NS6detail15normal_iteratorINS8_7pointerIsNS8_11hip_rocprim3tagENS8_11use_defaultESE_EEEENSA_INSB_IlSD_SE_SE_EEEEZNS1_13binary_searchIS3_S5_NSA_INS8_10device_ptrIsEEEESG_SI_NS1_21lower_bound_search_opENS9_16wrapped_functionINS8_7greaterIsEEbEEEE10hipError_tPvRmT1_T2_T3_mmT4_T5_P12ihipStream_tbEUlRKsE_EESS_SW_SX_mSY_S11_bEUlT_E_NS1_11comp_targetILNS1_3genE5ELNS1_11target_archE942ELNS1_3gpuE9ELNS1_3repE0EEENS1_30default_config_static_selectorELNS0_4arch9wavefront6targetE0EEEvSV_.uses_flat_scratch, 0
	.set _ZN7rocprim17ROCPRIM_400000_NS6detail17trampoline_kernelINS0_14default_configENS1_27lower_bound_config_selectorIslEEZNS1_14transform_implILb0ES3_S5_N6thrust23THRUST_200600_302600_NS6detail15normal_iteratorINS8_7pointerIsNS8_11hip_rocprim3tagENS8_11use_defaultESE_EEEENSA_INSB_IlSD_SE_SE_EEEEZNS1_13binary_searchIS3_S5_NSA_INS8_10device_ptrIsEEEESG_SI_NS1_21lower_bound_search_opENS9_16wrapped_functionINS8_7greaterIsEEbEEEE10hipError_tPvRmT1_T2_T3_mmT4_T5_P12ihipStream_tbEUlRKsE_EESS_SW_SX_mSY_S11_bEUlT_E_NS1_11comp_targetILNS1_3genE5ELNS1_11target_archE942ELNS1_3gpuE9ELNS1_3repE0EEENS1_30default_config_static_selectorELNS0_4arch9wavefront6targetE0EEEvSV_.has_dyn_sized_stack, 0
	.set _ZN7rocprim17ROCPRIM_400000_NS6detail17trampoline_kernelINS0_14default_configENS1_27lower_bound_config_selectorIslEEZNS1_14transform_implILb0ES3_S5_N6thrust23THRUST_200600_302600_NS6detail15normal_iteratorINS8_7pointerIsNS8_11hip_rocprim3tagENS8_11use_defaultESE_EEEENSA_INSB_IlSD_SE_SE_EEEEZNS1_13binary_searchIS3_S5_NSA_INS8_10device_ptrIsEEEESG_SI_NS1_21lower_bound_search_opENS9_16wrapped_functionINS8_7greaterIsEEbEEEE10hipError_tPvRmT1_T2_T3_mmT4_T5_P12ihipStream_tbEUlRKsE_EESS_SW_SX_mSY_S11_bEUlT_E_NS1_11comp_targetILNS1_3genE5ELNS1_11target_archE942ELNS1_3gpuE9ELNS1_3repE0EEENS1_30default_config_static_selectorELNS0_4arch9wavefront6targetE0EEEvSV_.has_recursion, 0
	.set _ZN7rocprim17ROCPRIM_400000_NS6detail17trampoline_kernelINS0_14default_configENS1_27lower_bound_config_selectorIslEEZNS1_14transform_implILb0ES3_S5_N6thrust23THRUST_200600_302600_NS6detail15normal_iteratorINS8_7pointerIsNS8_11hip_rocprim3tagENS8_11use_defaultESE_EEEENSA_INSB_IlSD_SE_SE_EEEEZNS1_13binary_searchIS3_S5_NSA_INS8_10device_ptrIsEEEESG_SI_NS1_21lower_bound_search_opENS9_16wrapped_functionINS8_7greaterIsEEbEEEE10hipError_tPvRmT1_T2_T3_mmT4_T5_P12ihipStream_tbEUlRKsE_EESS_SW_SX_mSY_S11_bEUlT_E_NS1_11comp_targetILNS1_3genE5ELNS1_11target_archE942ELNS1_3gpuE9ELNS1_3repE0EEENS1_30default_config_static_selectorELNS0_4arch9wavefront6targetE0EEEvSV_.has_indirect_call, 0
	.section	.AMDGPU.csdata,"",@progbits
; Kernel info:
; codeLenInByte = 0
; TotalNumSgprs: 0
; NumVgprs: 0
; ScratchSize: 0
; MemoryBound: 0
; FloatMode: 240
; IeeeMode: 1
; LDSByteSize: 0 bytes/workgroup (compile time only)
; SGPRBlocks: 0
; VGPRBlocks: 0
; NumSGPRsForWavesPerEU: 1
; NumVGPRsForWavesPerEU: 1
; NamedBarCnt: 0
; Occupancy: 16
; WaveLimiterHint : 0
; COMPUTE_PGM_RSRC2:SCRATCH_EN: 0
; COMPUTE_PGM_RSRC2:USER_SGPR: 2
; COMPUTE_PGM_RSRC2:TRAP_HANDLER: 0
; COMPUTE_PGM_RSRC2:TGID_X_EN: 1
; COMPUTE_PGM_RSRC2:TGID_Y_EN: 0
; COMPUTE_PGM_RSRC2:TGID_Z_EN: 0
; COMPUTE_PGM_RSRC2:TIDIG_COMP_CNT: 0
	.section	.text._ZN7rocprim17ROCPRIM_400000_NS6detail17trampoline_kernelINS0_14default_configENS1_27lower_bound_config_selectorIslEEZNS1_14transform_implILb0ES3_S5_N6thrust23THRUST_200600_302600_NS6detail15normal_iteratorINS8_7pointerIsNS8_11hip_rocprim3tagENS8_11use_defaultESE_EEEENSA_INSB_IlSD_SE_SE_EEEEZNS1_13binary_searchIS3_S5_NSA_INS8_10device_ptrIsEEEESG_SI_NS1_21lower_bound_search_opENS9_16wrapped_functionINS8_7greaterIsEEbEEEE10hipError_tPvRmT1_T2_T3_mmT4_T5_P12ihipStream_tbEUlRKsE_EESS_SW_SX_mSY_S11_bEUlT_E_NS1_11comp_targetILNS1_3genE4ELNS1_11target_archE910ELNS1_3gpuE8ELNS1_3repE0EEENS1_30default_config_static_selectorELNS0_4arch9wavefront6targetE0EEEvSV_,"axG",@progbits,_ZN7rocprim17ROCPRIM_400000_NS6detail17trampoline_kernelINS0_14default_configENS1_27lower_bound_config_selectorIslEEZNS1_14transform_implILb0ES3_S5_N6thrust23THRUST_200600_302600_NS6detail15normal_iteratorINS8_7pointerIsNS8_11hip_rocprim3tagENS8_11use_defaultESE_EEEENSA_INSB_IlSD_SE_SE_EEEEZNS1_13binary_searchIS3_S5_NSA_INS8_10device_ptrIsEEEESG_SI_NS1_21lower_bound_search_opENS9_16wrapped_functionINS8_7greaterIsEEbEEEE10hipError_tPvRmT1_T2_T3_mmT4_T5_P12ihipStream_tbEUlRKsE_EESS_SW_SX_mSY_S11_bEUlT_E_NS1_11comp_targetILNS1_3genE4ELNS1_11target_archE910ELNS1_3gpuE8ELNS1_3repE0EEENS1_30default_config_static_selectorELNS0_4arch9wavefront6targetE0EEEvSV_,comdat
	.protected	_ZN7rocprim17ROCPRIM_400000_NS6detail17trampoline_kernelINS0_14default_configENS1_27lower_bound_config_selectorIslEEZNS1_14transform_implILb0ES3_S5_N6thrust23THRUST_200600_302600_NS6detail15normal_iteratorINS8_7pointerIsNS8_11hip_rocprim3tagENS8_11use_defaultESE_EEEENSA_INSB_IlSD_SE_SE_EEEEZNS1_13binary_searchIS3_S5_NSA_INS8_10device_ptrIsEEEESG_SI_NS1_21lower_bound_search_opENS9_16wrapped_functionINS8_7greaterIsEEbEEEE10hipError_tPvRmT1_T2_T3_mmT4_T5_P12ihipStream_tbEUlRKsE_EESS_SW_SX_mSY_S11_bEUlT_E_NS1_11comp_targetILNS1_3genE4ELNS1_11target_archE910ELNS1_3gpuE8ELNS1_3repE0EEENS1_30default_config_static_selectorELNS0_4arch9wavefront6targetE0EEEvSV_ ; -- Begin function _ZN7rocprim17ROCPRIM_400000_NS6detail17trampoline_kernelINS0_14default_configENS1_27lower_bound_config_selectorIslEEZNS1_14transform_implILb0ES3_S5_N6thrust23THRUST_200600_302600_NS6detail15normal_iteratorINS8_7pointerIsNS8_11hip_rocprim3tagENS8_11use_defaultESE_EEEENSA_INSB_IlSD_SE_SE_EEEEZNS1_13binary_searchIS3_S5_NSA_INS8_10device_ptrIsEEEESG_SI_NS1_21lower_bound_search_opENS9_16wrapped_functionINS8_7greaterIsEEbEEEE10hipError_tPvRmT1_T2_T3_mmT4_T5_P12ihipStream_tbEUlRKsE_EESS_SW_SX_mSY_S11_bEUlT_E_NS1_11comp_targetILNS1_3genE4ELNS1_11target_archE910ELNS1_3gpuE8ELNS1_3repE0EEENS1_30default_config_static_selectorELNS0_4arch9wavefront6targetE0EEEvSV_
	.globl	_ZN7rocprim17ROCPRIM_400000_NS6detail17trampoline_kernelINS0_14default_configENS1_27lower_bound_config_selectorIslEEZNS1_14transform_implILb0ES3_S5_N6thrust23THRUST_200600_302600_NS6detail15normal_iteratorINS8_7pointerIsNS8_11hip_rocprim3tagENS8_11use_defaultESE_EEEENSA_INSB_IlSD_SE_SE_EEEEZNS1_13binary_searchIS3_S5_NSA_INS8_10device_ptrIsEEEESG_SI_NS1_21lower_bound_search_opENS9_16wrapped_functionINS8_7greaterIsEEbEEEE10hipError_tPvRmT1_T2_T3_mmT4_T5_P12ihipStream_tbEUlRKsE_EESS_SW_SX_mSY_S11_bEUlT_E_NS1_11comp_targetILNS1_3genE4ELNS1_11target_archE910ELNS1_3gpuE8ELNS1_3repE0EEENS1_30default_config_static_selectorELNS0_4arch9wavefront6targetE0EEEvSV_
	.p2align	8
	.type	_ZN7rocprim17ROCPRIM_400000_NS6detail17trampoline_kernelINS0_14default_configENS1_27lower_bound_config_selectorIslEEZNS1_14transform_implILb0ES3_S5_N6thrust23THRUST_200600_302600_NS6detail15normal_iteratorINS8_7pointerIsNS8_11hip_rocprim3tagENS8_11use_defaultESE_EEEENSA_INSB_IlSD_SE_SE_EEEEZNS1_13binary_searchIS3_S5_NSA_INS8_10device_ptrIsEEEESG_SI_NS1_21lower_bound_search_opENS9_16wrapped_functionINS8_7greaterIsEEbEEEE10hipError_tPvRmT1_T2_T3_mmT4_T5_P12ihipStream_tbEUlRKsE_EESS_SW_SX_mSY_S11_bEUlT_E_NS1_11comp_targetILNS1_3genE4ELNS1_11target_archE910ELNS1_3gpuE8ELNS1_3repE0EEENS1_30default_config_static_selectorELNS0_4arch9wavefront6targetE0EEEvSV_,@function
_ZN7rocprim17ROCPRIM_400000_NS6detail17trampoline_kernelINS0_14default_configENS1_27lower_bound_config_selectorIslEEZNS1_14transform_implILb0ES3_S5_N6thrust23THRUST_200600_302600_NS6detail15normal_iteratorINS8_7pointerIsNS8_11hip_rocprim3tagENS8_11use_defaultESE_EEEENSA_INSB_IlSD_SE_SE_EEEEZNS1_13binary_searchIS3_S5_NSA_INS8_10device_ptrIsEEEESG_SI_NS1_21lower_bound_search_opENS9_16wrapped_functionINS8_7greaterIsEEbEEEE10hipError_tPvRmT1_T2_T3_mmT4_T5_P12ihipStream_tbEUlRKsE_EESS_SW_SX_mSY_S11_bEUlT_E_NS1_11comp_targetILNS1_3genE4ELNS1_11target_archE910ELNS1_3gpuE8ELNS1_3repE0EEENS1_30default_config_static_selectorELNS0_4arch9wavefront6targetE0EEEvSV_: ; @_ZN7rocprim17ROCPRIM_400000_NS6detail17trampoline_kernelINS0_14default_configENS1_27lower_bound_config_selectorIslEEZNS1_14transform_implILb0ES3_S5_N6thrust23THRUST_200600_302600_NS6detail15normal_iteratorINS8_7pointerIsNS8_11hip_rocprim3tagENS8_11use_defaultESE_EEEENSA_INSB_IlSD_SE_SE_EEEEZNS1_13binary_searchIS3_S5_NSA_INS8_10device_ptrIsEEEESG_SI_NS1_21lower_bound_search_opENS9_16wrapped_functionINS8_7greaterIsEEbEEEE10hipError_tPvRmT1_T2_T3_mmT4_T5_P12ihipStream_tbEUlRKsE_EESS_SW_SX_mSY_S11_bEUlT_E_NS1_11comp_targetILNS1_3genE4ELNS1_11target_archE910ELNS1_3gpuE8ELNS1_3repE0EEENS1_30default_config_static_selectorELNS0_4arch9wavefront6targetE0EEEvSV_
; %bb.0:
	.section	.rodata,"a",@progbits
	.p2align	6, 0x0
	.amdhsa_kernel _ZN7rocprim17ROCPRIM_400000_NS6detail17trampoline_kernelINS0_14default_configENS1_27lower_bound_config_selectorIslEEZNS1_14transform_implILb0ES3_S5_N6thrust23THRUST_200600_302600_NS6detail15normal_iteratorINS8_7pointerIsNS8_11hip_rocprim3tagENS8_11use_defaultESE_EEEENSA_INSB_IlSD_SE_SE_EEEEZNS1_13binary_searchIS3_S5_NSA_INS8_10device_ptrIsEEEESG_SI_NS1_21lower_bound_search_opENS9_16wrapped_functionINS8_7greaterIsEEbEEEE10hipError_tPvRmT1_T2_T3_mmT4_T5_P12ihipStream_tbEUlRKsE_EESS_SW_SX_mSY_S11_bEUlT_E_NS1_11comp_targetILNS1_3genE4ELNS1_11target_archE910ELNS1_3gpuE8ELNS1_3repE0EEENS1_30default_config_static_selectorELNS0_4arch9wavefront6targetE0EEEvSV_
		.amdhsa_group_segment_fixed_size 0
		.amdhsa_private_segment_fixed_size 0
		.amdhsa_kernarg_size 56
		.amdhsa_user_sgpr_count 2
		.amdhsa_user_sgpr_dispatch_ptr 0
		.amdhsa_user_sgpr_queue_ptr 0
		.amdhsa_user_sgpr_kernarg_segment_ptr 1
		.amdhsa_user_sgpr_dispatch_id 0
		.amdhsa_user_sgpr_kernarg_preload_length 0
		.amdhsa_user_sgpr_kernarg_preload_offset 0
		.amdhsa_user_sgpr_private_segment_size 0
		.amdhsa_wavefront_size32 1
		.amdhsa_uses_dynamic_stack 0
		.amdhsa_enable_private_segment 0
		.amdhsa_system_sgpr_workgroup_id_x 1
		.amdhsa_system_sgpr_workgroup_id_y 0
		.amdhsa_system_sgpr_workgroup_id_z 0
		.amdhsa_system_sgpr_workgroup_info 0
		.amdhsa_system_vgpr_workitem_id 0
		.amdhsa_next_free_vgpr 1
		.amdhsa_next_free_sgpr 1
		.amdhsa_named_barrier_count 0
		.amdhsa_reserve_vcc 0
		.amdhsa_float_round_mode_32 0
		.amdhsa_float_round_mode_16_64 0
		.amdhsa_float_denorm_mode_32 3
		.amdhsa_float_denorm_mode_16_64 3
		.amdhsa_fp16_overflow 0
		.amdhsa_memory_ordered 1
		.amdhsa_forward_progress 1
		.amdhsa_inst_pref_size 0
		.amdhsa_round_robin_scheduling 0
		.amdhsa_exception_fp_ieee_invalid_op 0
		.amdhsa_exception_fp_denorm_src 0
		.amdhsa_exception_fp_ieee_div_zero 0
		.amdhsa_exception_fp_ieee_overflow 0
		.amdhsa_exception_fp_ieee_underflow 0
		.amdhsa_exception_fp_ieee_inexact 0
		.amdhsa_exception_int_div_zero 0
	.end_amdhsa_kernel
	.section	.text._ZN7rocprim17ROCPRIM_400000_NS6detail17trampoline_kernelINS0_14default_configENS1_27lower_bound_config_selectorIslEEZNS1_14transform_implILb0ES3_S5_N6thrust23THRUST_200600_302600_NS6detail15normal_iteratorINS8_7pointerIsNS8_11hip_rocprim3tagENS8_11use_defaultESE_EEEENSA_INSB_IlSD_SE_SE_EEEEZNS1_13binary_searchIS3_S5_NSA_INS8_10device_ptrIsEEEESG_SI_NS1_21lower_bound_search_opENS9_16wrapped_functionINS8_7greaterIsEEbEEEE10hipError_tPvRmT1_T2_T3_mmT4_T5_P12ihipStream_tbEUlRKsE_EESS_SW_SX_mSY_S11_bEUlT_E_NS1_11comp_targetILNS1_3genE4ELNS1_11target_archE910ELNS1_3gpuE8ELNS1_3repE0EEENS1_30default_config_static_selectorELNS0_4arch9wavefront6targetE0EEEvSV_,"axG",@progbits,_ZN7rocprim17ROCPRIM_400000_NS6detail17trampoline_kernelINS0_14default_configENS1_27lower_bound_config_selectorIslEEZNS1_14transform_implILb0ES3_S5_N6thrust23THRUST_200600_302600_NS6detail15normal_iteratorINS8_7pointerIsNS8_11hip_rocprim3tagENS8_11use_defaultESE_EEEENSA_INSB_IlSD_SE_SE_EEEEZNS1_13binary_searchIS3_S5_NSA_INS8_10device_ptrIsEEEESG_SI_NS1_21lower_bound_search_opENS9_16wrapped_functionINS8_7greaterIsEEbEEEE10hipError_tPvRmT1_T2_T3_mmT4_T5_P12ihipStream_tbEUlRKsE_EESS_SW_SX_mSY_S11_bEUlT_E_NS1_11comp_targetILNS1_3genE4ELNS1_11target_archE910ELNS1_3gpuE8ELNS1_3repE0EEENS1_30default_config_static_selectorELNS0_4arch9wavefront6targetE0EEEvSV_,comdat
.Lfunc_end13:
	.size	_ZN7rocprim17ROCPRIM_400000_NS6detail17trampoline_kernelINS0_14default_configENS1_27lower_bound_config_selectorIslEEZNS1_14transform_implILb0ES3_S5_N6thrust23THRUST_200600_302600_NS6detail15normal_iteratorINS8_7pointerIsNS8_11hip_rocprim3tagENS8_11use_defaultESE_EEEENSA_INSB_IlSD_SE_SE_EEEEZNS1_13binary_searchIS3_S5_NSA_INS8_10device_ptrIsEEEESG_SI_NS1_21lower_bound_search_opENS9_16wrapped_functionINS8_7greaterIsEEbEEEE10hipError_tPvRmT1_T2_T3_mmT4_T5_P12ihipStream_tbEUlRKsE_EESS_SW_SX_mSY_S11_bEUlT_E_NS1_11comp_targetILNS1_3genE4ELNS1_11target_archE910ELNS1_3gpuE8ELNS1_3repE0EEENS1_30default_config_static_selectorELNS0_4arch9wavefront6targetE0EEEvSV_, .Lfunc_end13-_ZN7rocprim17ROCPRIM_400000_NS6detail17trampoline_kernelINS0_14default_configENS1_27lower_bound_config_selectorIslEEZNS1_14transform_implILb0ES3_S5_N6thrust23THRUST_200600_302600_NS6detail15normal_iteratorINS8_7pointerIsNS8_11hip_rocprim3tagENS8_11use_defaultESE_EEEENSA_INSB_IlSD_SE_SE_EEEEZNS1_13binary_searchIS3_S5_NSA_INS8_10device_ptrIsEEEESG_SI_NS1_21lower_bound_search_opENS9_16wrapped_functionINS8_7greaterIsEEbEEEE10hipError_tPvRmT1_T2_T3_mmT4_T5_P12ihipStream_tbEUlRKsE_EESS_SW_SX_mSY_S11_bEUlT_E_NS1_11comp_targetILNS1_3genE4ELNS1_11target_archE910ELNS1_3gpuE8ELNS1_3repE0EEENS1_30default_config_static_selectorELNS0_4arch9wavefront6targetE0EEEvSV_
                                        ; -- End function
	.set _ZN7rocprim17ROCPRIM_400000_NS6detail17trampoline_kernelINS0_14default_configENS1_27lower_bound_config_selectorIslEEZNS1_14transform_implILb0ES3_S5_N6thrust23THRUST_200600_302600_NS6detail15normal_iteratorINS8_7pointerIsNS8_11hip_rocprim3tagENS8_11use_defaultESE_EEEENSA_INSB_IlSD_SE_SE_EEEEZNS1_13binary_searchIS3_S5_NSA_INS8_10device_ptrIsEEEESG_SI_NS1_21lower_bound_search_opENS9_16wrapped_functionINS8_7greaterIsEEbEEEE10hipError_tPvRmT1_T2_T3_mmT4_T5_P12ihipStream_tbEUlRKsE_EESS_SW_SX_mSY_S11_bEUlT_E_NS1_11comp_targetILNS1_3genE4ELNS1_11target_archE910ELNS1_3gpuE8ELNS1_3repE0EEENS1_30default_config_static_selectorELNS0_4arch9wavefront6targetE0EEEvSV_.num_vgpr, 0
	.set _ZN7rocprim17ROCPRIM_400000_NS6detail17trampoline_kernelINS0_14default_configENS1_27lower_bound_config_selectorIslEEZNS1_14transform_implILb0ES3_S5_N6thrust23THRUST_200600_302600_NS6detail15normal_iteratorINS8_7pointerIsNS8_11hip_rocprim3tagENS8_11use_defaultESE_EEEENSA_INSB_IlSD_SE_SE_EEEEZNS1_13binary_searchIS3_S5_NSA_INS8_10device_ptrIsEEEESG_SI_NS1_21lower_bound_search_opENS9_16wrapped_functionINS8_7greaterIsEEbEEEE10hipError_tPvRmT1_T2_T3_mmT4_T5_P12ihipStream_tbEUlRKsE_EESS_SW_SX_mSY_S11_bEUlT_E_NS1_11comp_targetILNS1_3genE4ELNS1_11target_archE910ELNS1_3gpuE8ELNS1_3repE0EEENS1_30default_config_static_selectorELNS0_4arch9wavefront6targetE0EEEvSV_.num_agpr, 0
	.set _ZN7rocprim17ROCPRIM_400000_NS6detail17trampoline_kernelINS0_14default_configENS1_27lower_bound_config_selectorIslEEZNS1_14transform_implILb0ES3_S5_N6thrust23THRUST_200600_302600_NS6detail15normal_iteratorINS8_7pointerIsNS8_11hip_rocprim3tagENS8_11use_defaultESE_EEEENSA_INSB_IlSD_SE_SE_EEEEZNS1_13binary_searchIS3_S5_NSA_INS8_10device_ptrIsEEEESG_SI_NS1_21lower_bound_search_opENS9_16wrapped_functionINS8_7greaterIsEEbEEEE10hipError_tPvRmT1_T2_T3_mmT4_T5_P12ihipStream_tbEUlRKsE_EESS_SW_SX_mSY_S11_bEUlT_E_NS1_11comp_targetILNS1_3genE4ELNS1_11target_archE910ELNS1_3gpuE8ELNS1_3repE0EEENS1_30default_config_static_selectorELNS0_4arch9wavefront6targetE0EEEvSV_.numbered_sgpr, 0
	.set _ZN7rocprim17ROCPRIM_400000_NS6detail17trampoline_kernelINS0_14default_configENS1_27lower_bound_config_selectorIslEEZNS1_14transform_implILb0ES3_S5_N6thrust23THRUST_200600_302600_NS6detail15normal_iteratorINS8_7pointerIsNS8_11hip_rocprim3tagENS8_11use_defaultESE_EEEENSA_INSB_IlSD_SE_SE_EEEEZNS1_13binary_searchIS3_S5_NSA_INS8_10device_ptrIsEEEESG_SI_NS1_21lower_bound_search_opENS9_16wrapped_functionINS8_7greaterIsEEbEEEE10hipError_tPvRmT1_T2_T3_mmT4_T5_P12ihipStream_tbEUlRKsE_EESS_SW_SX_mSY_S11_bEUlT_E_NS1_11comp_targetILNS1_3genE4ELNS1_11target_archE910ELNS1_3gpuE8ELNS1_3repE0EEENS1_30default_config_static_selectorELNS0_4arch9wavefront6targetE0EEEvSV_.num_named_barrier, 0
	.set _ZN7rocprim17ROCPRIM_400000_NS6detail17trampoline_kernelINS0_14default_configENS1_27lower_bound_config_selectorIslEEZNS1_14transform_implILb0ES3_S5_N6thrust23THRUST_200600_302600_NS6detail15normal_iteratorINS8_7pointerIsNS8_11hip_rocprim3tagENS8_11use_defaultESE_EEEENSA_INSB_IlSD_SE_SE_EEEEZNS1_13binary_searchIS3_S5_NSA_INS8_10device_ptrIsEEEESG_SI_NS1_21lower_bound_search_opENS9_16wrapped_functionINS8_7greaterIsEEbEEEE10hipError_tPvRmT1_T2_T3_mmT4_T5_P12ihipStream_tbEUlRKsE_EESS_SW_SX_mSY_S11_bEUlT_E_NS1_11comp_targetILNS1_3genE4ELNS1_11target_archE910ELNS1_3gpuE8ELNS1_3repE0EEENS1_30default_config_static_selectorELNS0_4arch9wavefront6targetE0EEEvSV_.private_seg_size, 0
	.set _ZN7rocprim17ROCPRIM_400000_NS6detail17trampoline_kernelINS0_14default_configENS1_27lower_bound_config_selectorIslEEZNS1_14transform_implILb0ES3_S5_N6thrust23THRUST_200600_302600_NS6detail15normal_iteratorINS8_7pointerIsNS8_11hip_rocprim3tagENS8_11use_defaultESE_EEEENSA_INSB_IlSD_SE_SE_EEEEZNS1_13binary_searchIS3_S5_NSA_INS8_10device_ptrIsEEEESG_SI_NS1_21lower_bound_search_opENS9_16wrapped_functionINS8_7greaterIsEEbEEEE10hipError_tPvRmT1_T2_T3_mmT4_T5_P12ihipStream_tbEUlRKsE_EESS_SW_SX_mSY_S11_bEUlT_E_NS1_11comp_targetILNS1_3genE4ELNS1_11target_archE910ELNS1_3gpuE8ELNS1_3repE0EEENS1_30default_config_static_selectorELNS0_4arch9wavefront6targetE0EEEvSV_.uses_vcc, 0
	.set _ZN7rocprim17ROCPRIM_400000_NS6detail17trampoline_kernelINS0_14default_configENS1_27lower_bound_config_selectorIslEEZNS1_14transform_implILb0ES3_S5_N6thrust23THRUST_200600_302600_NS6detail15normal_iteratorINS8_7pointerIsNS8_11hip_rocprim3tagENS8_11use_defaultESE_EEEENSA_INSB_IlSD_SE_SE_EEEEZNS1_13binary_searchIS3_S5_NSA_INS8_10device_ptrIsEEEESG_SI_NS1_21lower_bound_search_opENS9_16wrapped_functionINS8_7greaterIsEEbEEEE10hipError_tPvRmT1_T2_T3_mmT4_T5_P12ihipStream_tbEUlRKsE_EESS_SW_SX_mSY_S11_bEUlT_E_NS1_11comp_targetILNS1_3genE4ELNS1_11target_archE910ELNS1_3gpuE8ELNS1_3repE0EEENS1_30default_config_static_selectorELNS0_4arch9wavefront6targetE0EEEvSV_.uses_flat_scratch, 0
	.set _ZN7rocprim17ROCPRIM_400000_NS6detail17trampoline_kernelINS0_14default_configENS1_27lower_bound_config_selectorIslEEZNS1_14transform_implILb0ES3_S5_N6thrust23THRUST_200600_302600_NS6detail15normal_iteratorINS8_7pointerIsNS8_11hip_rocprim3tagENS8_11use_defaultESE_EEEENSA_INSB_IlSD_SE_SE_EEEEZNS1_13binary_searchIS3_S5_NSA_INS8_10device_ptrIsEEEESG_SI_NS1_21lower_bound_search_opENS9_16wrapped_functionINS8_7greaterIsEEbEEEE10hipError_tPvRmT1_T2_T3_mmT4_T5_P12ihipStream_tbEUlRKsE_EESS_SW_SX_mSY_S11_bEUlT_E_NS1_11comp_targetILNS1_3genE4ELNS1_11target_archE910ELNS1_3gpuE8ELNS1_3repE0EEENS1_30default_config_static_selectorELNS0_4arch9wavefront6targetE0EEEvSV_.has_dyn_sized_stack, 0
	.set _ZN7rocprim17ROCPRIM_400000_NS6detail17trampoline_kernelINS0_14default_configENS1_27lower_bound_config_selectorIslEEZNS1_14transform_implILb0ES3_S5_N6thrust23THRUST_200600_302600_NS6detail15normal_iteratorINS8_7pointerIsNS8_11hip_rocprim3tagENS8_11use_defaultESE_EEEENSA_INSB_IlSD_SE_SE_EEEEZNS1_13binary_searchIS3_S5_NSA_INS8_10device_ptrIsEEEESG_SI_NS1_21lower_bound_search_opENS9_16wrapped_functionINS8_7greaterIsEEbEEEE10hipError_tPvRmT1_T2_T3_mmT4_T5_P12ihipStream_tbEUlRKsE_EESS_SW_SX_mSY_S11_bEUlT_E_NS1_11comp_targetILNS1_3genE4ELNS1_11target_archE910ELNS1_3gpuE8ELNS1_3repE0EEENS1_30default_config_static_selectorELNS0_4arch9wavefront6targetE0EEEvSV_.has_recursion, 0
	.set _ZN7rocprim17ROCPRIM_400000_NS6detail17trampoline_kernelINS0_14default_configENS1_27lower_bound_config_selectorIslEEZNS1_14transform_implILb0ES3_S5_N6thrust23THRUST_200600_302600_NS6detail15normal_iteratorINS8_7pointerIsNS8_11hip_rocprim3tagENS8_11use_defaultESE_EEEENSA_INSB_IlSD_SE_SE_EEEEZNS1_13binary_searchIS3_S5_NSA_INS8_10device_ptrIsEEEESG_SI_NS1_21lower_bound_search_opENS9_16wrapped_functionINS8_7greaterIsEEbEEEE10hipError_tPvRmT1_T2_T3_mmT4_T5_P12ihipStream_tbEUlRKsE_EESS_SW_SX_mSY_S11_bEUlT_E_NS1_11comp_targetILNS1_3genE4ELNS1_11target_archE910ELNS1_3gpuE8ELNS1_3repE0EEENS1_30default_config_static_selectorELNS0_4arch9wavefront6targetE0EEEvSV_.has_indirect_call, 0
	.section	.AMDGPU.csdata,"",@progbits
; Kernel info:
; codeLenInByte = 0
; TotalNumSgprs: 0
; NumVgprs: 0
; ScratchSize: 0
; MemoryBound: 0
; FloatMode: 240
; IeeeMode: 1
; LDSByteSize: 0 bytes/workgroup (compile time only)
; SGPRBlocks: 0
; VGPRBlocks: 0
; NumSGPRsForWavesPerEU: 1
; NumVGPRsForWavesPerEU: 1
; NamedBarCnt: 0
; Occupancy: 16
; WaveLimiterHint : 0
; COMPUTE_PGM_RSRC2:SCRATCH_EN: 0
; COMPUTE_PGM_RSRC2:USER_SGPR: 2
; COMPUTE_PGM_RSRC2:TRAP_HANDLER: 0
; COMPUTE_PGM_RSRC2:TGID_X_EN: 1
; COMPUTE_PGM_RSRC2:TGID_Y_EN: 0
; COMPUTE_PGM_RSRC2:TGID_Z_EN: 0
; COMPUTE_PGM_RSRC2:TIDIG_COMP_CNT: 0
	.section	.text._ZN7rocprim17ROCPRIM_400000_NS6detail17trampoline_kernelINS0_14default_configENS1_27lower_bound_config_selectorIslEEZNS1_14transform_implILb0ES3_S5_N6thrust23THRUST_200600_302600_NS6detail15normal_iteratorINS8_7pointerIsNS8_11hip_rocprim3tagENS8_11use_defaultESE_EEEENSA_INSB_IlSD_SE_SE_EEEEZNS1_13binary_searchIS3_S5_NSA_INS8_10device_ptrIsEEEESG_SI_NS1_21lower_bound_search_opENS9_16wrapped_functionINS8_7greaterIsEEbEEEE10hipError_tPvRmT1_T2_T3_mmT4_T5_P12ihipStream_tbEUlRKsE_EESS_SW_SX_mSY_S11_bEUlT_E_NS1_11comp_targetILNS1_3genE3ELNS1_11target_archE908ELNS1_3gpuE7ELNS1_3repE0EEENS1_30default_config_static_selectorELNS0_4arch9wavefront6targetE0EEEvSV_,"axG",@progbits,_ZN7rocprim17ROCPRIM_400000_NS6detail17trampoline_kernelINS0_14default_configENS1_27lower_bound_config_selectorIslEEZNS1_14transform_implILb0ES3_S5_N6thrust23THRUST_200600_302600_NS6detail15normal_iteratorINS8_7pointerIsNS8_11hip_rocprim3tagENS8_11use_defaultESE_EEEENSA_INSB_IlSD_SE_SE_EEEEZNS1_13binary_searchIS3_S5_NSA_INS8_10device_ptrIsEEEESG_SI_NS1_21lower_bound_search_opENS9_16wrapped_functionINS8_7greaterIsEEbEEEE10hipError_tPvRmT1_T2_T3_mmT4_T5_P12ihipStream_tbEUlRKsE_EESS_SW_SX_mSY_S11_bEUlT_E_NS1_11comp_targetILNS1_3genE3ELNS1_11target_archE908ELNS1_3gpuE7ELNS1_3repE0EEENS1_30default_config_static_selectorELNS0_4arch9wavefront6targetE0EEEvSV_,comdat
	.protected	_ZN7rocprim17ROCPRIM_400000_NS6detail17trampoline_kernelINS0_14default_configENS1_27lower_bound_config_selectorIslEEZNS1_14transform_implILb0ES3_S5_N6thrust23THRUST_200600_302600_NS6detail15normal_iteratorINS8_7pointerIsNS8_11hip_rocprim3tagENS8_11use_defaultESE_EEEENSA_INSB_IlSD_SE_SE_EEEEZNS1_13binary_searchIS3_S5_NSA_INS8_10device_ptrIsEEEESG_SI_NS1_21lower_bound_search_opENS9_16wrapped_functionINS8_7greaterIsEEbEEEE10hipError_tPvRmT1_T2_T3_mmT4_T5_P12ihipStream_tbEUlRKsE_EESS_SW_SX_mSY_S11_bEUlT_E_NS1_11comp_targetILNS1_3genE3ELNS1_11target_archE908ELNS1_3gpuE7ELNS1_3repE0EEENS1_30default_config_static_selectorELNS0_4arch9wavefront6targetE0EEEvSV_ ; -- Begin function _ZN7rocprim17ROCPRIM_400000_NS6detail17trampoline_kernelINS0_14default_configENS1_27lower_bound_config_selectorIslEEZNS1_14transform_implILb0ES3_S5_N6thrust23THRUST_200600_302600_NS6detail15normal_iteratorINS8_7pointerIsNS8_11hip_rocprim3tagENS8_11use_defaultESE_EEEENSA_INSB_IlSD_SE_SE_EEEEZNS1_13binary_searchIS3_S5_NSA_INS8_10device_ptrIsEEEESG_SI_NS1_21lower_bound_search_opENS9_16wrapped_functionINS8_7greaterIsEEbEEEE10hipError_tPvRmT1_T2_T3_mmT4_T5_P12ihipStream_tbEUlRKsE_EESS_SW_SX_mSY_S11_bEUlT_E_NS1_11comp_targetILNS1_3genE3ELNS1_11target_archE908ELNS1_3gpuE7ELNS1_3repE0EEENS1_30default_config_static_selectorELNS0_4arch9wavefront6targetE0EEEvSV_
	.globl	_ZN7rocprim17ROCPRIM_400000_NS6detail17trampoline_kernelINS0_14default_configENS1_27lower_bound_config_selectorIslEEZNS1_14transform_implILb0ES3_S5_N6thrust23THRUST_200600_302600_NS6detail15normal_iteratorINS8_7pointerIsNS8_11hip_rocprim3tagENS8_11use_defaultESE_EEEENSA_INSB_IlSD_SE_SE_EEEEZNS1_13binary_searchIS3_S5_NSA_INS8_10device_ptrIsEEEESG_SI_NS1_21lower_bound_search_opENS9_16wrapped_functionINS8_7greaterIsEEbEEEE10hipError_tPvRmT1_T2_T3_mmT4_T5_P12ihipStream_tbEUlRKsE_EESS_SW_SX_mSY_S11_bEUlT_E_NS1_11comp_targetILNS1_3genE3ELNS1_11target_archE908ELNS1_3gpuE7ELNS1_3repE0EEENS1_30default_config_static_selectorELNS0_4arch9wavefront6targetE0EEEvSV_
	.p2align	8
	.type	_ZN7rocprim17ROCPRIM_400000_NS6detail17trampoline_kernelINS0_14default_configENS1_27lower_bound_config_selectorIslEEZNS1_14transform_implILb0ES3_S5_N6thrust23THRUST_200600_302600_NS6detail15normal_iteratorINS8_7pointerIsNS8_11hip_rocprim3tagENS8_11use_defaultESE_EEEENSA_INSB_IlSD_SE_SE_EEEEZNS1_13binary_searchIS3_S5_NSA_INS8_10device_ptrIsEEEESG_SI_NS1_21lower_bound_search_opENS9_16wrapped_functionINS8_7greaterIsEEbEEEE10hipError_tPvRmT1_T2_T3_mmT4_T5_P12ihipStream_tbEUlRKsE_EESS_SW_SX_mSY_S11_bEUlT_E_NS1_11comp_targetILNS1_3genE3ELNS1_11target_archE908ELNS1_3gpuE7ELNS1_3repE0EEENS1_30default_config_static_selectorELNS0_4arch9wavefront6targetE0EEEvSV_,@function
_ZN7rocprim17ROCPRIM_400000_NS6detail17trampoline_kernelINS0_14default_configENS1_27lower_bound_config_selectorIslEEZNS1_14transform_implILb0ES3_S5_N6thrust23THRUST_200600_302600_NS6detail15normal_iteratorINS8_7pointerIsNS8_11hip_rocprim3tagENS8_11use_defaultESE_EEEENSA_INSB_IlSD_SE_SE_EEEEZNS1_13binary_searchIS3_S5_NSA_INS8_10device_ptrIsEEEESG_SI_NS1_21lower_bound_search_opENS9_16wrapped_functionINS8_7greaterIsEEbEEEE10hipError_tPvRmT1_T2_T3_mmT4_T5_P12ihipStream_tbEUlRKsE_EESS_SW_SX_mSY_S11_bEUlT_E_NS1_11comp_targetILNS1_3genE3ELNS1_11target_archE908ELNS1_3gpuE7ELNS1_3repE0EEENS1_30default_config_static_selectorELNS0_4arch9wavefront6targetE0EEEvSV_: ; @_ZN7rocprim17ROCPRIM_400000_NS6detail17trampoline_kernelINS0_14default_configENS1_27lower_bound_config_selectorIslEEZNS1_14transform_implILb0ES3_S5_N6thrust23THRUST_200600_302600_NS6detail15normal_iteratorINS8_7pointerIsNS8_11hip_rocprim3tagENS8_11use_defaultESE_EEEENSA_INSB_IlSD_SE_SE_EEEEZNS1_13binary_searchIS3_S5_NSA_INS8_10device_ptrIsEEEESG_SI_NS1_21lower_bound_search_opENS9_16wrapped_functionINS8_7greaterIsEEbEEEE10hipError_tPvRmT1_T2_T3_mmT4_T5_P12ihipStream_tbEUlRKsE_EESS_SW_SX_mSY_S11_bEUlT_E_NS1_11comp_targetILNS1_3genE3ELNS1_11target_archE908ELNS1_3gpuE7ELNS1_3repE0EEENS1_30default_config_static_selectorELNS0_4arch9wavefront6targetE0EEEvSV_
; %bb.0:
	.section	.rodata,"a",@progbits
	.p2align	6, 0x0
	.amdhsa_kernel _ZN7rocprim17ROCPRIM_400000_NS6detail17trampoline_kernelINS0_14default_configENS1_27lower_bound_config_selectorIslEEZNS1_14transform_implILb0ES3_S5_N6thrust23THRUST_200600_302600_NS6detail15normal_iteratorINS8_7pointerIsNS8_11hip_rocprim3tagENS8_11use_defaultESE_EEEENSA_INSB_IlSD_SE_SE_EEEEZNS1_13binary_searchIS3_S5_NSA_INS8_10device_ptrIsEEEESG_SI_NS1_21lower_bound_search_opENS9_16wrapped_functionINS8_7greaterIsEEbEEEE10hipError_tPvRmT1_T2_T3_mmT4_T5_P12ihipStream_tbEUlRKsE_EESS_SW_SX_mSY_S11_bEUlT_E_NS1_11comp_targetILNS1_3genE3ELNS1_11target_archE908ELNS1_3gpuE7ELNS1_3repE0EEENS1_30default_config_static_selectorELNS0_4arch9wavefront6targetE0EEEvSV_
		.amdhsa_group_segment_fixed_size 0
		.amdhsa_private_segment_fixed_size 0
		.amdhsa_kernarg_size 56
		.amdhsa_user_sgpr_count 2
		.amdhsa_user_sgpr_dispatch_ptr 0
		.amdhsa_user_sgpr_queue_ptr 0
		.amdhsa_user_sgpr_kernarg_segment_ptr 1
		.amdhsa_user_sgpr_dispatch_id 0
		.amdhsa_user_sgpr_kernarg_preload_length 0
		.amdhsa_user_sgpr_kernarg_preload_offset 0
		.amdhsa_user_sgpr_private_segment_size 0
		.amdhsa_wavefront_size32 1
		.amdhsa_uses_dynamic_stack 0
		.amdhsa_enable_private_segment 0
		.amdhsa_system_sgpr_workgroup_id_x 1
		.amdhsa_system_sgpr_workgroup_id_y 0
		.amdhsa_system_sgpr_workgroup_id_z 0
		.amdhsa_system_sgpr_workgroup_info 0
		.amdhsa_system_vgpr_workitem_id 0
		.amdhsa_next_free_vgpr 1
		.amdhsa_next_free_sgpr 1
		.amdhsa_named_barrier_count 0
		.amdhsa_reserve_vcc 0
		.amdhsa_float_round_mode_32 0
		.amdhsa_float_round_mode_16_64 0
		.amdhsa_float_denorm_mode_32 3
		.amdhsa_float_denorm_mode_16_64 3
		.amdhsa_fp16_overflow 0
		.amdhsa_memory_ordered 1
		.amdhsa_forward_progress 1
		.amdhsa_inst_pref_size 0
		.amdhsa_round_robin_scheduling 0
		.amdhsa_exception_fp_ieee_invalid_op 0
		.amdhsa_exception_fp_denorm_src 0
		.amdhsa_exception_fp_ieee_div_zero 0
		.amdhsa_exception_fp_ieee_overflow 0
		.amdhsa_exception_fp_ieee_underflow 0
		.amdhsa_exception_fp_ieee_inexact 0
		.amdhsa_exception_int_div_zero 0
	.end_amdhsa_kernel
	.section	.text._ZN7rocprim17ROCPRIM_400000_NS6detail17trampoline_kernelINS0_14default_configENS1_27lower_bound_config_selectorIslEEZNS1_14transform_implILb0ES3_S5_N6thrust23THRUST_200600_302600_NS6detail15normal_iteratorINS8_7pointerIsNS8_11hip_rocprim3tagENS8_11use_defaultESE_EEEENSA_INSB_IlSD_SE_SE_EEEEZNS1_13binary_searchIS3_S5_NSA_INS8_10device_ptrIsEEEESG_SI_NS1_21lower_bound_search_opENS9_16wrapped_functionINS8_7greaterIsEEbEEEE10hipError_tPvRmT1_T2_T3_mmT4_T5_P12ihipStream_tbEUlRKsE_EESS_SW_SX_mSY_S11_bEUlT_E_NS1_11comp_targetILNS1_3genE3ELNS1_11target_archE908ELNS1_3gpuE7ELNS1_3repE0EEENS1_30default_config_static_selectorELNS0_4arch9wavefront6targetE0EEEvSV_,"axG",@progbits,_ZN7rocprim17ROCPRIM_400000_NS6detail17trampoline_kernelINS0_14default_configENS1_27lower_bound_config_selectorIslEEZNS1_14transform_implILb0ES3_S5_N6thrust23THRUST_200600_302600_NS6detail15normal_iteratorINS8_7pointerIsNS8_11hip_rocprim3tagENS8_11use_defaultESE_EEEENSA_INSB_IlSD_SE_SE_EEEEZNS1_13binary_searchIS3_S5_NSA_INS8_10device_ptrIsEEEESG_SI_NS1_21lower_bound_search_opENS9_16wrapped_functionINS8_7greaterIsEEbEEEE10hipError_tPvRmT1_T2_T3_mmT4_T5_P12ihipStream_tbEUlRKsE_EESS_SW_SX_mSY_S11_bEUlT_E_NS1_11comp_targetILNS1_3genE3ELNS1_11target_archE908ELNS1_3gpuE7ELNS1_3repE0EEENS1_30default_config_static_selectorELNS0_4arch9wavefront6targetE0EEEvSV_,comdat
.Lfunc_end14:
	.size	_ZN7rocprim17ROCPRIM_400000_NS6detail17trampoline_kernelINS0_14default_configENS1_27lower_bound_config_selectorIslEEZNS1_14transform_implILb0ES3_S5_N6thrust23THRUST_200600_302600_NS6detail15normal_iteratorINS8_7pointerIsNS8_11hip_rocprim3tagENS8_11use_defaultESE_EEEENSA_INSB_IlSD_SE_SE_EEEEZNS1_13binary_searchIS3_S5_NSA_INS8_10device_ptrIsEEEESG_SI_NS1_21lower_bound_search_opENS9_16wrapped_functionINS8_7greaterIsEEbEEEE10hipError_tPvRmT1_T2_T3_mmT4_T5_P12ihipStream_tbEUlRKsE_EESS_SW_SX_mSY_S11_bEUlT_E_NS1_11comp_targetILNS1_3genE3ELNS1_11target_archE908ELNS1_3gpuE7ELNS1_3repE0EEENS1_30default_config_static_selectorELNS0_4arch9wavefront6targetE0EEEvSV_, .Lfunc_end14-_ZN7rocprim17ROCPRIM_400000_NS6detail17trampoline_kernelINS0_14default_configENS1_27lower_bound_config_selectorIslEEZNS1_14transform_implILb0ES3_S5_N6thrust23THRUST_200600_302600_NS6detail15normal_iteratorINS8_7pointerIsNS8_11hip_rocprim3tagENS8_11use_defaultESE_EEEENSA_INSB_IlSD_SE_SE_EEEEZNS1_13binary_searchIS3_S5_NSA_INS8_10device_ptrIsEEEESG_SI_NS1_21lower_bound_search_opENS9_16wrapped_functionINS8_7greaterIsEEbEEEE10hipError_tPvRmT1_T2_T3_mmT4_T5_P12ihipStream_tbEUlRKsE_EESS_SW_SX_mSY_S11_bEUlT_E_NS1_11comp_targetILNS1_3genE3ELNS1_11target_archE908ELNS1_3gpuE7ELNS1_3repE0EEENS1_30default_config_static_selectorELNS0_4arch9wavefront6targetE0EEEvSV_
                                        ; -- End function
	.set _ZN7rocprim17ROCPRIM_400000_NS6detail17trampoline_kernelINS0_14default_configENS1_27lower_bound_config_selectorIslEEZNS1_14transform_implILb0ES3_S5_N6thrust23THRUST_200600_302600_NS6detail15normal_iteratorINS8_7pointerIsNS8_11hip_rocprim3tagENS8_11use_defaultESE_EEEENSA_INSB_IlSD_SE_SE_EEEEZNS1_13binary_searchIS3_S5_NSA_INS8_10device_ptrIsEEEESG_SI_NS1_21lower_bound_search_opENS9_16wrapped_functionINS8_7greaterIsEEbEEEE10hipError_tPvRmT1_T2_T3_mmT4_T5_P12ihipStream_tbEUlRKsE_EESS_SW_SX_mSY_S11_bEUlT_E_NS1_11comp_targetILNS1_3genE3ELNS1_11target_archE908ELNS1_3gpuE7ELNS1_3repE0EEENS1_30default_config_static_selectorELNS0_4arch9wavefront6targetE0EEEvSV_.num_vgpr, 0
	.set _ZN7rocprim17ROCPRIM_400000_NS6detail17trampoline_kernelINS0_14default_configENS1_27lower_bound_config_selectorIslEEZNS1_14transform_implILb0ES3_S5_N6thrust23THRUST_200600_302600_NS6detail15normal_iteratorINS8_7pointerIsNS8_11hip_rocprim3tagENS8_11use_defaultESE_EEEENSA_INSB_IlSD_SE_SE_EEEEZNS1_13binary_searchIS3_S5_NSA_INS8_10device_ptrIsEEEESG_SI_NS1_21lower_bound_search_opENS9_16wrapped_functionINS8_7greaterIsEEbEEEE10hipError_tPvRmT1_T2_T3_mmT4_T5_P12ihipStream_tbEUlRKsE_EESS_SW_SX_mSY_S11_bEUlT_E_NS1_11comp_targetILNS1_3genE3ELNS1_11target_archE908ELNS1_3gpuE7ELNS1_3repE0EEENS1_30default_config_static_selectorELNS0_4arch9wavefront6targetE0EEEvSV_.num_agpr, 0
	.set _ZN7rocprim17ROCPRIM_400000_NS6detail17trampoline_kernelINS0_14default_configENS1_27lower_bound_config_selectorIslEEZNS1_14transform_implILb0ES3_S5_N6thrust23THRUST_200600_302600_NS6detail15normal_iteratorINS8_7pointerIsNS8_11hip_rocprim3tagENS8_11use_defaultESE_EEEENSA_INSB_IlSD_SE_SE_EEEEZNS1_13binary_searchIS3_S5_NSA_INS8_10device_ptrIsEEEESG_SI_NS1_21lower_bound_search_opENS9_16wrapped_functionINS8_7greaterIsEEbEEEE10hipError_tPvRmT1_T2_T3_mmT4_T5_P12ihipStream_tbEUlRKsE_EESS_SW_SX_mSY_S11_bEUlT_E_NS1_11comp_targetILNS1_3genE3ELNS1_11target_archE908ELNS1_3gpuE7ELNS1_3repE0EEENS1_30default_config_static_selectorELNS0_4arch9wavefront6targetE0EEEvSV_.numbered_sgpr, 0
	.set _ZN7rocprim17ROCPRIM_400000_NS6detail17trampoline_kernelINS0_14default_configENS1_27lower_bound_config_selectorIslEEZNS1_14transform_implILb0ES3_S5_N6thrust23THRUST_200600_302600_NS6detail15normal_iteratorINS8_7pointerIsNS8_11hip_rocprim3tagENS8_11use_defaultESE_EEEENSA_INSB_IlSD_SE_SE_EEEEZNS1_13binary_searchIS3_S5_NSA_INS8_10device_ptrIsEEEESG_SI_NS1_21lower_bound_search_opENS9_16wrapped_functionINS8_7greaterIsEEbEEEE10hipError_tPvRmT1_T2_T3_mmT4_T5_P12ihipStream_tbEUlRKsE_EESS_SW_SX_mSY_S11_bEUlT_E_NS1_11comp_targetILNS1_3genE3ELNS1_11target_archE908ELNS1_3gpuE7ELNS1_3repE0EEENS1_30default_config_static_selectorELNS0_4arch9wavefront6targetE0EEEvSV_.num_named_barrier, 0
	.set _ZN7rocprim17ROCPRIM_400000_NS6detail17trampoline_kernelINS0_14default_configENS1_27lower_bound_config_selectorIslEEZNS1_14transform_implILb0ES3_S5_N6thrust23THRUST_200600_302600_NS6detail15normal_iteratorINS8_7pointerIsNS8_11hip_rocprim3tagENS8_11use_defaultESE_EEEENSA_INSB_IlSD_SE_SE_EEEEZNS1_13binary_searchIS3_S5_NSA_INS8_10device_ptrIsEEEESG_SI_NS1_21lower_bound_search_opENS9_16wrapped_functionINS8_7greaterIsEEbEEEE10hipError_tPvRmT1_T2_T3_mmT4_T5_P12ihipStream_tbEUlRKsE_EESS_SW_SX_mSY_S11_bEUlT_E_NS1_11comp_targetILNS1_3genE3ELNS1_11target_archE908ELNS1_3gpuE7ELNS1_3repE0EEENS1_30default_config_static_selectorELNS0_4arch9wavefront6targetE0EEEvSV_.private_seg_size, 0
	.set _ZN7rocprim17ROCPRIM_400000_NS6detail17trampoline_kernelINS0_14default_configENS1_27lower_bound_config_selectorIslEEZNS1_14transform_implILb0ES3_S5_N6thrust23THRUST_200600_302600_NS6detail15normal_iteratorINS8_7pointerIsNS8_11hip_rocprim3tagENS8_11use_defaultESE_EEEENSA_INSB_IlSD_SE_SE_EEEEZNS1_13binary_searchIS3_S5_NSA_INS8_10device_ptrIsEEEESG_SI_NS1_21lower_bound_search_opENS9_16wrapped_functionINS8_7greaterIsEEbEEEE10hipError_tPvRmT1_T2_T3_mmT4_T5_P12ihipStream_tbEUlRKsE_EESS_SW_SX_mSY_S11_bEUlT_E_NS1_11comp_targetILNS1_3genE3ELNS1_11target_archE908ELNS1_3gpuE7ELNS1_3repE0EEENS1_30default_config_static_selectorELNS0_4arch9wavefront6targetE0EEEvSV_.uses_vcc, 0
	.set _ZN7rocprim17ROCPRIM_400000_NS6detail17trampoline_kernelINS0_14default_configENS1_27lower_bound_config_selectorIslEEZNS1_14transform_implILb0ES3_S5_N6thrust23THRUST_200600_302600_NS6detail15normal_iteratorINS8_7pointerIsNS8_11hip_rocprim3tagENS8_11use_defaultESE_EEEENSA_INSB_IlSD_SE_SE_EEEEZNS1_13binary_searchIS3_S5_NSA_INS8_10device_ptrIsEEEESG_SI_NS1_21lower_bound_search_opENS9_16wrapped_functionINS8_7greaterIsEEbEEEE10hipError_tPvRmT1_T2_T3_mmT4_T5_P12ihipStream_tbEUlRKsE_EESS_SW_SX_mSY_S11_bEUlT_E_NS1_11comp_targetILNS1_3genE3ELNS1_11target_archE908ELNS1_3gpuE7ELNS1_3repE0EEENS1_30default_config_static_selectorELNS0_4arch9wavefront6targetE0EEEvSV_.uses_flat_scratch, 0
	.set _ZN7rocprim17ROCPRIM_400000_NS6detail17trampoline_kernelINS0_14default_configENS1_27lower_bound_config_selectorIslEEZNS1_14transform_implILb0ES3_S5_N6thrust23THRUST_200600_302600_NS6detail15normal_iteratorINS8_7pointerIsNS8_11hip_rocprim3tagENS8_11use_defaultESE_EEEENSA_INSB_IlSD_SE_SE_EEEEZNS1_13binary_searchIS3_S5_NSA_INS8_10device_ptrIsEEEESG_SI_NS1_21lower_bound_search_opENS9_16wrapped_functionINS8_7greaterIsEEbEEEE10hipError_tPvRmT1_T2_T3_mmT4_T5_P12ihipStream_tbEUlRKsE_EESS_SW_SX_mSY_S11_bEUlT_E_NS1_11comp_targetILNS1_3genE3ELNS1_11target_archE908ELNS1_3gpuE7ELNS1_3repE0EEENS1_30default_config_static_selectorELNS0_4arch9wavefront6targetE0EEEvSV_.has_dyn_sized_stack, 0
	.set _ZN7rocprim17ROCPRIM_400000_NS6detail17trampoline_kernelINS0_14default_configENS1_27lower_bound_config_selectorIslEEZNS1_14transform_implILb0ES3_S5_N6thrust23THRUST_200600_302600_NS6detail15normal_iteratorINS8_7pointerIsNS8_11hip_rocprim3tagENS8_11use_defaultESE_EEEENSA_INSB_IlSD_SE_SE_EEEEZNS1_13binary_searchIS3_S5_NSA_INS8_10device_ptrIsEEEESG_SI_NS1_21lower_bound_search_opENS9_16wrapped_functionINS8_7greaterIsEEbEEEE10hipError_tPvRmT1_T2_T3_mmT4_T5_P12ihipStream_tbEUlRKsE_EESS_SW_SX_mSY_S11_bEUlT_E_NS1_11comp_targetILNS1_3genE3ELNS1_11target_archE908ELNS1_3gpuE7ELNS1_3repE0EEENS1_30default_config_static_selectorELNS0_4arch9wavefront6targetE0EEEvSV_.has_recursion, 0
	.set _ZN7rocprim17ROCPRIM_400000_NS6detail17trampoline_kernelINS0_14default_configENS1_27lower_bound_config_selectorIslEEZNS1_14transform_implILb0ES3_S5_N6thrust23THRUST_200600_302600_NS6detail15normal_iteratorINS8_7pointerIsNS8_11hip_rocprim3tagENS8_11use_defaultESE_EEEENSA_INSB_IlSD_SE_SE_EEEEZNS1_13binary_searchIS3_S5_NSA_INS8_10device_ptrIsEEEESG_SI_NS1_21lower_bound_search_opENS9_16wrapped_functionINS8_7greaterIsEEbEEEE10hipError_tPvRmT1_T2_T3_mmT4_T5_P12ihipStream_tbEUlRKsE_EESS_SW_SX_mSY_S11_bEUlT_E_NS1_11comp_targetILNS1_3genE3ELNS1_11target_archE908ELNS1_3gpuE7ELNS1_3repE0EEENS1_30default_config_static_selectorELNS0_4arch9wavefront6targetE0EEEvSV_.has_indirect_call, 0
	.section	.AMDGPU.csdata,"",@progbits
; Kernel info:
; codeLenInByte = 0
; TotalNumSgprs: 0
; NumVgprs: 0
; ScratchSize: 0
; MemoryBound: 0
; FloatMode: 240
; IeeeMode: 1
; LDSByteSize: 0 bytes/workgroup (compile time only)
; SGPRBlocks: 0
; VGPRBlocks: 0
; NumSGPRsForWavesPerEU: 1
; NumVGPRsForWavesPerEU: 1
; NamedBarCnt: 0
; Occupancy: 16
; WaveLimiterHint : 0
; COMPUTE_PGM_RSRC2:SCRATCH_EN: 0
; COMPUTE_PGM_RSRC2:USER_SGPR: 2
; COMPUTE_PGM_RSRC2:TRAP_HANDLER: 0
; COMPUTE_PGM_RSRC2:TGID_X_EN: 1
; COMPUTE_PGM_RSRC2:TGID_Y_EN: 0
; COMPUTE_PGM_RSRC2:TGID_Z_EN: 0
; COMPUTE_PGM_RSRC2:TIDIG_COMP_CNT: 0
	.section	.text._ZN7rocprim17ROCPRIM_400000_NS6detail17trampoline_kernelINS0_14default_configENS1_27lower_bound_config_selectorIslEEZNS1_14transform_implILb0ES3_S5_N6thrust23THRUST_200600_302600_NS6detail15normal_iteratorINS8_7pointerIsNS8_11hip_rocprim3tagENS8_11use_defaultESE_EEEENSA_INSB_IlSD_SE_SE_EEEEZNS1_13binary_searchIS3_S5_NSA_INS8_10device_ptrIsEEEESG_SI_NS1_21lower_bound_search_opENS9_16wrapped_functionINS8_7greaterIsEEbEEEE10hipError_tPvRmT1_T2_T3_mmT4_T5_P12ihipStream_tbEUlRKsE_EESS_SW_SX_mSY_S11_bEUlT_E_NS1_11comp_targetILNS1_3genE2ELNS1_11target_archE906ELNS1_3gpuE6ELNS1_3repE0EEENS1_30default_config_static_selectorELNS0_4arch9wavefront6targetE0EEEvSV_,"axG",@progbits,_ZN7rocprim17ROCPRIM_400000_NS6detail17trampoline_kernelINS0_14default_configENS1_27lower_bound_config_selectorIslEEZNS1_14transform_implILb0ES3_S5_N6thrust23THRUST_200600_302600_NS6detail15normal_iteratorINS8_7pointerIsNS8_11hip_rocprim3tagENS8_11use_defaultESE_EEEENSA_INSB_IlSD_SE_SE_EEEEZNS1_13binary_searchIS3_S5_NSA_INS8_10device_ptrIsEEEESG_SI_NS1_21lower_bound_search_opENS9_16wrapped_functionINS8_7greaterIsEEbEEEE10hipError_tPvRmT1_T2_T3_mmT4_T5_P12ihipStream_tbEUlRKsE_EESS_SW_SX_mSY_S11_bEUlT_E_NS1_11comp_targetILNS1_3genE2ELNS1_11target_archE906ELNS1_3gpuE6ELNS1_3repE0EEENS1_30default_config_static_selectorELNS0_4arch9wavefront6targetE0EEEvSV_,comdat
	.protected	_ZN7rocprim17ROCPRIM_400000_NS6detail17trampoline_kernelINS0_14default_configENS1_27lower_bound_config_selectorIslEEZNS1_14transform_implILb0ES3_S5_N6thrust23THRUST_200600_302600_NS6detail15normal_iteratorINS8_7pointerIsNS8_11hip_rocprim3tagENS8_11use_defaultESE_EEEENSA_INSB_IlSD_SE_SE_EEEEZNS1_13binary_searchIS3_S5_NSA_INS8_10device_ptrIsEEEESG_SI_NS1_21lower_bound_search_opENS9_16wrapped_functionINS8_7greaterIsEEbEEEE10hipError_tPvRmT1_T2_T3_mmT4_T5_P12ihipStream_tbEUlRKsE_EESS_SW_SX_mSY_S11_bEUlT_E_NS1_11comp_targetILNS1_3genE2ELNS1_11target_archE906ELNS1_3gpuE6ELNS1_3repE0EEENS1_30default_config_static_selectorELNS0_4arch9wavefront6targetE0EEEvSV_ ; -- Begin function _ZN7rocprim17ROCPRIM_400000_NS6detail17trampoline_kernelINS0_14default_configENS1_27lower_bound_config_selectorIslEEZNS1_14transform_implILb0ES3_S5_N6thrust23THRUST_200600_302600_NS6detail15normal_iteratorINS8_7pointerIsNS8_11hip_rocprim3tagENS8_11use_defaultESE_EEEENSA_INSB_IlSD_SE_SE_EEEEZNS1_13binary_searchIS3_S5_NSA_INS8_10device_ptrIsEEEESG_SI_NS1_21lower_bound_search_opENS9_16wrapped_functionINS8_7greaterIsEEbEEEE10hipError_tPvRmT1_T2_T3_mmT4_T5_P12ihipStream_tbEUlRKsE_EESS_SW_SX_mSY_S11_bEUlT_E_NS1_11comp_targetILNS1_3genE2ELNS1_11target_archE906ELNS1_3gpuE6ELNS1_3repE0EEENS1_30default_config_static_selectorELNS0_4arch9wavefront6targetE0EEEvSV_
	.globl	_ZN7rocprim17ROCPRIM_400000_NS6detail17trampoline_kernelINS0_14default_configENS1_27lower_bound_config_selectorIslEEZNS1_14transform_implILb0ES3_S5_N6thrust23THRUST_200600_302600_NS6detail15normal_iteratorINS8_7pointerIsNS8_11hip_rocprim3tagENS8_11use_defaultESE_EEEENSA_INSB_IlSD_SE_SE_EEEEZNS1_13binary_searchIS3_S5_NSA_INS8_10device_ptrIsEEEESG_SI_NS1_21lower_bound_search_opENS9_16wrapped_functionINS8_7greaterIsEEbEEEE10hipError_tPvRmT1_T2_T3_mmT4_T5_P12ihipStream_tbEUlRKsE_EESS_SW_SX_mSY_S11_bEUlT_E_NS1_11comp_targetILNS1_3genE2ELNS1_11target_archE906ELNS1_3gpuE6ELNS1_3repE0EEENS1_30default_config_static_selectorELNS0_4arch9wavefront6targetE0EEEvSV_
	.p2align	8
	.type	_ZN7rocprim17ROCPRIM_400000_NS6detail17trampoline_kernelINS0_14default_configENS1_27lower_bound_config_selectorIslEEZNS1_14transform_implILb0ES3_S5_N6thrust23THRUST_200600_302600_NS6detail15normal_iteratorINS8_7pointerIsNS8_11hip_rocprim3tagENS8_11use_defaultESE_EEEENSA_INSB_IlSD_SE_SE_EEEEZNS1_13binary_searchIS3_S5_NSA_INS8_10device_ptrIsEEEESG_SI_NS1_21lower_bound_search_opENS9_16wrapped_functionINS8_7greaterIsEEbEEEE10hipError_tPvRmT1_T2_T3_mmT4_T5_P12ihipStream_tbEUlRKsE_EESS_SW_SX_mSY_S11_bEUlT_E_NS1_11comp_targetILNS1_3genE2ELNS1_11target_archE906ELNS1_3gpuE6ELNS1_3repE0EEENS1_30default_config_static_selectorELNS0_4arch9wavefront6targetE0EEEvSV_,@function
_ZN7rocprim17ROCPRIM_400000_NS6detail17trampoline_kernelINS0_14default_configENS1_27lower_bound_config_selectorIslEEZNS1_14transform_implILb0ES3_S5_N6thrust23THRUST_200600_302600_NS6detail15normal_iteratorINS8_7pointerIsNS8_11hip_rocprim3tagENS8_11use_defaultESE_EEEENSA_INSB_IlSD_SE_SE_EEEEZNS1_13binary_searchIS3_S5_NSA_INS8_10device_ptrIsEEEESG_SI_NS1_21lower_bound_search_opENS9_16wrapped_functionINS8_7greaterIsEEbEEEE10hipError_tPvRmT1_T2_T3_mmT4_T5_P12ihipStream_tbEUlRKsE_EESS_SW_SX_mSY_S11_bEUlT_E_NS1_11comp_targetILNS1_3genE2ELNS1_11target_archE906ELNS1_3gpuE6ELNS1_3repE0EEENS1_30default_config_static_selectorELNS0_4arch9wavefront6targetE0EEEvSV_: ; @_ZN7rocprim17ROCPRIM_400000_NS6detail17trampoline_kernelINS0_14default_configENS1_27lower_bound_config_selectorIslEEZNS1_14transform_implILb0ES3_S5_N6thrust23THRUST_200600_302600_NS6detail15normal_iteratorINS8_7pointerIsNS8_11hip_rocprim3tagENS8_11use_defaultESE_EEEENSA_INSB_IlSD_SE_SE_EEEEZNS1_13binary_searchIS3_S5_NSA_INS8_10device_ptrIsEEEESG_SI_NS1_21lower_bound_search_opENS9_16wrapped_functionINS8_7greaterIsEEbEEEE10hipError_tPvRmT1_T2_T3_mmT4_T5_P12ihipStream_tbEUlRKsE_EESS_SW_SX_mSY_S11_bEUlT_E_NS1_11comp_targetILNS1_3genE2ELNS1_11target_archE906ELNS1_3gpuE6ELNS1_3repE0EEENS1_30default_config_static_selectorELNS0_4arch9wavefront6targetE0EEEvSV_
; %bb.0:
	.section	.rodata,"a",@progbits
	.p2align	6, 0x0
	.amdhsa_kernel _ZN7rocprim17ROCPRIM_400000_NS6detail17trampoline_kernelINS0_14default_configENS1_27lower_bound_config_selectorIslEEZNS1_14transform_implILb0ES3_S5_N6thrust23THRUST_200600_302600_NS6detail15normal_iteratorINS8_7pointerIsNS8_11hip_rocprim3tagENS8_11use_defaultESE_EEEENSA_INSB_IlSD_SE_SE_EEEEZNS1_13binary_searchIS3_S5_NSA_INS8_10device_ptrIsEEEESG_SI_NS1_21lower_bound_search_opENS9_16wrapped_functionINS8_7greaterIsEEbEEEE10hipError_tPvRmT1_T2_T3_mmT4_T5_P12ihipStream_tbEUlRKsE_EESS_SW_SX_mSY_S11_bEUlT_E_NS1_11comp_targetILNS1_3genE2ELNS1_11target_archE906ELNS1_3gpuE6ELNS1_3repE0EEENS1_30default_config_static_selectorELNS0_4arch9wavefront6targetE0EEEvSV_
		.amdhsa_group_segment_fixed_size 0
		.amdhsa_private_segment_fixed_size 0
		.amdhsa_kernarg_size 56
		.amdhsa_user_sgpr_count 2
		.amdhsa_user_sgpr_dispatch_ptr 0
		.amdhsa_user_sgpr_queue_ptr 0
		.amdhsa_user_sgpr_kernarg_segment_ptr 1
		.amdhsa_user_sgpr_dispatch_id 0
		.amdhsa_user_sgpr_kernarg_preload_length 0
		.amdhsa_user_sgpr_kernarg_preload_offset 0
		.amdhsa_user_sgpr_private_segment_size 0
		.amdhsa_wavefront_size32 1
		.amdhsa_uses_dynamic_stack 0
		.amdhsa_enable_private_segment 0
		.amdhsa_system_sgpr_workgroup_id_x 1
		.amdhsa_system_sgpr_workgroup_id_y 0
		.amdhsa_system_sgpr_workgroup_id_z 0
		.amdhsa_system_sgpr_workgroup_info 0
		.amdhsa_system_vgpr_workitem_id 0
		.amdhsa_next_free_vgpr 1
		.amdhsa_next_free_sgpr 1
		.amdhsa_named_barrier_count 0
		.amdhsa_reserve_vcc 0
		.amdhsa_float_round_mode_32 0
		.amdhsa_float_round_mode_16_64 0
		.amdhsa_float_denorm_mode_32 3
		.amdhsa_float_denorm_mode_16_64 3
		.amdhsa_fp16_overflow 0
		.amdhsa_memory_ordered 1
		.amdhsa_forward_progress 1
		.amdhsa_inst_pref_size 0
		.amdhsa_round_robin_scheduling 0
		.amdhsa_exception_fp_ieee_invalid_op 0
		.amdhsa_exception_fp_denorm_src 0
		.amdhsa_exception_fp_ieee_div_zero 0
		.amdhsa_exception_fp_ieee_overflow 0
		.amdhsa_exception_fp_ieee_underflow 0
		.amdhsa_exception_fp_ieee_inexact 0
		.amdhsa_exception_int_div_zero 0
	.end_amdhsa_kernel
	.section	.text._ZN7rocprim17ROCPRIM_400000_NS6detail17trampoline_kernelINS0_14default_configENS1_27lower_bound_config_selectorIslEEZNS1_14transform_implILb0ES3_S5_N6thrust23THRUST_200600_302600_NS6detail15normal_iteratorINS8_7pointerIsNS8_11hip_rocprim3tagENS8_11use_defaultESE_EEEENSA_INSB_IlSD_SE_SE_EEEEZNS1_13binary_searchIS3_S5_NSA_INS8_10device_ptrIsEEEESG_SI_NS1_21lower_bound_search_opENS9_16wrapped_functionINS8_7greaterIsEEbEEEE10hipError_tPvRmT1_T2_T3_mmT4_T5_P12ihipStream_tbEUlRKsE_EESS_SW_SX_mSY_S11_bEUlT_E_NS1_11comp_targetILNS1_3genE2ELNS1_11target_archE906ELNS1_3gpuE6ELNS1_3repE0EEENS1_30default_config_static_selectorELNS0_4arch9wavefront6targetE0EEEvSV_,"axG",@progbits,_ZN7rocprim17ROCPRIM_400000_NS6detail17trampoline_kernelINS0_14default_configENS1_27lower_bound_config_selectorIslEEZNS1_14transform_implILb0ES3_S5_N6thrust23THRUST_200600_302600_NS6detail15normal_iteratorINS8_7pointerIsNS8_11hip_rocprim3tagENS8_11use_defaultESE_EEEENSA_INSB_IlSD_SE_SE_EEEEZNS1_13binary_searchIS3_S5_NSA_INS8_10device_ptrIsEEEESG_SI_NS1_21lower_bound_search_opENS9_16wrapped_functionINS8_7greaterIsEEbEEEE10hipError_tPvRmT1_T2_T3_mmT4_T5_P12ihipStream_tbEUlRKsE_EESS_SW_SX_mSY_S11_bEUlT_E_NS1_11comp_targetILNS1_3genE2ELNS1_11target_archE906ELNS1_3gpuE6ELNS1_3repE0EEENS1_30default_config_static_selectorELNS0_4arch9wavefront6targetE0EEEvSV_,comdat
.Lfunc_end15:
	.size	_ZN7rocprim17ROCPRIM_400000_NS6detail17trampoline_kernelINS0_14default_configENS1_27lower_bound_config_selectorIslEEZNS1_14transform_implILb0ES3_S5_N6thrust23THRUST_200600_302600_NS6detail15normal_iteratorINS8_7pointerIsNS8_11hip_rocprim3tagENS8_11use_defaultESE_EEEENSA_INSB_IlSD_SE_SE_EEEEZNS1_13binary_searchIS3_S5_NSA_INS8_10device_ptrIsEEEESG_SI_NS1_21lower_bound_search_opENS9_16wrapped_functionINS8_7greaterIsEEbEEEE10hipError_tPvRmT1_T2_T3_mmT4_T5_P12ihipStream_tbEUlRKsE_EESS_SW_SX_mSY_S11_bEUlT_E_NS1_11comp_targetILNS1_3genE2ELNS1_11target_archE906ELNS1_3gpuE6ELNS1_3repE0EEENS1_30default_config_static_selectorELNS0_4arch9wavefront6targetE0EEEvSV_, .Lfunc_end15-_ZN7rocprim17ROCPRIM_400000_NS6detail17trampoline_kernelINS0_14default_configENS1_27lower_bound_config_selectorIslEEZNS1_14transform_implILb0ES3_S5_N6thrust23THRUST_200600_302600_NS6detail15normal_iteratorINS8_7pointerIsNS8_11hip_rocprim3tagENS8_11use_defaultESE_EEEENSA_INSB_IlSD_SE_SE_EEEEZNS1_13binary_searchIS3_S5_NSA_INS8_10device_ptrIsEEEESG_SI_NS1_21lower_bound_search_opENS9_16wrapped_functionINS8_7greaterIsEEbEEEE10hipError_tPvRmT1_T2_T3_mmT4_T5_P12ihipStream_tbEUlRKsE_EESS_SW_SX_mSY_S11_bEUlT_E_NS1_11comp_targetILNS1_3genE2ELNS1_11target_archE906ELNS1_3gpuE6ELNS1_3repE0EEENS1_30default_config_static_selectorELNS0_4arch9wavefront6targetE0EEEvSV_
                                        ; -- End function
	.set _ZN7rocprim17ROCPRIM_400000_NS6detail17trampoline_kernelINS0_14default_configENS1_27lower_bound_config_selectorIslEEZNS1_14transform_implILb0ES3_S5_N6thrust23THRUST_200600_302600_NS6detail15normal_iteratorINS8_7pointerIsNS8_11hip_rocprim3tagENS8_11use_defaultESE_EEEENSA_INSB_IlSD_SE_SE_EEEEZNS1_13binary_searchIS3_S5_NSA_INS8_10device_ptrIsEEEESG_SI_NS1_21lower_bound_search_opENS9_16wrapped_functionINS8_7greaterIsEEbEEEE10hipError_tPvRmT1_T2_T3_mmT4_T5_P12ihipStream_tbEUlRKsE_EESS_SW_SX_mSY_S11_bEUlT_E_NS1_11comp_targetILNS1_3genE2ELNS1_11target_archE906ELNS1_3gpuE6ELNS1_3repE0EEENS1_30default_config_static_selectorELNS0_4arch9wavefront6targetE0EEEvSV_.num_vgpr, 0
	.set _ZN7rocprim17ROCPRIM_400000_NS6detail17trampoline_kernelINS0_14default_configENS1_27lower_bound_config_selectorIslEEZNS1_14transform_implILb0ES3_S5_N6thrust23THRUST_200600_302600_NS6detail15normal_iteratorINS8_7pointerIsNS8_11hip_rocprim3tagENS8_11use_defaultESE_EEEENSA_INSB_IlSD_SE_SE_EEEEZNS1_13binary_searchIS3_S5_NSA_INS8_10device_ptrIsEEEESG_SI_NS1_21lower_bound_search_opENS9_16wrapped_functionINS8_7greaterIsEEbEEEE10hipError_tPvRmT1_T2_T3_mmT4_T5_P12ihipStream_tbEUlRKsE_EESS_SW_SX_mSY_S11_bEUlT_E_NS1_11comp_targetILNS1_3genE2ELNS1_11target_archE906ELNS1_3gpuE6ELNS1_3repE0EEENS1_30default_config_static_selectorELNS0_4arch9wavefront6targetE0EEEvSV_.num_agpr, 0
	.set _ZN7rocprim17ROCPRIM_400000_NS6detail17trampoline_kernelINS0_14default_configENS1_27lower_bound_config_selectorIslEEZNS1_14transform_implILb0ES3_S5_N6thrust23THRUST_200600_302600_NS6detail15normal_iteratorINS8_7pointerIsNS8_11hip_rocprim3tagENS8_11use_defaultESE_EEEENSA_INSB_IlSD_SE_SE_EEEEZNS1_13binary_searchIS3_S5_NSA_INS8_10device_ptrIsEEEESG_SI_NS1_21lower_bound_search_opENS9_16wrapped_functionINS8_7greaterIsEEbEEEE10hipError_tPvRmT1_T2_T3_mmT4_T5_P12ihipStream_tbEUlRKsE_EESS_SW_SX_mSY_S11_bEUlT_E_NS1_11comp_targetILNS1_3genE2ELNS1_11target_archE906ELNS1_3gpuE6ELNS1_3repE0EEENS1_30default_config_static_selectorELNS0_4arch9wavefront6targetE0EEEvSV_.numbered_sgpr, 0
	.set _ZN7rocprim17ROCPRIM_400000_NS6detail17trampoline_kernelINS0_14default_configENS1_27lower_bound_config_selectorIslEEZNS1_14transform_implILb0ES3_S5_N6thrust23THRUST_200600_302600_NS6detail15normal_iteratorINS8_7pointerIsNS8_11hip_rocprim3tagENS8_11use_defaultESE_EEEENSA_INSB_IlSD_SE_SE_EEEEZNS1_13binary_searchIS3_S5_NSA_INS8_10device_ptrIsEEEESG_SI_NS1_21lower_bound_search_opENS9_16wrapped_functionINS8_7greaterIsEEbEEEE10hipError_tPvRmT1_T2_T3_mmT4_T5_P12ihipStream_tbEUlRKsE_EESS_SW_SX_mSY_S11_bEUlT_E_NS1_11comp_targetILNS1_3genE2ELNS1_11target_archE906ELNS1_3gpuE6ELNS1_3repE0EEENS1_30default_config_static_selectorELNS0_4arch9wavefront6targetE0EEEvSV_.num_named_barrier, 0
	.set _ZN7rocprim17ROCPRIM_400000_NS6detail17trampoline_kernelINS0_14default_configENS1_27lower_bound_config_selectorIslEEZNS1_14transform_implILb0ES3_S5_N6thrust23THRUST_200600_302600_NS6detail15normal_iteratorINS8_7pointerIsNS8_11hip_rocprim3tagENS8_11use_defaultESE_EEEENSA_INSB_IlSD_SE_SE_EEEEZNS1_13binary_searchIS3_S5_NSA_INS8_10device_ptrIsEEEESG_SI_NS1_21lower_bound_search_opENS9_16wrapped_functionINS8_7greaterIsEEbEEEE10hipError_tPvRmT1_T2_T3_mmT4_T5_P12ihipStream_tbEUlRKsE_EESS_SW_SX_mSY_S11_bEUlT_E_NS1_11comp_targetILNS1_3genE2ELNS1_11target_archE906ELNS1_3gpuE6ELNS1_3repE0EEENS1_30default_config_static_selectorELNS0_4arch9wavefront6targetE0EEEvSV_.private_seg_size, 0
	.set _ZN7rocprim17ROCPRIM_400000_NS6detail17trampoline_kernelINS0_14default_configENS1_27lower_bound_config_selectorIslEEZNS1_14transform_implILb0ES3_S5_N6thrust23THRUST_200600_302600_NS6detail15normal_iteratorINS8_7pointerIsNS8_11hip_rocprim3tagENS8_11use_defaultESE_EEEENSA_INSB_IlSD_SE_SE_EEEEZNS1_13binary_searchIS3_S5_NSA_INS8_10device_ptrIsEEEESG_SI_NS1_21lower_bound_search_opENS9_16wrapped_functionINS8_7greaterIsEEbEEEE10hipError_tPvRmT1_T2_T3_mmT4_T5_P12ihipStream_tbEUlRKsE_EESS_SW_SX_mSY_S11_bEUlT_E_NS1_11comp_targetILNS1_3genE2ELNS1_11target_archE906ELNS1_3gpuE6ELNS1_3repE0EEENS1_30default_config_static_selectorELNS0_4arch9wavefront6targetE0EEEvSV_.uses_vcc, 0
	.set _ZN7rocprim17ROCPRIM_400000_NS6detail17trampoline_kernelINS0_14default_configENS1_27lower_bound_config_selectorIslEEZNS1_14transform_implILb0ES3_S5_N6thrust23THRUST_200600_302600_NS6detail15normal_iteratorINS8_7pointerIsNS8_11hip_rocprim3tagENS8_11use_defaultESE_EEEENSA_INSB_IlSD_SE_SE_EEEEZNS1_13binary_searchIS3_S5_NSA_INS8_10device_ptrIsEEEESG_SI_NS1_21lower_bound_search_opENS9_16wrapped_functionINS8_7greaterIsEEbEEEE10hipError_tPvRmT1_T2_T3_mmT4_T5_P12ihipStream_tbEUlRKsE_EESS_SW_SX_mSY_S11_bEUlT_E_NS1_11comp_targetILNS1_3genE2ELNS1_11target_archE906ELNS1_3gpuE6ELNS1_3repE0EEENS1_30default_config_static_selectorELNS0_4arch9wavefront6targetE0EEEvSV_.uses_flat_scratch, 0
	.set _ZN7rocprim17ROCPRIM_400000_NS6detail17trampoline_kernelINS0_14default_configENS1_27lower_bound_config_selectorIslEEZNS1_14transform_implILb0ES3_S5_N6thrust23THRUST_200600_302600_NS6detail15normal_iteratorINS8_7pointerIsNS8_11hip_rocprim3tagENS8_11use_defaultESE_EEEENSA_INSB_IlSD_SE_SE_EEEEZNS1_13binary_searchIS3_S5_NSA_INS8_10device_ptrIsEEEESG_SI_NS1_21lower_bound_search_opENS9_16wrapped_functionINS8_7greaterIsEEbEEEE10hipError_tPvRmT1_T2_T3_mmT4_T5_P12ihipStream_tbEUlRKsE_EESS_SW_SX_mSY_S11_bEUlT_E_NS1_11comp_targetILNS1_3genE2ELNS1_11target_archE906ELNS1_3gpuE6ELNS1_3repE0EEENS1_30default_config_static_selectorELNS0_4arch9wavefront6targetE0EEEvSV_.has_dyn_sized_stack, 0
	.set _ZN7rocprim17ROCPRIM_400000_NS6detail17trampoline_kernelINS0_14default_configENS1_27lower_bound_config_selectorIslEEZNS1_14transform_implILb0ES3_S5_N6thrust23THRUST_200600_302600_NS6detail15normal_iteratorINS8_7pointerIsNS8_11hip_rocprim3tagENS8_11use_defaultESE_EEEENSA_INSB_IlSD_SE_SE_EEEEZNS1_13binary_searchIS3_S5_NSA_INS8_10device_ptrIsEEEESG_SI_NS1_21lower_bound_search_opENS9_16wrapped_functionINS8_7greaterIsEEbEEEE10hipError_tPvRmT1_T2_T3_mmT4_T5_P12ihipStream_tbEUlRKsE_EESS_SW_SX_mSY_S11_bEUlT_E_NS1_11comp_targetILNS1_3genE2ELNS1_11target_archE906ELNS1_3gpuE6ELNS1_3repE0EEENS1_30default_config_static_selectorELNS0_4arch9wavefront6targetE0EEEvSV_.has_recursion, 0
	.set _ZN7rocprim17ROCPRIM_400000_NS6detail17trampoline_kernelINS0_14default_configENS1_27lower_bound_config_selectorIslEEZNS1_14transform_implILb0ES3_S5_N6thrust23THRUST_200600_302600_NS6detail15normal_iteratorINS8_7pointerIsNS8_11hip_rocprim3tagENS8_11use_defaultESE_EEEENSA_INSB_IlSD_SE_SE_EEEEZNS1_13binary_searchIS3_S5_NSA_INS8_10device_ptrIsEEEESG_SI_NS1_21lower_bound_search_opENS9_16wrapped_functionINS8_7greaterIsEEbEEEE10hipError_tPvRmT1_T2_T3_mmT4_T5_P12ihipStream_tbEUlRKsE_EESS_SW_SX_mSY_S11_bEUlT_E_NS1_11comp_targetILNS1_3genE2ELNS1_11target_archE906ELNS1_3gpuE6ELNS1_3repE0EEENS1_30default_config_static_selectorELNS0_4arch9wavefront6targetE0EEEvSV_.has_indirect_call, 0
	.section	.AMDGPU.csdata,"",@progbits
; Kernel info:
; codeLenInByte = 0
; TotalNumSgprs: 0
; NumVgprs: 0
; ScratchSize: 0
; MemoryBound: 0
; FloatMode: 240
; IeeeMode: 1
; LDSByteSize: 0 bytes/workgroup (compile time only)
; SGPRBlocks: 0
; VGPRBlocks: 0
; NumSGPRsForWavesPerEU: 1
; NumVGPRsForWavesPerEU: 1
; NamedBarCnt: 0
; Occupancy: 16
; WaveLimiterHint : 0
; COMPUTE_PGM_RSRC2:SCRATCH_EN: 0
; COMPUTE_PGM_RSRC2:USER_SGPR: 2
; COMPUTE_PGM_RSRC2:TRAP_HANDLER: 0
; COMPUTE_PGM_RSRC2:TGID_X_EN: 1
; COMPUTE_PGM_RSRC2:TGID_Y_EN: 0
; COMPUTE_PGM_RSRC2:TGID_Z_EN: 0
; COMPUTE_PGM_RSRC2:TIDIG_COMP_CNT: 0
	.section	.text._ZN7rocprim17ROCPRIM_400000_NS6detail17trampoline_kernelINS0_14default_configENS1_27lower_bound_config_selectorIslEEZNS1_14transform_implILb0ES3_S5_N6thrust23THRUST_200600_302600_NS6detail15normal_iteratorINS8_7pointerIsNS8_11hip_rocprim3tagENS8_11use_defaultESE_EEEENSA_INSB_IlSD_SE_SE_EEEEZNS1_13binary_searchIS3_S5_NSA_INS8_10device_ptrIsEEEESG_SI_NS1_21lower_bound_search_opENS9_16wrapped_functionINS8_7greaterIsEEbEEEE10hipError_tPvRmT1_T2_T3_mmT4_T5_P12ihipStream_tbEUlRKsE_EESS_SW_SX_mSY_S11_bEUlT_E_NS1_11comp_targetILNS1_3genE10ELNS1_11target_archE1201ELNS1_3gpuE5ELNS1_3repE0EEENS1_30default_config_static_selectorELNS0_4arch9wavefront6targetE0EEEvSV_,"axG",@progbits,_ZN7rocprim17ROCPRIM_400000_NS6detail17trampoline_kernelINS0_14default_configENS1_27lower_bound_config_selectorIslEEZNS1_14transform_implILb0ES3_S5_N6thrust23THRUST_200600_302600_NS6detail15normal_iteratorINS8_7pointerIsNS8_11hip_rocprim3tagENS8_11use_defaultESE_EEEENSA_INSB_IlSD_SE_SE_EEEEZNS1_13binary_searchIS3_S5_NSA_INS8_10device_ptrIsEEEESG_SI_NS1_21lower_bound_search_opENS9_16wrapped_functionINS8_7greaterIsEEbEEEE10hipError_tPvRmT1_T2_T3_mmT4_T5_P12ihipStream_tbEUlRKsE_EESS_SW_SX_mSY_S11_bEUlT_E_NS1_11comp_targetILNS1_3genE10ELNS1_11target_archE1201ELNS1_3gpuE5ELNS1_3repE0EEENS1_30default_config_static_selectorELNS0_4arch9wavefront6targetE0EEEvSV_,comdat
	.protected	_ZN7rocprim17ROCPRIM_400000_NS6detail17trampoline_kernelINS0_14default_configENS1_27lower_bound_config_selectorIslEEZNS1_14transform_implILb0ES3_S5_N6thrust23THRUST_200600_302600_NS6detail15normal_iteratorINS8_7pointerIsNS8_11hip_rocprim3tagENS8_11use_defaultESE_EEEENSA_INSB_IlSD_SE_SE_EEEEZNS1_13binary_searchIS3_S5_NSA_INS8_10device_ptrIsEEEESG_SI_NS1_21lower_bound_search_opENS9_16wrapped_functionINS8_7greaterIsEEbEEEE10hipError_tPvRmT1_T2_T3_mmT4_T5_P12ihipStream_tbEUlRKsE_EESS_SW_SX_mSY_S11_bEUlT_E_NS1_11comp_targetILNS1_3genE10ELNS1_11target_archE1201ELNS1_3gpuE5ELNS1_3repE0EEENS1_30default_config_static_selectorELNS0_4arch9wavefront6targetE0EEEvSV_ ; -- Begin function _ZN7rocprim17ROCPRIM_400000_NS6detail17trampoline_kernelINS0_14default_configENS1_27lower_bound_config_selectorIslEEZNS1_14transform_implILb0ES3_S5_N6thrust23THRUST_200600_302600_NS6detail15normal_iteratorINS8_7pointerIsNS8_11hip_rocprim3tagENS8_11use_defaultESE_EEEENSA_INSB_IlSD_SE_SE_EEEEZNS1_13binary_searchIS3_S5_NSA_INS8_10device_ptrIsEEEESG_SI_NS1_21lower_bound_search_opENS9_16wrapped_functionINS8_7greaterIsEEbEEEE10hipError_tPvRmT1_T2_T3_mmT4_T5_P12ihipStream_tbEUlRKsE_EESS_SW_SX_mSY_S11_bEUlT_E_NS1_11comp_targetILNS1_3genE10ELNS1_11target_archE1201ELNS1_3gpuE5ELNS1_3repE0EEENS1_30default_config_static_selectorELNS0_4arch9wavefront6targetE0EEEvSV_
	.globl	_ZN7rocprim17ROCPRIM_400000_NS6detail17trampoline_kernelINS0_14default_configENS1_27lower_bound_config_selectorIslEEZNS1_14transform_implILb0ES3_S5_N6thrust23THRUST_200600_302600_NS6detail15normal_iteratorINS8_7pointerIsNS8_11hip_rocprim3tagENS8_11use_defaultESE_EEEENSA_INSB_IlSD_SE_SE_EEEEZNS1_13binary_searchIS3_S5_NSA_INS8_10device_ptrIsEEEESG_SI_NS1_21lower_bound_search_opENS9_16wrapped_functionINS8_7greaterIsEEbEEEE10hipError_tPvRmT1_T2_T3_mmT4_T5_P12ihipStream_tbEUlRKsE_EESS_SW_SX_mSY_S11_bEUlT_E_NS1_11comp_targetILNS1_3genE10ELNS1_11target_archE1201ELNS1_3gpuE5ELNS1_3repE0EEENS1_30default_config_static_selectorELNS0_4arch9wavefront6targetE0EEEvSV_
	.p2align	8
	.type	_ZN7rocprim17ROCPRIM_400000_NS6detail17trampoline_kernelINS0_14default_configENS1_27lower_bound_config_selectorIslEEZNS1_14transform_implILb0ES3_S5_N6thrust23THRUST_200600_302600_NS6detail15normal_iteratorINS8_7pointerIsNS8_11hip_rocprim3tagENS8_11use_defaultESE_EEEENSA_INSB_IlSD_SE_SE_EEEEZNS1_13binary_searchIS3_S5_NSA_INS8_10device_ptrIsEEEESG_SI_NS1_21lower_bound_search_opENS9_16wrapped_functionINS8_7greaterIsEEbEEEE10hipError_tPvRmT1_T2_T3_mmT4_T5_P12ihipStream_tbEUlRKsE_EESS_SW_SX_mSY_S11_bEUlT_E_NS1_11comp_targetILNS1_3genE10ELNS1_11target_archE1201ELNS1_3gpuE5ELNS1_3repE0EEENS1_30default_config_static_selectorELNS0_4arch9wavefront6targetE0EEEvSV_,@function
_ZN7rocprim17ROCPRIM_400000_NS6detail17trampoline_kernelINS0_14default_configENS1_27lower_bound_config_selectorIslEEZNS1_14transform_implILb0ES3_S5_N6thrust23THRUST_200600_302600_NS6detail15normal_iteratorINS8_7pointerIsNS8_11hip_rocprim3tagENS8_11use_defaultESE_EEEENSA_INSB_IlSD_SE_SE_EEEEZNS1_13binary_searchIS3_S5_NSA_INS8_10device_ptrIsEEEESG_SI_NS1_21lower_bound_search_opENS9_16wrapped_functionINS8_7greaterIsEEbEEEE10hipError_tPvRmT1_T2_T3_mmT4_T5_P12ihipStream_tbEUlRKsE_EESS_SW_SX_mSY_S11_bEUlT_E_NS1_11comp_targetILNS1_3genE10ELNS1_11target_archE1201ELNS1_3gpuE5ELNS1_3repE0EEENS1_30default_config_static_selectorELNS0_4arch9wavefront6targetE0EEEvSV_: ; @_ZN7rocprim17ROCPRIM_400000_NS6detail17trampoline_kernelINS0_14default_configENS1_27lower_bound_config_selectorIslEEZNS1_14transform_implILb0ES3_S5_N6thrust23THRUST_200600_302600_NS6detail15normal_iteratorINS8_7pointerIsNS8_11hip_rocprim3tagENS8_11use_defaultESE_EEEENSA_INSB_IlSD_SE_SE_EEEEZNS1_13binary_searchIS3_S5_NSA_INS8_10device_ptrIsEEEESG_SI_NS1_21lower_bound_search_opENS9_16wrapped_functionINS8_7greaterIsEEbEEEE10hipError_tPvRmT1_T2_T3_mmT4_T5_P12ihipStream_tbEUlRKsE_EESS_SW_SX_mSY_S11_bEUlT_E_NS1_11comp_targetILNS1_3genE10ELNS1_11target_archE1201ELNS1_3gpuE5ELNS1_3repE0EEENS1_30default_config_static_selectorELNS0_4arch9wavefront6targetE0EEEvSV_
; %bb.0:
	.section	.rodata,"a",@progbits
	.p2align	6, 0x0
	.amdhsa_kernel _ZN7rocprim17ROCPRIM_400000_NS6detail17trampoline_kernelINS0_14default_configENS1_27lower_bound_config_selectorIslEEZNS1_14transform_implILb0ES3_S5_N6thrust23THRUST_200600_302600_NS6detail15normal_iteratorINS8_7pointerIsNS8_11hip_rocprim3tagENS8_11use_defaultESE_EEEENSA_INSB_IlSD_SE_SE_EEEEZNS1_13binary_searchIS3_S5_NSA_INS8_10device_ptrIsEEEESG_SI_NS1_21lower_bound_search_opENS9_16wrapped_functionINS8_7greaterIsEEbEEEE10hipError_tPvRmT1_T2_T3_mmT4_T5_P12ihipStream_tbEUlRKsE_EESS_SW_SX_mSY_S11_bEUlT_E_NS1_11comp_targetILNS1_3genE10ELNS1_11target_archE1201ELNS1_3gpuE5ELNS1_3repE0EEENS1_30default_config_static_selectorELNS0_4arch9wavefront6targetE0EEEvSV_
		.amdhsa_group_segment_fixed_size 0
		.amdhsa_private_segment_fixed_size 0
		.amdhsa_kernarg_size 56
		.amdhsa_user_sgpr_count 2
		.amdhsa_user_sgpr_dispatch_ptr 0
		.amdhsa_user_sgpr_queue_ptr 0
		.amdhsa_user_sgpr_kernarg_segment_ptr 1
		.amdhsa_user_sgpr_dispatch_id 0
		.amdhsa_user_sgpr_kernarg_preload_length 0
		.amdhsa_user_sgpr_kernarg_preload_offset 0
		.amdhsa_user_sgpr_private_segment_size 0
		.amdhsa_wavefront_size32 1
		.amdhsa_uses_dynamic_stack 0
		.amdhsa_enable_private_segment 0
		.amdhsa_system_sgpr_workgroup_id_x 1
		.amdhsa_system_sgpr_workgroup_id_y 0
		.amdhsa_system_sgpr_workgroup_id_z 0
		.amdhsa_system_sgpr_workgroup_info 0
		.amdhsa_system_vgpr_workitem_id 0
		.amdhsa_next_free_vgpr 1
		.amdhsa_next_free_sgpr 1
		.amdhsa_named_barrier_count 0
		.amdhsa_reserve_vcc 0
		.amdhsa_float_round_mode_32 0
		.amdhsa_float_round_mode_16_64 0
		.amdhsa_float_denorm_mode_32 3
		.amdhsa_float_denorm_mode_16_64 3
		.amdhsa_fp16_overflow 0
		.amdhsa_memory_ordered 1
		.amdhsa_forward_progress 1
		.amdhsa_inst_pref_size 0
		.amdhsa_round_robin_scheduling 0
		.amdhsa_exception_fp_ieee_invalid_op 0
		.amdhsa_exception_fp_denorm_src 0
		.amdhsa_exception_fp_ieee_div_zero 0
		.amdhsa_exception_fp_ieee_overflow 0
		.amdhsa_exception_fp_ieee_underflow 0
		.amdhsa_exception_fp_ieee_inexact 0
		.amdhsa_exception_int_div_zero 0
	.end_amdhsa_kernel
	.section	.text._ZN7rocprim17ROCPRIM_400000_NS6detail17trampoline_kernelINS0_14default_configENS1_27lower_bound_config_selectorIslEEZNS1_14transform_implILb0ES3_S5_N6thrust23THRUST_200600_302600_NS6detail15normal_iteratorINS8_7pointerIsNS8_11hip_rocprim3tagENS8_11use_defaultESE_EEEENSA_INSB_IlSD_SE_SE_EEEEZNS1_13binary_searchIS3_S5_NSA_INS8_10device_ptrIsEEEESG_SI_NS1_21lower_bound_search_opENS9_16wrapped_functionINS8_7greaterIsEEbEEEE10hipError_tPvRmT1_T2_T3_mmT4_T5_P12ihipStream_tbEUlRKsE_EESS_SW_SX_mSY_S11_bEUlT_E_NS1_11comp_targetILNS1_3genE10ELNS1_11target_archE1201ELNS1_3gpuE5ELNS1_3repE0EEENS1_30default_config_static_selectorELNS0_4arch9wavefront6targetE0EEEvSV_,"axG",@progbits,_ZN7rocprim17ROCPRIM_400000_NS6detail17trampoline_kernelINS0_14default_configENS1_27lower_bound_config_selectorIslEEZNS1_14transform_implILb0ES3_S5_N6thrust23THRUST_200600_302600_NS6detail15normal_iteratorINS8_7pointerIsNS8_11hip_rocprim3tagENS8_11use_defaultESE_EEEENSA_INSB_IlSD_SE_SE_EEEEZNS1_13binary_searchIS3_S5_NSA_INS8_10device_ptrIsEEEESG_SI_NS1_21lower_bound_search_opENS9_16wrapped_functionINS8_7greaterIsEEbEEEE10hipError_tPvRmT1_T2_T3_mmT4_T5_P12ihipStream_tbEUlRKsE_EESS_SW_SX_mSY_S11_bEUlT_E_NS1_11comp_targetILNS1_3genE10ELNS1_11target_archE1201ELNS1_3gpuE5ELNS1_3repE0EEENS1_30default_config_static_selectorELNS0_4arch9wavefront6targetE0EEEvSV_,comdat
.Lfunc_end16:
	.size	_ZN7rocprim17ROCPRIM_400000_NS6detail17trampoline_kernelINS0_14default_configENS1_27lower_bound_config_selectorIslEEZNS1_14transform_implILb0ES3_S5_N6thrust23THRUST_200600_302600_NS6detail15normal_iteratorINS8_7pointerIsNS8_11hip_rocprim3tagENS8_11use_defaultESE_EEEENSA_INSB_IlSD_SE_SE_EEEEZNS1_13binary_searchIS3_S5_NSA_INS8_10device_ptrIsEEEESG_SI_NS1_21lower_bound_search_opENS9_16wrapped_functionINS8_7greaterIsEEbEEEE10hipError_tPvRmT1_T2_T3_mmT4_T5_P12ihipStream_tbEUlRKsE_EESS_SW_SX_mSY_S11_bEUlT_E_NS1_11comp_targetILNS1_3genE10ELNS1_11target_archE1201ELNS1_3gpuE5ELNS1_3repE0EEENS1_30default_config_static_selectorELNS0_4arch9wavefront6targetE0EEEvSV_, .Lfunc_end16-_ZN7rocprim17ROCPRIM_400000_NS6detail17trampoline_kernelINS0_14default_configENS1_27lower_bound_config_selectorIslEEZNS1_14transform_implILb0ES3_S5_N6thrust23THRUST_200600_302600_NS6detail15normal_iteratorINS8_7pointerIsNS8_11hip_rocprim3tagENS8_11use_defaultESE_EEEENSA_INSB_IlSD_SE_SE_EEEEZNS1_13binary_searchIS3_S5_NSA_INS8_10device_ptrIsEEEESG_SI_NS1_21lower_bound_search_opENS9_16wrapped_functionINS8_7greaterIsEEbEEEE10hipError_tPvRmT1_T2_T3_mmT4_T5_P12ihipStream_tbEUlRKsE_EESS_SW_SX_mSY_S11_bEUlT_E_NS1_11comp_targetILNS1_3genE10ELNS1_11target_archE1201ELNS1_3gpuE5ELNS1_3repE0EEENS1_30default_config_static_selectorELNS0_4arch9wavefront6targetE0EEEvSV_
                                        ; -- End function
	.set _ZN7rocprim17ROCPRIM_400000_NS6detail17trampoline_kernelINS0_14default_configENS1_27lower_bound_config_selectorIslEEZNS1_14transform_implILb0ES3_S5_N6thrust23THRUST_200600_302600_NS6detail15normal_iteratorINS8_7pointerIsNS8_11hip_rocprim3tagENS8_11use_defaultESE_EEEENSA_INSB_IlSD_SE_SE_EEEEZNS1_13binary_searchIS3_S5_NSA_INS8_10device_ptrIsEEEESG_SI_NS1_21lower_bound_search_opENS9_16wrapped_functionINS8_7greaterIsEEbEEEE10hipError_tPvRmT1_T2_T3_mmT4_T5_P12ihipStream_tbEUlRKsE_EESS_SW_SX_mSY_S11_bEUlT_E_NS1_11comp_targetILNS1_3genE10ELNS1_11target_archE1201ELNS1_3gpuE5ELNS1_3repE0EEENS1_30default_config_static_selectorELNS0_4arch9wavefront6targetE0EEEvSV_.num_vgpr, 0
	.set _ZN7rocprim17ROCPRIM_400000_NS6detail17trampoline_kernelINS0_14default_configENS1_27lower_bound_config_selectorIslEEZNS1_14transform_implILb0ES3_S5_N6thrust23THRUST_200600_302600_NS6detail15normal_iteratorINS8_7pointerIsNS8_11hip_rocprim3tagENS8_11use_defaultESE_EEEENSA_INSB_IlSD_SE_SE_EEEEZNS1_13binary_searchIS3_S5_NSA_INS8_10device_ptrIsEEEESG_SI_NS1_21lower_bound_search_opENS9_16wrapped_functionINS8_7greaterIsEEbEEEE10hipError_tPvRmT1_T2_T3_mmT4_T5_P12ihipStream_tbEUlRKsE_EESS_SW_SX_mSY_S11_bEUlT_E_NS1_11comp_targetILNS1_3genE10ELNS1_11target_archE1201ELNS1_3gpuE5ELNS1_3repE0EEENS1_30default_config_static_selectorELNS0_4arch9wavefront6targetE0EEEvSV_.num_agpr, 0
	.set _ZN7rocprim17ROCPRIM_400000_NS6detail17trampoline_kernelINS0_14default_configENS1_27lower_bound_config_selectorIslEEZNS1_14transform_implILb0ES3_S5_N6thrust23THRUST_200600_302600_NS6detail15normal_iteratorINS8_7pointerIsNS8_11hip_rocprim3tagENS8_11use_defaultESE_EEEENSA_INSB_IlSD_SE_SE_EEEEZNS1_13binary_searchIS3_S5_NSA_INS8_10device_ptrIsEEEESG_SI_NS1_21lower_bound_search_opENS9_16wrapped_functionINS8_7greaterIsEEbEEEE10hipError_tPvRmT1_T2_T3_mmT4_T5_P12ihipStream_tbEUlRKsE_EESS_SW_SX_mSY_S11_bEUlT_E_NS1_11comp_targetILNS1_3genE10ELNS1_11target_archE1201ELNS1_3gpuE5ELNS1_3repE0EEENS1_30default_config_static_selectorELNS0_4arch9wavefront6targetE0EEEvSV_.numbered_sgpr, 0
	.set _ZN7rocprim17ROCPRIM_400000_NS6detail17trampoline_kernelINS0_14default_configENS1_27lower_bound_config_selectorIslEEZNS1_14transform_implILb0ES3_S5_N6thrust23THRUST_200600_302600_NS6detail15normal_iteratorINS8_7pointerIsNS8_11hip_rocprim3tagENS8_11use_defaultESE_EEEENSA_INSB_IlSD_SE_SE_EEEEZNS1_13binary_searchIS3_S5_NSA_INS8_10device_ptrIsEEEESG_SI_NS1_21lower_bound_search_opENS9_16wrapped_functionINS8_7greaterIsEEbEEEE10hipError_tPvRmT1_T2_T3_mmT4_T5_P12ihipStream_tbEUlRKsE_EESS_SW_SX_mSY_S11_bEUlT_E_NS1_11comp_targetILNS1_3genE10ELNS1_11target_archE1201ELNS1_3gpuE5ELNS1_3repE0EEENS1_30default_config_static_selectorELNS0_4arch9wavefront6targetE0EEEvSV_.num_named_barrier, 0
	.set _ZN7rocprim17ROCPRIM_400000_NS6detail17trampoline_kernelINS0_14default_configENS1_27lower_bound_config_selectorIslEEZNS1_14transform_implILb0ES3_S5_N6thrust23THRUST_200600_302600_NS6detail15normal_iteratorINS8_7pointerIsNS8_11hip_rocprim3tagENS8_11use_defaultESE_EEEENSA_INSB_IlSD_SE_SE_EEEEZNS1_13binary_searchIS3_S5_NSA_INS8_10device_ptrIsEEEESG_SI_NS1_21lower_bound_search_opENS9_16wrapped_functionINS8_7greaterIsEEbEEEE10hipError_tPvRmT1_T2_T3_mmT4_T5_P12ihipStream_tbEUlRKsE_EESS_SW_SX_mSY_S11_bEUlT_E_NS1_11comp_targetILNS1_3genE10ELNS1_11target_archE1201ELNS1_3gpuE5ELNS1_3repE0EEENS1_30default_config_static_selectorELNS0_4arch9wavefront6targetE0EEEvSV_.private_seg_size, 0
	.set _ZN7rocprim17ROCPRIM_400000_NS6detail17trampoline_kernelINS0_14default_configENS1_27lower_bound_config_selectorIslEEZNS1_14transform_implILb0ES3_S5_N6thrust23THRUST_200600_302600_NS6detail15normal_iteratorINS8_7pointerIsNS8_11hip_rocprim3tagENS8_11use_defaultESE_EEEENSA_INSB_IlSD_SE_SE_EEEEZNS1_13binary_searchIS3_S5_NSA_INS8_10device_ptrIsEEEESG_SI_NS1_21lower_bound_search_opENS9_16wrapped_functionINS8_7greaterIsEEbEEEE10hipError_tPvRmT1_T2_T3_mmT4_T5_P12ihipStream_tbEUlRKsE_EESS_SW_SX_mSY_S11_bEUlT_E_NS1_11comp_targetILNS1_3genE10ELNS1_11target_archE1201ELNS1_3gpuE5ELNS1_3repE0EEENS1_30default_config_static_selectorELNS0_4arch9wavefront6targetE0EEEvSV_.uses_vcc, 0
	.set _ZN7rocprim17ROCPRIM_400000_NS6detail17trampoline_kernelINS0_14default_configENS1_27lower_bound_config_selectorIslEEZNS1_14transform_implILb0ES3_S5_N6thrust23THRUST_200600_302600_NS6detail15normal_iteratorINS8_7pointerIsNS8_11hip_rocprim3tagENS8_11use_defaultESE_EEEENSA_INSB_IlSD_SE_SE_EEEEZNS1_13binary_searchIS3_S5_NSA_INS8_10device_ptrIsEEEESG_SI_NS1_21lower_bound_search_opENS9_16wrapped_functionINS8_7greaterIsEEbEEEE10hipError_tPvRmT1_T2_T3_mmT4_T5_P12ihipStream_tbEUlRKsE_EESS_SW_SX_mSY_S11_bEUlT_E_NS1_11comp_targetILNS1_3genE10ELNS1_11target_archE1201ELNS1_3gpuE5ELNS1_3repE0EEENS1_30default_config_static_selectorELNS0_4arch9wavefront6targetE0EEEvSV_.uses_flat_scratch, 0
	.set _ZN7rocprim17ROCPRIM_400000_NS6detail17trampoline_kernelINS0_14default_configENS1_27lower_bound_config_selectorIslEEZNS1_14transform_implILb0ES3_S5_N6thrust23THRUST_200600_302600_NS6detail15normal_iteratorINS8_7pointerIsNS8_11hip_rocprim3tagENS8_11use_defaultESE_EEEENSA_INSB_IlSD_SE_SE_EEEEZNS1_13binary_searchIS3_S5_NSA_INS8_10device_ptrIsEEEESG_SI_NS1_21lower_bound_search_opENS9_16wrapped_functionINS8_7greaterIsEEbEEEE10hipError_tPvRmT1_T2_T3_mmT4_T5_P12ihipStream_tbEUlRKsE_EESS_SW_SX_mSY_S11_bEUlT_E_NS1_11comp_targetILNS1_3genE10ELNS1_11target_archE1201ELNS1_3gpuE5ELNS1_3repE0EEENS1_30default_config_static_selectorELNS0_4arch9wavefront6targetE0EEEvSV_.has_dyn_sized_stack, 0
	.set _ZN7rocprim17ROCPRIM_400000_NS6detail17trampoline_kernelINS0_14default_configENS1_27lower_bound_config_selectorIslEEZNS1_14transform_implILb0ES3_S5_N6thrust23THRUST_200600_302600_NS6detail15normal_iteratorINS8_7pointerIsNS8_11hip_rocprim3tagENS8_11use_defaultESE_EEEENSA_INSB_IlSD_SE_SE_EEEEZNS1_13binary_searchIS3_S5_NSA_INS8_10device_ptrIsEEEESG_SI_NS1_21lower_bound_search_opENS9_16wrapped_functionINS8_7greaterIsEEbEEEE10hipError_tPvRmT1_T2_T3_mmT4_T5_P12ihipStream_tbEUlRKsE_EESS_SW_SX_mSY_S11_bEUlT_E_NS1_11comp_targetILNS1_3genE10ELNS1_11target_archE1201ELNS1_3gpuE5ELNS1_3repE0EEENS1_30default_config_static_selectorELNS0_4arch9wavefront6targetE0EEEvSV_.has_recursion, 0
	.set _ZN7rocprim17ROCPRIM_400000_NS6detail17trampoline_kernelINS0_14default_configENS1_27lower_bound_config_selectorIslEEZNS1_14transform_implILb0ES3_S5_N6thrust23THRUST_200600_302600_NS6detail15normal_iteratorINS8_7pointerIsNS8_11hip_rocprim3tagENS8_11use_defaultESE_EEEENSA_INSB_IlSD_SE_SE_EEEEZNS1_13binary_searchIS3_S5_NSA_INS8_10device_ptrIsEEEESG_SI_NS1_21lower_bound_search_opENS9_16wrapped_functionINS8_7greaterIsEEbEEEE10hipError_tPvRmT1_T2_T3_mmT4_T5_P12ihipStream_tbEUlRKsE_EESS_SW_SX_mSY_S11_bEUlT_E_NS1_11comp_targetILNS1_3genE10ELNS1_11target_archE1201ELNS1_3gpuE5ELNS1_3repE0EEENS1_30default_config_static_selectorELNS0_4arch9wavefront6targetE0EEEvSV_.has_indirect_call, 0
	.section	.AMDGPU.csdata,"",@progbits
; Kernel info:
; codeLenInByte = 0
; TotalNumSgprs: 0
; NumVgprs: 0
; ScratchSize: 0
; MemoryBound: 0
; FloatMode: 240
; IeeeMode: 1
; LDSByteSize: 0 bytes/workgroup (compile time only)
; SGPRBlocks: 0
; VGPRBlocks: 0
; NumSGPRsForWavesPerEU: 1
; NumVGPRsForWavesPerEU: 1
; NamedBarCnt: 0
; Occupancy: 16
; WaveLimiterHint : 0
; COMPUTE_PGM_RSRC2:SCRATCH_EN: 0
; COMPUTE_PGM_RSRC2:USER_SGPR: 2
; COMPUTE_PGM_RSRC2:TRAP_HANDLER: 0
; COMPUTE_PGM_RSRC2:TGID_X_EN: 1
; COMPUTE_PGM_RSRC2:TGID_Y_EN: 0
; COMPUTE_PGM_RSRC2:TGID_Z_EN: 0
; COMPUTE_PGM_RSRC2:TIDIG_COMP_CNT: 0
	.section	.text._ZN7rocprim17ROCPRIM_400000_NS6detail17trampoline_kernelINS0_14default_configENS1_27lower_bound_config_selectorIslEEZNS1_14transform_implILb0ES3_S5_N6thrust23THRUST_200600_302600_NS6detail15normal_iteratorINS8_7pointerIsNS8_11hip_rocprim3tagENS8_11use_defaultESE_EEEENSA_INSB_IlSD_SE_SE_EEEEZNS1_13binary_searchIS3_S5_NSA_INS8_10device_ptrIsEEEESG_SI_NS1_21lower_bound_search_opENS9_16wrapped_functionINS8_7greaterIsEEbEEEE10hipError_tPvRmT1_T2_T3_mmT4_T5_P12ihipStream_tbEUlRKsE_EESS_SW_SX_mSY_S11_bEUlT_E_NS1_11comp_targetILNS1_3genE10ELNS1_11target_archE1200ELNS1_3gpuE4ELNS1_3repE0EEENS1_30default_config_static_selectorELNS0_4arch9wavefront6targetE0EEEvSV_,"axG",@progbits,_ZN7rocprim17ROCPRIM_400000_NS6detail17trampoline_kernelINS0_14default_configENS1_27lower_bound_config_selectorIslEEZNS1_14transform_implILb0ES3_S5_N6thrust23THRUST_200600_302600_NS6detail15normal_iteratorINS8_7pointerIsNS8_11hip_rocprim3tagENS8_11use_defaultESE_EEEENSA_INSB_IlSD_SE_SE_EEEEZNS1_13binary_searchIS3_S5_NSA_INS8_10device_ptrIsEEEESG_SI_NS1_21lower_bound_search_opENS9_16wrapped_functionINS8_7greaterIsEEbEEEE10hipError_tPvRmT1_T2_T3_mmT4_T5_P12ihipStream_tbEUlRKsE_EESS_SW_SX_mSY_S11_bEUlT_E_NS1_11comp_targetILNS1_3genE10ELNS1_11target_archE1200ELNS1_3gpuE4ELNS1_3repE0EEENS1_30default_config_static_selectorELNS0_4arch9wavefront6targetE0EEEvSV_,comdat
	.protected	_ZN7rocprim17ROCPRIM_400000_NS6detail17trampoline_kernelINS0_14default_configENS1_27lower_bound_config_selectorIslEEZNS1_14transform_implILb0ES3_S5_N6thrust23THRUST_200600_302600_NS6detail15normal_iteratorINS8_7pointerIsNS8_11hip_rocprim3tagENS8_11use_defaultESE_EEEENSA_INSB_IlSD_SE_SE_EEEEZNS1_13binary_searchIS3_S5_NSA_INS8_10device_ptrIsEEEESG_SI_NS1_21lower_bound_search_opENS9_16wrapped_functionINS8_7greaterIsEEbEEEE10hipError_tPvRmT1_T2_T3_mmT4_T5_P12ihipStream_tbEUlRKsE_EESS_SW_SX_mSY_S11_bEUlT_E_NS1_11comp_targetILNS1_3genE10ELNS1_11target_archE1200ELNS1_3gpuE4ELNS1_3repE0EEENS1_30default_config_static_selectorELNS0_4arch9wavefront6targetE0EEEvSV_ ; -- Begin function _ZN7rocprim17ROCPRIM_400000_NS6detail17trampoline_kernelINS0_14default_configENS1_27lower_bound_config_selectorIslEEZNS1_14transform_implILb0ES3_S5_N6thrust23THRUST_200600_302600_NS6detail15normal_iteratorINS8_7pointerIsNS8_11hip_rocprim3tagENS8_11use_defaultESE_EEEENSA_INSB_IlSD_SE_SE_EEEEZNS1_13binary_searchIS3_S5_NSA_INS8_10device_ptrIsEEEESG_SI_NS1_21lower_bound_search_opENS9_16wrapped_functionINS8_7greaterIsEEbEEEE10hipError_tPvRmT1_T2_T3_mmT4_T5_P12ihipStream_tbEUlRKsE_EESS_SW_SX_mSY_S11_bEUlT_E_NS1_11comp_targetILNS1_3genE10ELNS1_11target_archE1200ELNS1_3gpuE4ELNS1_3repE0EEENS1_30default_config_static_selectorELNS0_4arch9wavefront6targetE0EEEvSV_
	.globl	_ZN7rocprim17ROCPRIM_400000_NS6detail17trampoline_kernelINS0_14default_configENS1_27lower_bound_config_selectorIslEEZNS1_14transform_implILb0ES3_S5_N6thrust23THRUST_200600_302600_NS6detail15normal_iteratorINS8_7pointerIsNS8_11hip_rocprim3tagENS8_11use_defaultESE_EEEENSA_INSB_IlSD_SE_SE_EEEEZNS1_13binary_searchIS3_S5_NSA_INS8_10device_ptrIsEEEESG_SI_NS1_21lower_bound_search_opENS9_16wrapped_functionINS8_7greaterIsEEbEEEE10hipError_tPvRmT1_T2_T3_mmT4_T5_P12ihipStream_tbEUlRKsE_EESS_SW_SX_mSY_S11_bEUlT_E_NS1_11comp_targetILNS1_3genE10ELNS1_11target_archE1200ELNS1_3gpuE4ELNS1_3repE0EEENS1_30default_config_static_selectorELNS0_4arch9wavefront6targetE0EEEvSV_
	.p2align	8
	.type	_ZN7rocprim17ROCPRIM_400000_NS6detail17trampoline_kernelINS0_14default_configENS1_27lower_bound_config_selectorIslEEZNS1_14transform_implILb0ES3_S5_N6thrust23THRUST_200600_302600_NS6detail15normal_iteratorINS8_7pointerIsNS8_11hip_rocprim3tagENS8_11use_defaultESE_EEEENSA_INSB_IlSD_SE_SE_EEEEZNS1_13binary_searchIS3_S5_NSA_INS8_10device_ptrIsEEEESG_SI_NS1_21lower_bound_search_opENS9_16wrapped_functionINS8_7greaterIsEEbEEEE10hipError_tPvRmT1_T2_T3_mmT4_T5_P12ihipStream_tbEUlRKsE_EESS_SW_SX_mSY_S11_bEUlT_E_NS1_11comp_targetILNS1_3genE10ELNS1_11target_archE1200ELNS1_3gpuE4ELNS1_3repE0EEENS1_30default_config_static_selectorELNS0_4arch9wavefront6targetE0EEEvSV_,@function
_ZN7rocprim17ROCPRIM_400000_NS6detail17trampoline_kernelINS0_14default_configENS1_27lower_bound_config_selectorIslEEZNS1_14transform_implILb0ES3_S5_N6thrust23THRUST_200600_302600_NS6detail15normal_iteratorINS8_7pointerIsNS8_11hip_rocprim3tagENS8_11use_defaultESE_EEEENSA_INSB_IlSD_SE_SE_EEEEZNS1_13binary_searchIS3_S5_NSA_INS8_10device_ptrIsEEEESG_SI_NS1_21lower_bound_search_opENS9_16wrapped_functionINS8_7greaterIsEEbEEEE10hipError_tPvRmT1_T2_T3_mmT4_T5_P12ihipStream_tbEUlRKsE_EESS_SW_SX_mSY_S11_bEUlT_E_NS1_11comp_targetILNS1_3genE10ELNS1_11target_archE1200ELNS1_3gpuE4ELNS1_3repE0EEENS1_30default_config_static_selectorELNS0_4arch9wavefront6targetE0EEEvSV_: ; @_ZN7rocprim17ROCPRIM_400000_NS6detail17trampoline_kernelINS0_14default_configENS1_27lower_bound_config_selectorIslEEZNS1_14transform_implILb0ES3_S5_N6thrust23THRUST_200600_302600_NS6detail15normal_iteratorINS8_7pointerIsNS8_11hip_rocprim3tagENS8_11use_defaultESE_EEEENSA_INSB_IlSD_SE_SE_EEEEZNS1_13binary_searchIS3_S5_NSA_INS8_10device_ptrIsEEEESG_SI_NS1_21lower_bound_search_opENS9_16wrapped_functionINS8_7greaterIsEEbEEEE10hipError_tPvRmT1_T2_T3_mmT4_T5_P12ihipStream_tbEUlRKsE_EESS_SW_SX_mSY_S11_bEUlT_E_NS1_11comp_targetILNS1_3genE10ELNS1_11target_archE1200ELNS1_3gpuE4ELNS1_3repE0EEENS1_30default_config_static_selectorELNS0_4arch9wavefront6targetE0EEEvSV_
; %bb.0:
	.section	.rodata,"a",@progbits
	.p2align	6, 0x0
	.amdhsa_kernel _ZN7rocprim17ROCPRIM_400000_NS6detail17trampoline_kernelINS0_14default_configENS1_27lower_bound_config_selectorIslEEZNS1_14transform_implILb0ES3_S5_N6thrust23THRUST_200600_302600_NS6detail15normal_iteratorINS8_7pointerIsNS8_11hip_rocprim3tagENS8_11use_defaultESE_EEEENSA_INSB_IlSD_SE_SE_EEEEZNS1_13binary_searchIS3_S5_NSA_INS8_10device_ptrIsEEEESG_SI_NS1_21lower_bound_search_opENS9_16wrapped_functionINS8_7greaterIsEEbEEEE10hipError_tPvRmT1_T2_T3_mmT4_T5_P12ihipStream_tbEUlRKsE_EESS_SW_SX_mSY_S11_bEUlT_E_NS1_11comp_targetILNS1_3genE10ELNS1_11target_archE1200ELNS1_3gpuE4ELNS1_3repE0EEENS1_30default_config_static_selectorELNS0_4arch9wavefront6targetE0EEEvSV_
		.amdhsa_group_segment_fixed_size 0
		.amdhsa_private_segment_fixed_size 0
		.amdhsa_kernarg_size 56
		.amdhsa_user_sgpr_count 2
		.amdhsa_user_sgpr_dispatch_ptr 0
		.amdhsa_user_sgpr_queue_ptr 0
		.amdhsa_user_sgpr_kernarg_segment_ptr 1
		.amdhsa_user_sgpr_dispatch_id 0
		.amdhsa_user_sgpr_kernarg_preload_length 0
		.amdhsa_user_sgpr_kernarg_preload_offset 0
		.amdhsa_user_sgpr_private_segment_size 0
		.amdhsa_wavefront_size32 1
		.amdhsa_uses_dynamic_stack 0
		.amdhsa_enable_private_segment 0
		.amdhsa_system_sgpr_workgroup_id_x 1
		.amdhsa_system_sgpr_workgroup_id_y 0
		.amdhsa_system_sgpr_workgroup_id_z 0
		.amdhsa_system_sgpr_workgroup_info 0
		.amdhsa_system_vgpr_workitem_id 0
		.amdhsa_next_free_vgpr 1
		.amdhsa_next_free_sgpr 1
		.amdhsa_named_barrier_count 0
		.amdhsa_reserve_vcc 0
		.amdhsa_float_round_mode_32 0
		.amdhsa_float_round_mode_16_64 0
		.amdhsa_float_denorm_mode_32 3
		.amdhsa_float_denorm_mode_16_64 3
		.amdhsa_fp16_overflow 0
		.amdhsa_memory_ordered 1
		.amdhsa_forward_progress 1
		.amdhsa_inst_pref_size 0
		.amdhsa_round_robin_scheduling 0
		.amdhsa_exception_fp_ieee_invalid_op 0
		.amdhsa_exception_fp_denorm_src 0
		.amdhsa_exception_fp_ieee_div_zero 0
		.amdhsa_exception_fp_ieee_overflow 0
		.amdhsa_exception_fp_ieee_underflow 0
		.amdhsa_exception_fp_ieee_inexact 0
		.amdhsa_exception_int_div_zero 0
	.end_amdhsa_kernel
	.section	.text._ZN7rocprim17ROCPRIM_400000_NS6detail17trampoline_kernelINS0_14default_configENS1_27lower_bound_config_selectorIslEEZNS1_14transform_implILb0ES3_S5_N6thrust23THRUST_200600_302600_NS6detail15normal_iteratorINS8_7pointerIsNS8_11hip_rocprim3tagENS8_11use_defaultESE_EEEENSA_INSB_IlSD_SE_SE_EEEEZNS1_13binary_searchIS3_S5_NSA_INS8_10device_ptrIsEEEESG_SI_NS1_21lower_bound_search_opENS9_16wrapped_functionINS8_7greaterIsEEbEEEE10hipError_tPvRmT1_T2_T3_mmT4_T5_P12ihipStream_tbEUlRKsE_EESS_SW_SX_mSY_S11_bEUlT_E_NS1_11comp_targetILNS1_3genE10ELNS1_11target_archE1200ELNS1_3gpuE4ELNS1_3repE0EEENS1_30default_config_static_selectorELNS0_4arch9wavefront6targetE0EEEvSV_,"axG",@progbits,_ZN7rocprim17ROCPRIM_400000_NS6detail17trampoline_kernelINS0_14default_configENS1_27lower_bound_config_selectorIslEEZNS1_14transform_implILb0ES3_S5_N6thrust23THRUST_200600_302600_NS6detail15normal_iteratorINS8_7pointerIsNS8_11hip_rocprim3tagENS8_11use_defaultESE_EEEENSA_INSB_IlSD_SE_SE_EEEEZNS1_13binary_searchIS3_S5_NSA_INS8_10device_ptrIsEEEESG_SI_NS1_21lower_bound_search_opENS9_16wrapped_functionINS8_7greaterIsEEbEEEE10hipError_tPvRmT1_T2_T3_mmT4_T5_P12ihipStream_tbEUlRKsE_EESS_SW_SX_mSY_S11_bEUlT_E_NS1_11comp_targetILNS1_3genE10ELNS1_11target_archE1200ELNS1_3gpuE4ELNS1_3repE0EEENS1_30default_config_static_selectorELNS0_4arch9wavefront6targetE0EEEvSV_,comdat
.Lfunc_end17:
	.size	_ZN7rocprim17ROCPRIM_400000_NS6detail17trampoline_kernelINS0_14default_configENS1_27lower_bound_config_selectorIslEEZNS1_14transform_implILb0ES3_S5_N6thrust23THRUST_200600_302600_NS6detail15normal_iteratorINS8_7pointerIsNS8_11hip_rocprim3tagENS8_11use_defaultESE_EEEENSA_INSB_IlSD_SE_SE_EEEEZNS1_13binary_searchIS3_S5_NSA_INS8_10device_ptrIsEEEESG_SI_NS1_21lower_bound_search_opENS9_16wrapped_functionINS8_7greaterIsEEbEEEE10hipError_tPvRmT1_T2_T3_mmT4_T5_P12ihipStream_tbEUlRKsE_EESS_SW_SX_mSY_S11_bEUlT_E_NS1_11comp_targetILNS1_3genE10ELNS1_11target_archE1200ELNS1_3gpuE4ELNS1_3repE0EEENS1_30default_config_static_selectorELNS0_4arch9wavefront6targetE0EEEvSV_, .Lfunc_end17-_ZN7rocprim17ROCPRIM_400000_NS6detail17trampoline_kernelINS0_14default_configENS1_27lower_bound_config_selectorIslEEZNS1_14transform_implILb0ES3_S5_N6thrust23THRUST_200600_302600_NS6detail15normal_iteratorINS8_7pointerIsNS8_11hip_rocprim3tagENS8_11use_defaultESE_EEEENSA_INSB_IlSD_SE_SE_EEEEZNS1_13binary_searchIS3_S5_NSA_INS8_10device_ptrIsEEEESG_SI_NS1_21lower_bound_search_opENS9_16wrapped_functionINS8_7greaterIsEEbEEEE10hipError_tPvRmT1_T2_T3_mmT4_T5_P12ihipStream_tbEUlRKsE_EESS_SW_SX_mSY_S11_bEUlT_E_NS1_11comp_targetILNS1_3genE10ELNS1_11target_archE1200ELNS1_3gpuE4ELNS1_3repE0EEENS1_30default_config_static_selectorELNS0_4arch9wavefront6targetE0EEEvSV_
                                        ; -- End function
	.set _ZN7rocprim17ROCPRIM_400000_NS6detail17trampoline_kernelINS0_14default_configENS1_27lower_bound_config_selectorIslEEZNS1_14transform_implILb0ES3_S5_N6thrust23THRUST_200600_302600_NS6detail15normal_iteratorINS8_7pointerIsNS8_11hip_rocprim3tagENS8_11use_defaultESE_EEEENSA_INSB_IlSD_SE_SE_EEEEZNS1_13binary_searchIS3_S5_NSA_INS8_10device_ptrIsEEEESG_SI_NS1_21lower_bound_search_opENS9_16wrapped_functionINS8_7greaterIsEEbEEEE10hipError_tPvRmT1_T2_T3_mmT4_T5_P12ihipStream_tbEUlRKsE_EESS_SW_SX_mSY_S11_bEUlT_E_NS1_11comp_targetILNS1_3genE10ELNS1_11target_archE1200ELNS1_3gpuE4ELNS1_3repE0EEENS1_30default_config_static_selectorELNS0_4arch9wavefront6targetE0EEEvSV_.num_vgpr, 0
	.set _ZN7rocprim17ROCPRIM_400000_NS6detail17trampoline_kernelINS0_14default_configENS1_27lower_bound_config_selectorIslEEZNS1_14transform_implILb0ES3_S5_N6thrust23THRUST_200600_302600_NS6detail15normal_iteratorINS8_7pointerIsNS8_11hip_rocprim3tagENS8_11use_defaultESE_EEEENSA_INSB_IlSD_SE_SE_EEEEZNS1_13binary_searchIS3_S5_NSA_INS8_10device_ptrIsEEEESG_SI_NS1_21lower_bound_search_opENS9_16wrapped_functionINS8_7greaterIsEEbEEEE10hipError_tPvRmT1_T2_T3_mmT4_T5_P12ihipStream_tbEUlRKsE_EESS_SW_SX_mSY_S11_bEUlT_E_NS1_11comp_targetILNS1_3genE10ELNS1_11target_archE1200ELNS1_3gpuE4ELNS1_3repE0EEENS1_30default_config_static_selectorELNS0_4arch9wavefront6targetE0EEEvSV_.num_agpr, 0
	.set _ZN7rocprim17ROCPRIM_400000_NS6detail17trampoline_kernelINS0_14default_configENS1_27lower_bound_config_selectorIslEEZNS1_14transform_implILb0ES3_S5_N6thrust23THRUST_200600_302600_NS6detail15normal_iteratorINS8_7pointerIsNS8_11hip_rocprim3tagENS8_11use_defaultESE_EEEENSA_INSB_IlSD_SE_SE_EEEEZNS1_13binary_searchIS3_S5_NSA_INS8_10device_ptrIsEEEESG_SI_NS1_21lower_bound_search_opENS9_16wrapped_functionINS8_7greaterIsEEbEEEE10hipError_tPvRmT1_T2_T3_mmT4_T5_P12ihipStream_tbEUlRKsE_EESS_SW_SX_mSY_S11_bEUlT_E_NS1_11comp_targetILNS1_3genE10ELNS1_11target_archE1200ELNS1_3gpuE4ELNS1_3repE0EEENS1_30default_config_static_selectorELNS0_4arch9wavefront6targetE0EEEvSV_.numbered_sgpr, 0
	.set _ZN7rocprim17ROCPRIM_400000_NS6detail17trampoline_kernelINS0_14default_configENS1_27lower_bound_config_selectorIslEEZNS1_14transform_implILb0ES3_S5_N6thrust23THRUST_200600_302600_NS6detail15normal_iteratorINS8_7pointerIsNS8_11hip_rocprim3tagENS8_11use_defaultESE_EEEENSA_INSB_IlSD_SE_SE_EEEEZNS1_13binary_searchIS3_S5_NSA_INS8_10device_ptrIsEEEESG_SI_NS1_21lower_bound_search_opENS9_16wrapped_functionINS8_7greaterIsEEbEEEE10hipError_tPvRmT1_T2_T3_mmT4_T5_P12ihipStream_tbEUlRKsE_EESS_SW_SX_mSY_S11_bEUlT_E_NS1_11comp_targetILNS1_3genE10ELNS1_11target_archE1200ELNS1_3gpuE4ELNS1_3repE0EEENS1_30default_config_static_selectorELNS0_4arch9wavefront6targetE0EEEvSV_.num_named_barrier, 0
	.set _ZN7rocprim17ROCPRIM_400000_NS6detail17trampoline_kernelINS0_14default_configENS1_27lower_bound_config_selectorIslEEZNS1_14transform_implILb0ES3_S5_N6thrust23THRUST_200600_302600_NS6detail15normal_iteratorINS8_7pointerIsNS8_11hip_rocprim3tagENS8_11use_defaultESE_EEEENSA_INSB_IlSD_SE_SE_EEEEZNS1_13binary_searchIS3_S5_NSA_INS8_10device_ptrIsEEEESG_SI_NS1_21lower_bound_search_opENS9_16wrapped_functionINS8_7greaterIsEEbEEEE10hipError_tPvRmT1_T2_T3_mmT4_T5_P12ihipStream_tbEUlRKsE_EESS_SW_SX_mSY_S11_bEUlT_E_NS1_11comp_targetILNS1_3genE10ELNS1_11target_archE1200ELNS1_3gpuE4ELNS1_3repE0EEENS1_30default_config_static_selectorELNS0_4arch9wavefront6targetE0EEEvSV_.private_seg_size, 0
	.set _ZN7rocprim17ROCPRIM_400000_NS6detail17trampoline_kernelINS0_14default_configENS1_27lower_bound_config_selectorIslEEZNS1_14transform_implILb0ES3_S5_N6thrust23THRUST_200600_302600_NS6detail15normal_iteratorINS8_7pointerIsNS8_11hip_rocprim3tagENS8_11use_defaultESE_EEEENSA_INSB_IlSD_SE_SE_EEEEZNS1_13binary_searchIS3_S5_NSA_INS8_10device_ptrIsEEEESG_SI_NS1_21lower_bound_search_opENS9_16wrapped_functionINS8_7greaterIsEEbEEEE10hipError_tPvRmT1_T2_T3_mmT4_T5_P12ihipStream_tbEUlRKsE_EESS_SW_SX_mSY_S11_bEUlT_E_NS1_11comp_targetILNS1_3genE10ELNS1_11target_archE1200ELNS1_3gpuE4ELNS1_3repE0EEENS1_30default_config_static_selectorELNS0_4arch9wavefront6targetE0EEEvSV_.uses_vcc, 0
	.set _ZN7rocprim17ROCPRIM_400000_NS6detail17trampoline_kernelINS0_14default_configENS1_27lower_bound_config_selectorIslEEZNS1_14transform_implILb0ES3_S5_N6thrust23THRUST_200600_302600_NS6detail15normal_iteratorINS8_7pointerIsNS8_11hip_rocprim3tagENS8_11use_defaultESE_EEEENSA_INSB_IlSD_SE_SE_EEEEZNS1_13binary_searchIS3_S5_NSA_INS8_10device_ptrIsEEEESG_SI_NS1_21lower_bound_search_opENS9_16wrapped_functionINS8_7greaterIsEEbEEEE10hipError_tPvRmT1_T2_T3_mmT4_T5_P12ihipStream_tbEUlRKsE_EESS_SW_SX_mSY_S11_bEUlT_E_NS1_11comp_targetILNS1_3genE10ELNS1_11target_archE1200ELNS1_3gpuE4ELNS1_3repE0EEENS1_30default_config_static_selectorELNS0_4arch9wavefront6targetE0EEEvSV_.uses_flat_scratch, 0
	.set _ZN7rocprim17ROCPRIM_400000_NS6detail17trampoline_kernelINS0_14default_configENS1_27lower_bound_config_selectorIslEEZNS1_14transform_implILb0ES3_S5_N6thrust23THRUST_200600_302600_NS6detail15normal_iteratorINS8_7pointerIsNS8_11hip_rocprim3tagENS8_11use_defaultESE_EEEENSA_INSB_IlSD_SE_SE_EEEEZNS1_13binary_searchIS3_S5_NSA_INS8_10device_ptrIsEEEESG_SI_NS1_21lower_bound_search_opENS9_16wrapped_functionINS8_7greaterIsEEbEEEE10hipError_tPvRmT1_T2_T3_mmT4_T5_P12ihipStream_tbEUlRKsE_EESS_SW_SX_mSY_S11_bEUlT_E_NS1_11comp_targetILNS1_3genE10ELNS1_11target_archE1200ELNS1_3gpuE4ELNS1_3repE0EEENS1_30default_config_static_selectorELNS0_4arch9wavefront6targetE0EEEvSV_.has_dyn_sized_stack, 0
	.set _ZN7rocprim17ROCPRIM_400000_NS6detail17trampoline_kernelINS0_14default_configENS1_27lower_bound_config_selectorIslEEZNS1_14transform_implILb0ES3_S5_N6thrust23THRUST_200600_302600_NS6detail15normal_iteratorINS8_7pointerIsNS8_11hip_rocprim3tagENS8_11use_defaultESE_EEEENSA_INSB_IlSD_SE_SE_EEEEZNS1_13binary_searchIS3_S5_NSA_INS8_10device_ptrIsEEEESG_SI_NS1_21lower_bound_search_opENS9_16wrapped_functionINS8_7greaterIsEEbEEEE10hipError_tPvRmT1_T2_T3_mmT4_T5_P12ihipStream_tbEUlRKsE_EESS_SW_SX_mSY_S11_bEUlT_E_NS1_11comp_targetILNS1_3genE10ELNS1_11target_archE1200ELNS1_3gpuE4ELNS1_3repE0EEENS1_30default_config_static_selectorELNS0_4arch9wavefront6targetE0EEEvSV_.has_recursion, 0
	.set _ZN7rocprim17ROCPRIM_400000_NS6detail17trampoline_kernelINS0_14default_configENS1_27lower_bound_config_selectorIslEEZNS1_14transform_implILb0ES3_S5_N6thrust23THRUST_200600_302600_NS6detail15normal_iteratorINS8_7pointerIsNS8_11hip_rocprim3tagENS8_11use_defaultESE_EEEENSA_INSB_IlSD_SE_SE_EEEEZNS1_13binary_searchIS3_S5_NSA_INS8_10device_ptrIsEEEESG_SI_NS1_21lower_bound_search_opENS9_16wrapped_functionINS8_7greaterIsEEbEEEE10hipError_tPvRmT1_T2_T3_mmT4_T5_P12ihipStream_tbEUlRKsE_EESS_SW_SX_mSY_S11_bEUlT_E_NS1_11comp_targetILNS1_3genE10ELNS1_11target_archE1200ELNS1_3gpuE4ELNS1_3repE0EEENS1_30default_config_static_selectorELNS0_4arch9wavefront6targetE0EEEvSV_.has_indirect_call, 0
	.section	.AMDGPU.csdata,"",@progbits
; Kernel info:
; codeLenInByte = 0
; TotalNumSgprs: 0
; NumVgprs: 0
; ScratchSize: 0
; MemoryBound: 0
; FloatMode: 240
; IeeeMode: 1
; LDSByteSize: 0 bytes/workgroup (compile time only)
; SGPRBlocks: 0
; VGPRBlocks: 0
; NumSGPRsForWavesPerEU: 1
; NumVGPRsForWavesPerEU: 1
; NamedBarCnt: 0
; Occupancy: 16
; WaveLimiterHint : 0
; COMPUTE_PGM_RSRC2:SCRATCH_EN: 0
; COMPUTE_PGM_RSRC2:USER_SGPR: 2
; COMPUTE_PGM_RSRC2:TRAP_HANDLER: 0
; COMPUTE_PGM_RSRC2:TGID_X_EN: 1
; COMPUTE_PGM_RSRC2:TGID_Y_EN: 0
; COMPUTE_PGM_RSRC2:TGID_Z_EN: 0
; COMPUTE_PGM_RSRC2:TIDIG_COMP_CNT: 0
	.section	.text._ZN7rocprim17ROCPRIM_400000_NS6detail17trampoline_kernelINS0_14default_configENS1_27lower_bound_config_selectorIslEEZNS1_14transform_implILb0ES3_S5_N6thrust23THRUST_200600_302600_NS6detail15normal_iteratorINS8_7pointerIsNS8_11hip_rocprim3tagENS8_11use_defaultESE_EEEENSA_INSB_IlSD_SE_SE_EEEEZNS1_13binary_searchIS3_S5_NSA_INS8_10device_ptrIsEEEESG_SI_NS1_21lower_bound_search_opENS9_16wrapped_functionINS8_7greaterIsEEbEEEE10hipError_tPvRmT1_T2_T3_mmT4_T5_P12ihipStream_tbEUlRKsE_EESS_SW_SX_mSY_S11_bEUlT_E_NS1_11comp_targetILNS1_3genE9ELNS1_11target_archE1100ELNS1_3gpuE3ELNS1_3repE0EEENS1_30default_config_static_selectorELNS0_4arch9wavefront6targetE0EEEvSV_,"axG",@progbits,_ZN7rocprim17ROCPRIM_400000_NS6detail17trampoline_kernelINS0_14default_configENS1_27lower_bound_config_selectorIslEEZNS1_14transform_implILb0ES3_S5_N6thrust23THRUST_200600_302600_NS6detail15normal_iteratorINS8_7pointerIsNS8_11hip_rocprim3tagENS8_11use_defaultESE_EEEENSA_INSB_IlSD_SE_SE_EEEEZNS1_13binary_searchIS3_S5_NSA_INS8_10device_ptrIsEEEESG_SI_NS1_21lower_bound_search_opENS9_16wrapped_functionINS8_7greaterIsEEbEEEE10hipError_tPvRmT1_T2_T3_mmT4_T5_P12ihipStream_tbEUlRKsE_EESS_SW_SX_mSY_S11_bEUlT_E_NS1_11comp_targetILNS1_3genE9ELNS1_11target_archE1100ELNS1_3gpuE3ELNS1_3repE0EEENS1_30default_config_static_selectorELNS0_4arch9wavefront6targetE0EEEvSV_,comdat
	.protected	_ZN7rocprim17ROCPRIM_400000_NS6detail17trampoline_kernelINS0_14default_configENS1_27lower_bound_config_selectorIslEEZNS1_14transform_implILb0ES3_S5_N6thrust23THRUST_200600_302600_NS6detail15normal_iteratorINS8_7pointerIsNS8_11hip_rocprim3tagENS8_11use_defaultESE_EEEENSA_INSB_IlSD_SE_SE_EEEEZNS1_13binary_searchIS3_S5_NSA_INS8_10device_ptrIsEEEESG_SI_NS1_21lower_bound_search_opENS9_16wrapped_functionINS8_7greaterIsEEbEEEE10hipError_tPvRmT1_T2_T3_mmT4_T5_P12ihipStream_tbEUlRKsE_EESS_SW_SX_mSY_S11_bEUlT_E_NS1_11comp_targetILNS1_3genE9ELNS1_11target_archE1100ELNS1_3gpuE3ELNS1_3repE0EEENS1_30default_config_static_selectorELNS0_4arch9wavefront6targetE0EEEvSV_ ; -- Begin function _ZN7rocprim17ROCPRIM_400000_NS6detail17trampoline_kernelINS0_14default_configENS1_27lower_bound_config_selectorIslEEZNS1_14transform_implILb0ES3_S5_N6thrust23THRUST_200600_302600_NS6detail15normal_iteratorINS8_7pointerIsNS8_11hip_rocprim3tagENS8_11use_defaultESE_EEEENSA_INSB_IlSD_SE_SE_EEEEZNS1_13binary_searchIS3_S5_NSA_INS8_10device_ptrIsEEEESG_SI_NS1_21lower_bound_search_opENS9_16wrapped_functionINS8_7greaterIsEEbEEEE10hipError_tPvRmT1_T2_T3_mmT4_T5_P12ihipStream_tbEUlRKsE_EESS_SW_SX_mSY_S11_bEUlT_E_NS1_11comp_targetILNS1_3genE9ELNS1_11target_archE1100ELNS1_3gpuE3ELNS1_3repE0EEENS1_30default_config_static_selectorELNS0_4arch9wavefront6targetE0EEEvSV_
	.globl	_ZN7rocprim17ROCPRIM_400000_NS6detail17trampoline_kernelINS0_14default_configENS1_27lower_bound_config_selectorIslEEZNS1_14transform_implILb0ES3_S5_N6thrust23THRUST_200600_302600_NS6detail15normal_iteratorINS8_7pointerIsNS8_11hip_rocprim3tagENS8_11use_defaultESE_EEEENSA_INSB_IlSD_SE_SE_EEEEZNS1_13binary_searchIS3_S5_NSA_INS8_10device_ptrIsEEEESG_SI_NS1_21lower_bound_search_opENS9_16wrapped_functionINS8_7greaterIsEEbEEEE10hipError_tPvRmT1_T2_T3_mmT4_T5_P12ihipStream_tbEUlRKsE_EESS_SW_SX_mSY_S11_bEUlT_E_NS1_11comp_targetILNS1_3genE9ELNS1_11target_archE1100ELNS1_3gpuE3ELNS1_3repE0EEENS1_30default_config_static_selectorELNS0_4arch9wavefront6targetE0EEEvSV_
	.p2align	8
	.type	_ZN7rocprim17ROCPRIM_400000_NS6detail17trampoline_kernelINS0_14default_configENS1_27lower_bound_config_selectorIslEEZNS1_14transform_implILb0ES3_S5_N6thrust23THRUST_200600_302600_NS6detail15normal_iteratorINS8_7pointerIsNS8_11hip_rocprim3tagENS8_11use_defaultESE_EEEENSA_INSB_IlSD_SE_SE_EEEEZNS1_13binary_searchIS3_S5_NSA_INS8_10device_ptrIsEEEESG_SI_NS1_21lower_bound_search_opENS9_16wrapped_functionINS8_7greaterIsEEbEEEE10hipError_tPvRmT1_T2_T3_mmT4_T5_P12ihipStream_tbEUlRKsE_EESS_SW_SX_mSY_S11_bEUlT_E_NS1_11comp_targetILNS1_3genE9ELNS1_11target_archE1100ELNS1_3gpuE3ELNS1_3repE0EEENS1_30default_config_static_selectorELNS0_4arch9wavefront6targetE0EEEvSV_,@function
_ZN7rocprim17ROCPRIM_400000_NS6detail17trampoline_kernelINS0_14default_configENS1_27lower_bound_config_selectorIslEEZNS1_14transform_implILb0ES3_S5_N6thrust23THRUST_200600_302600_NS6detail15normal_iteratorINS8_7pointerIsNS8_11hip_rocprim3tagENS8_11use_defaultESE_EEEENSA_INSB_IlSD_SE_SE_EEEEZNS1_13binary_searchIS3_S5_NSA_INS8_10device_ptrIsEEEESG_SI_NS1_21lower_bound_search_opENS9_16wrapped_functionINS8_7greaterIsEEbEEEE10hipError_tPvRmT1_T2_T3_mmT4_T5_P12ihipStream_tbEUlRKsE_EESS_SW_SX_mSY_S11_bEUlT_E_NS1_11comp_targetILNS1_3genE9ELNS1_11target_archE1100ELNS1_3gpuE3ELNS1_3repE0EEENS1_30default_config_static_selectorELNS0_4arch9wavefront6targetE0EEEvSV_: ; @_ZN7rocprim17ROCPRIM_400000_NS6detail17trampoline_kernelINS0_14default_configENS1_27lower_bound_config_selectorIslEEZNS1_14transform_implILb0ES3_S5_N6thrust23THRUST_200600_302600_NS6detail15normal_iteratorINS8_7pointerIsNS8_11hip_rocprim3tagENS8_11use_defaultESE_EEEENSA_INSB_IlSD_SE_SE_EEEEZNS1_13binary_searchIS3_S5_NSA_INS8_10device_ptrIsEEEESG_SI_NS1_21lower_bound_search_opENS9_16wrapped_functionINS8_7greaterIsEEbEEEE10hipError_tPvRmT1_T2_T3_mmT4_T5_P12ihipStream_tbEUlRKsE_EESS_SW_SX_mSY_S11_bEUlT_E_NS1_11comp_targetILNS1_3genE9ELNS1_11target_archE1100ELNS1_3gpuE3ELNS1_3repE0EEENS1_30default_config_static_selectorELNS0_4arch9wavefront6targetE0EEEvSV_
; %bb.0:
	.section	.rodata,"a",@progbits
	.p2align	6, 0x0
	.amdhsa_kernel _ZN7rocprim17ROCPRIM_400000_NS6detail17trampoline_kernelINS0_14default_configENS1_27lower_bound_config_selectorIslEEZNS1_14transform_implILb0ES3_S5_N6thrust23THRUST_200600_302600_NS6detail15normal_iteratorINS8_7pointerIsNS8_11hip_rocprim3tagENS8_11use_defaultESE_EEEENSA_INSB_IlSD_SE_SE_EEEEZNS1_13binary_searchIS3_S5_NSA_INS8_10device_ptrIsEEEESG_SI_NS1_21lower_bound_search_opENS9_16wrapped_functionINS8_7greaterIsEEbEEEE10hipError_tPvRmT1_T2_T3_mmT4_T5_P12ihipStream_tbEUlRKsE_EESS_SW_SX_mSY_S11_bEUlT_E_NS1_11comp_targetILNS1_3genE9ELNS1_11target_archE1100ELNS1_3gpuE3ELNS1_3repE0EEENS1_30default_config_static_selectorELNS0_4arch9wavefront6targetE0EEEvSV_
		.amdhsa_group_segment_fixed_size 0
		.amdhsa_private_segment_fixed_size 0
		.amdhsa_kernarg_size 56
		.amdhsa_user_sgpr_count 2
		.amdhsa_user_sgpr_dispatch_ptr 0
		.amdhsa_user_sgpr_queue_ptr 0
		.amdhsa_user_sgpr_kernarg_segment_ptr 1
		.amdhsa_user_sgpr_dispatch_id 0
		.amdhsa_user_sgpr_kernarg_preload_length 0
		.amdhsa_user_sgpr_kernarg_preload_offset 0
		.amdhsa_user_sgpr_private_segment_size 0
		.amdhsa_wavefront_size32 1
		.amdhsa_uses_dynamic_stack 0
		.amdhsa_enable_private_segment 0
		.amdhsa_system_sgpr_workgroup_id_x 1
		.amdhsa_system_sgpr_workgroup_id_y 0
		.amdhsa_system_sgpr_workgroup_id_z 0
		.amdhsa_system_sgpr_workgroup_info 0
		.amdhsa_system_vgpr_workitem_id 0
		.amdhsa_next_free_vgpr 1
		.amdhsa_next_free_sgpr 1
		.amdhsa_named_barrier_count 0
		.amdhsa_reserve_vcc 0
		.amdhsa_float_round_mode_32 0
		.amdhsa_float_round_mode_16_64 0
		.amdhsa_float_denorm_mode_32 3
		.amdhsa_float_denorm_mode_16_64 3
		.amdhsa_fp16_overflow 0
		.amdhsa_memory_ordered 1
		.amdhsa_forward_progress 1
		.amdhsa_inst_pref_size 0
		.amdhsa_round_robin_scheduling 0
		.amdhsa_exception_fp_ieee_invalid_op 0
		.amdhsa_exception_fp_denorm_src 0
		.amdhsa_exception_fp_ieee_div_zero 0
		.amdhsa_exception_fp_ieee_overflow 0
		.amdhsa_exception_fp_ieee_underflow 0
		.amdhsa_exception_fp_ieee_inexact 0
		.amdhsa_exception_int_div_zero 0
	.end_amdhsa_kernel
	.section	.text._ZN7rocprim17ROCPRIM_400000_NS6detail17trampoline_kernelINS0_14default_configENS1_27lower_bound_config_selectorIslEEZNS1_14transform_implILb0ES3_S5_N6thrust23THRUST_200600_302600_NS6detail15normal_iteratorINS8_7pointerIsNS8_11hip_rocprim3tagENS8_11use_defaultESE_EEEENSA_INSB_IlSD_SE_SE_EEEEZNS1_13binary_searchIS3_S5_NSA_INS8_10device_ptrIsEEEESG_SI_NS1_21lower_bound_search_opENS9_16wrapped_functionINS8_7greaterIsEEbEEEE10hipError_tPvRmT1_T2_T3_mmT4_T5_P12ihipStream_tbEUlRKsE_EESS_SW_SX_mSY_S11_bEUlT_E_NS1_11comp_targetILNS1_3genE9ELNS1_11target_archE1100ELNS1_3gpuE3ELNS1_3repE0EEENS1_30default_config_static_selectorELNS0_4arch9wavefront6targetE0EEEvSV_,"axG",@progbits,_ZN7rocprim17ROCPRIM_400000_NS6detail17trampoline_kernelINS0_14default_configENS1_27lower_bound_config_selectorIslEEZNS1_14transform_implILb0ES3_S5_N6thrust23THRUST_200600_302600_NS6detail15normal_iteratorINS8_7pointerIsNS8_11hip_rocprim3tagENS8_11use_defaultESE_EEEENSA_INSB_IlSD_SE_SE_EEEEZNS1_13binary_searchIS3_S5_NSA_INS8_10device_ptrIsEEEESG_SI_NS1_21lower_bound_search_opENS9_16wrapped_functionINS8_7greaterIsEEbEEEE10hipError_tPvRmT1_T2_T3_mmT4_T5_P12ihipStream_tbEUlRKsE_EESS_SW_SX_mSY_S11_bEUlT_E_NS1_11comp_targetILNS1_3genE9ELNS1_11target_archE1100ELNS1_3gpuE3ELNS1_3repE0EEENS1_30default_config_static_selectorELNS0_4arch9wavefront6targetE0EEEvSV_,comdat
.Lfunc_end18:
	.size	_ZN7rocprim17ROCPRIM_400000_NS6detail17trampoline_kernelINS0_14default_configENS1_27lower_bound_config_selectorIslEEZNS1_14transform_implILb0ES3_S5_N6thrust23THRUST_200600_302600_NS6detail15normal_iteratorINS8_7pointerIsNS8_11hip_rocprim3tagENS8_11use_defaultESE_EEEENSA_INSB_IlSD_SE_SE_EEEEZNS1_13binary_searchIS3_S5_NSA_INS8_10device_ptrIsEEEESG_SI_NS1_21lower_bound_search_opENS9_16wrapped_functionINS8_7greaterIsEEbEEEE10hipError_tPvRmT1_T2_T3_mmT4_T5_P12ihipStream_tbEUlRKsE_EESS_SW_SX_mSY_S11_bEUlT_E_NS1_11comp_targetILNS1_3genE9ELNS1_11target_archE1100ELNS1_3gpuE3ELNS1_3repE0EEENS1_30default_config_static_selectorELNS0_4arch9wavefront6targetE0EEEvSV_, .Lfunc_end18-_ZN7rocprim17ROCPRIM_400000_NS6detail17trampoline_kernelINS0_14default_configENS1_27lower_bound_config_selectorIslEEZNS1_14transform_implILb0ES3_S5_N6thrust23THRUST_200600_302600_NS6detail15normal_iteratorINS8_7pointerIsNS8_11hip_rocprim3tagENS8_11use_defaultESE_EEEENSA_INSB_IlSD_SE_SE_EEEEZNS1_13binary_searchIS3_S5_NSA_INS8_10device_ptrIsEEEESG_SI_NS1_21lower_bound_search_opENS9_16wrapped_functionINS8_7greaterIsEEbEEEE10hipError_tPvRmT1_T2_T3_mmT4_T5_P12ihipStream_tbEUlRKsE_EESS_SW_SX_mSY_S11_bEUlT_E_NS1_11comp_targetILNS1_3genE9ELNS1_11target_archE1100ELNS1_3gpuE3ELNS1_3repE0EEENS1_30default_config_static_selectorELNS0_4arch9wavefront6targetE0EEEvSV_
                                        ; -- End function
	.set _ZN7rocprim17ROCPRIM_400000_NS6detail17trampoline_kernelINS0_14default_configENS1_27lower_bound_config_selectorIslEEZNS1_14transform_implILb0ES3_S5_N6thrust23THRUST_200600_302600_NS6detail15normal_iteratorINS8_7pointerIsNS8_11hip_rocprim3tagENS8_11use_defaultESE_EEEENSA_INSB_IlSD_SE_SE_EEEEZNS1_13binary_searchIS3_S5_NSA_INS8_10device_ptrIsEEEESG_SI_NS1_21lower_bound_search_opENS9_16wrapped_functionINS8_7greaterIsEEbEEEE10hipError_tPvRmT1_T2_T3_mmT4_T5_P12ihipStream_tbEUlRKsE_EESS_SW_SX_mSY_S11_bEUlT_E_NS1_11comp_targetILNS1_3genE9ELNS1_11target_archE1100ELNS1_3gpuE3ELNS1_3repE0EEENS1_30default_config_static_selectorELNS0_4arch9wavefront6targetE0EEEvSV_.num_vgpr, 0
	.set _ZN7rocprim17ROCPRIM_400000_NS6detail17trampoline_kernelINS0_14default_configENS1_27lower_bound_config_selectorIslEEZNS1_14transform_implILb0ES3_S5_N6thrust23THRUST_200600_302600_NS6detail15normal_iteratorINS8_7pointerIsNS8_11hip_rocprim3tagENS8_11use_defaultESE_EEEENSA_INSB_IlSD_SE_SE_EEEEZNS1_13binary_searchIS3_S5_NSA_INS8_10device_ptrIsEEEESG_SI_NS1_21lower_bound_search_opENS9_16wrapped_functionINS8_7greaterIsEEbEEEE10hipError_tPvRmT1_T2_T3_mmT4_T5_P12ihipStream_tbEUlRKsE_EESS_SW_SX_mSY_S11_bEUlT_E_NS1_11comp_targetILNS1_3genE9ELNS1_11target_archE1100ELNS1_3gpuE3ELNS1_3repE0EEENS1_30default_config_static_selectorELNS0_4arch9wavefront6targetE0EEEvSV_.num_agpr, 0
	.set _ZN7rocprim17ROCPRIM_400000_NS6detail17trampoline_kernelINS0_14default_configENS1_27lower_bound_config_selectorIslEEZNS1_14transform_implILb0ES3_S5_N6thrust23THRUST_200600_302600_NS6detail15normal_iteratorINS8_7pointerIsNS8_11hip_rocprim3tagENS8_11use_defaultESE_EEEENSA_INSB_IlSD_SE_SE_EEEEZNS1_13binary_searchIS3_S5_NSA_INS8_10device_ptrIsEEEESG_SI_NS1_21lower_bound_search_opENS9_16wrapped_functionINS8_7greaterIsEEbEEEE10hipError_tPvRmT1_T2_T3_mmT4_T5_P12ihipStream_tbEUlRKsE_EESS_SW_SX_mSY_S11_bEUlT_E_NS1_11comp_targetILNS1_3genE9ELNS1_11target_archE1100ELNS1_3gpuE3ELNS1_3repE0EEENS1_30default_config_static_selectorELNS0_4arch9wavefront6targetE0EEEvSV_.numbered_sgpr, 0
	.set _ZN7rocprim17ROCPRIM_400000_NS6detail17trampoline_kernelINS0_14default_configENS1_27lower_bound_config_selectorIslEEZNS1_14transform_implILb0ES3_S5_N6thrust23THRUST_200600_302600_NS6detail15normal_iteratorINS8_7pointerIsNS8_11hip_rocprim3tagENS8_11use_defaultESE_EEEENSA_INSB_IlSD_SE_SE_EEEEZNS1_13binary_searchIS3_S5_NSA_INS8_10device_ptrIsEEEESG_SI_NS1_21lower_bound_search_opENS9_16wrapped_functionINS8_7greaterIsEEbEEEE10hipError_tPvRmT1_T2_T3_mmT4_T5_P12ihipStream_tbEUlRKsE_EESS_SW_SX_mSY_S11_bEUlT_E_NS1_11comp_targetILNS1_3genE9ELNS1_11target_archE1100ELNS1_3gpuE3ELNS1_3repE0EEENS1_30default_config_static_selectorELNS0_4arch9wavefront6targetE0EEEvSV_.num_named_barrier, 0
	.set _ZN7rocprim17ROCPRIM_400000_NS6detail17trampoline_kernelINS0_14default_configENS1_27lower_bound_config_selectorIslEEZNS1_14transform_implILb0ES3_S5_N6thrust23THRUST_200600_302600_NS6detail15normal_iteratorINS8_7pointerIsNS8_11hip_rocprim3tagENS8_11use_defaultESE_EEEENSA_INSB_IlSD_SE_SE_EEEEZNS1_13binary_searchIS3_S5_NSA_INS8_10device_ptrIsEEEESG_SI_NS1_21lower_bound_search_opENS9_16wrapped_functionINS8_7greaterIsEEbEEEE10hipError_tPvRmT1_T2_T3_mmT4_T5_P12ihipStream_tbEUlRKsE_EESS_SW_SX_mSY_S11_bEUlT_E_NS1_11comp_targetILNS1_3genE9ELNS1_11target_archE1100ELNS1_3gpuE3ELNS1_3repE0EEENS1_30default_config_static_selectorELNS0_4arch9wavefront6targetE0EEEvSV_.private_seg_size, 0
	.set _ZN7rocprim17ROCPRIM_400000_NS6detail17trampoline_kernelINS0_14default_configENS1_27lower_bound_config_selectorIslEEZNS1_14transform_implILb0ES3_S5_N6thrust23THRUST_200600_302600_NS6detail15normal_iteratorINS8_7pointerIsNS8_11hip_rocprim3tagENS8_11use_defaultESE_EEEENSA_INSB_IlSD_SE_SE_EEEEZNS1_13binary_searchIS3_S5_NSA_INS8_10device_ptrIsEEEESG_SI_NS1_21lower_bound_search_opENS9_16wrapped_functionINS8_7greaterIsEEbEEEE10hipError_tPvRmT1_T2_T3_mmT4_T5_P12ihipStream_tbEUlRKsE_EESS_SW_SX_mSY_S11_bEUlT_E_NS1_11comp_targetILNS1_3genE9ELNS1_11target_archE1100ELNS1_3gpuE3ELNS1_3repE0EEENS1_30default_config_static_selectorELNS0_4arch9wavefront6targetE0EEEvSV_.uses_vcc, 0
	.set _ZN7rocprim17ROCPRIM_400000_NS6detail17trampoline_kernelINS0_14default_configENS1_27lower_bound_config_selectorIslEEZNS1_14transform_implILb0ES3_S5_N6thrust23THRUST_200600_302600_NS6detail15normal_iteratorINS8_7pointerIsNS8_11hip_rocprim3tagENS8_11use_defaultESE_EEEENSA_INSB_IlSD_SE_SE_EEEEZNS1_13binary_searchIS3_S5_NSA_INS8_10device_ptrIsEEEESG_SI_NS1_21lower_bound_search_opENS9_16wrapped_functionINS8_7greaterIsEEbEEEE10hipError_tPvRmT1_T2_T3_mmT4_T5_P12ihipStream_tbEUlRKsE_EESS_SW_SX_mSY_S11_bEUlT_E_NS1_11comp_targetILNS1_3genE9ELNS1_11target_archE1100ELNS1_3gpuE3ELNS1_3repE0EEENS1_30default_config_static_selectorELNS0_4arch9wavefront6targetE0EEEvSV_.uses_flat_scratch, 0
	.set _ZN7rocprim17ROCPRIM_400000_NS6detail17trampoline_kernelINS0_14default_configENS1_27lower_bound_config_selectorIslEEZNS1_14transform_implILb0ES3_S5_N6thrust23THRUST_200600_302600_NS6detail15normal_iteratorINS8_7pointerIsNS8_11hip_rocprim3tagENS8_11use_defaultESE_EEEENSA_INSB_IlSD_SE_SE_EEEEZNS1_13binary_searchIS3_S5_NSA_INS8_10device_ptrIsEEEESG_SI_NS1_21lower_bound_search_opENS9_16wrapped_functionINS8_7greaterIsEEbEEEE10hipError_tPvRmT1_T2_T3_mmT4_T5_P12ihipStream_tbEUlRKsE_EESS_SW_SX_mSY_S11_bEUlT_E_NS1_11comp_targetILNS1_3genE9ELNS1_11target_archE1100ELNS1_3gpuE3ELNS1_3repE0EEENS1_30default_config_static_selectorELNS0_4arch9wavefront6targetE0EEEvSV_.has_dyn_sized_stack, 0
	.set _ZN7rocprim17ROCPRIM_400000_NS6detail17trampoline_kernelINS0_14default_configENS1_27lower_bound_config_selectorIslEEZNS1_14transform_implILb0ES3_S5_N6thrust23THRUST_200600_302600_NS6detail15normal_iteratorINS8_7pointerIsNS8_11hip_rocprim3tagENS8_11use_defaultESE_EEEENSA_INSB_IlSD_SE_SE_EEEEZNS1_13binary_searchIS3_S5_NSA_INS8_10device_ptrIsEEEESG_SI_NS1_21lower_bound_search_opENS9_16wrapped_functionINS8_7greaterIsEEbEEEE10hipError_tPvRmT1_T2_T3_mmT4_T5_P12ihipStream_tbEUlRKsE_EESS_SW_SX_mSY_S11_bEUlT_E_NS1_11comp_targetILNS1_3genE9ELNS1_11target_archE1100ELNS1_3gpuE3ELNS1_3repE0EEENS1_30default_config_static_selectorELNS0_4arch9wavefront6targetE0EEEvSV_.has_recursion, 0
	.set _ZN7rocprim17ROCPRIM_400000_NS6detail17trampoline_kernelINS0_14default_configENS1_27lower_bound_config_selectorIslEEZNS1_14transform_implILb0ES3_S5_N6thrust23THRUST_200600_302600_NS6detail15normal_iteratorINS8_7pointerIsNS8_11hip_rocprim3tagENS8_11use_defaultESE_EEEENSA_INSB_IlSD_SE_SE_EEEEZNS1_13binary_searchIS3_S5_NSA_INS8_10device_ptrIsEEEESG_SI_NS1_21lower_bound_search_opENS9_16wrapped_functionINS8_7greaterIsEEbEEEE10hipError_tPvRmT1_T2_T3_mmT4_T5_P12ihipStream_tbEUlRKsE_EESS_SW_SX_mSY_S11_bEUlT_E_NS1_11comp_targetILNS1_3genE9ELNS1_11target_archE1100ELNS1_3gpuE3ELNS1_3repE0EEENS1_30default_config_static_selectorELNS0_4arch9wavefront6targetE0EEEvSV_.has_indirect_call, 0
	.section	.AMDGPU.csdata,"",@progbits
; Kernel info:
; codeLenInByte = 0
; TotalNumSgprs: 0
; NumVgprs: 0
; ScratchSize: 0
; MemoryBound: 0
; FloatMode: 240
; IeeeMode: 1
; LDSByteSize: 0 bytes/workgroup (compile time only)
; SGPRBlocks: 0
; VGPRBlocks: 0
; NumSGPRsForWavesPerEU: 1
; NumVGPRsForWavesPerEU: 1
; NamedBarCnt: 0
; Occupancy: 16
; WaveLimiterHint : 0
; COMPUTE_PGM_RSRC2:SCRATCH_EN: 0
; COMPUTE_PGM_RSRC2:USER_SGPR: 2
; COMPUTE_PGM_RSRC2:TRAP_HANDLER: 0
; COMPUTE_PGM_RSRC2:TGID_X_EN: 1
; COMPUTE_PGM_RSRC2:TGID_Y_EN: 0
; COMPUTE_PGM_RSRC2:TGID_Z_EN: 0
; COMPUTE_PGM_RSRC2:TIDIG_COMP_CNT: 0
	.section	.text._ZN7rocprim17ROCPRIM_400000_NS6detail17trampoline_kernelINS0_14default_configENS1_27lower_bound_config_selectorIslEEZNS1_14transform_implILb0ES3_S5_N6thrust23THRUST_200600_302600_NS6detail15normal_iteratorINS8_7pointerIsNS8_11hip_rocprim3tagENS8_11use_defaultESE_EEEENSA_INSB_IlSD_SE_SE_EEEEZNS1_13binary_searchIS3_S5_NSA_INS8_10device_ptrIsEEEESG_SI_NS1_21lower_bound_search_opENS9_16wrapped_functionINS8_7greaterIsEEbEEEE10hipError_tPvRmT1_T2_T3_mmT4_T5_P12ihipStream_tbEUlRKsE_EESS_SW_SX_mSY_S11_bEUlT_E_NS1_11comp_targetILNS1_3genE8ELNS1_11target_archE1030ELNS1_3gpuE2ELNS1_3repE0EEENS1_30default_config_static_selectorELNS0_4arch9wavefront6targetE0EEEvSV_,"axG",@progbits,_ZN7rocprim17ROCPRIM_400000_NS6detail17trampoline_kernelINS0_14default_configENS1_27lower_bound_config_selectorIslEEZNS1_14transform_implILb0ES3_S5_N6thrust23THRUST_200600_302600_NS6detail15normal_iteratorINS8_7pointerIsNS8_11hip_rocprim3tagENS8_11use_defaultESE_EEEENSA_INSB_IlSD_SE_SE_EEEEZNS1_13binary_searchIS3_S5_NSA_INS8_10device_ptrIsEEEESG_SI_NS1_21lower_bound_search_opENS9_16wrapped_functionINS8_7greaterIsEEbEEEE10hipError_tPvRmT1_T2_T3_mmT4_T5_P12ihipStream_tbEUlRKsE_EESS_SW_SX_mSY_S11_bEUlT_E_NS1_11comp_targetILNS1_3genE8ELNS1_11target_archE1030ELNS1_3gpuE2ELNS1_3repE0EEENS1_30default_config_static_selectorELNS0_4arch9wavefront6targetE0EEEvSV_,comdat
	.protected	_ZN7rocprim17ROCPRIM_400000_NS6detail17trampoline_kernelINS0_14default_configENS1_27lower_bound_config_selectorIslEEZNS1_14transform_implILb0ES3_S5_N6thrust23THRUST_200600_302600_NS6detail15normal_iteratorINS8_7pointerIsNS8_11hip_rocprim3tagENS8_11use_defaultESE_EEEENSA_INSB_IlSD_SE_SE_EEEEZNS1_13binary_searchIS3_S5_NSA_INS8_10device_ptrIsEEEESG_SI_NS1_21lower_bound_search_opENS9_16wrapped_functionINS8_7greaterIsEEbEEEE10hipError_tPvRmT1_T2_T3_mmT4_T5_P12ihipStream_tbEUlRKsE_EESS_SW_SX_mSY_S11_bEUlT_E_NS1_11comp_targetILNS1_3genE8ELNS1_11target_archE1030ELNS1_3gpuE2ELNS1_3repE0EEENS1_30default_config_static_selectorELNS0_4arch9wavefront6targetE0EEEvSV_ ; -- Begin function _ZN7rocprim17ROCPRIM_400000_NS6detail17trampoline_kernelINS0_14default_configENS1_27lower_bound_config_selectorIslEEZNS1_14transform_implILb0ES3_S5_N6thrust23THRUST_200600_302600_NS6detail15normal_iteratorINS8_7pointerIsNS8_11hip_rocprim3tagENS8_11use_defaultESE_EEEENSA_INSB_IlSD_SE_SE_EEEEZNS1_13binary_searchIS3_S5_NSA_INS8_10device_ptrIsEEEESG_SI_NS1_21lower_bound_search_opENS9_16wrapped_functionINS8_7greaterIsEEbEEEE10hipError_tPvRmT1_T2_T3_mmT4_T5_P12ihipStream_tbEUlRKsE_EESS_SW_SX_mSY_S11_bEUlT_E_NS1_11comp_targetILNS1_3genE8ELNS1_11target_archE1030ELNS1_3gpuE2ELNS1_3repE0EEENS1_30default_config_static_selectorELNS0_4arch9wavefront6targetE0EEEvSV_
	.globl	_ZN7rocprim17ROCPRIM_400000_NS6detail17trampoline_kernelINS0_14default_configENS1_27lower_bound_config_selectorIslEEZNS1_14transform_implILb0ES3_S5_N6thrust23THRUST_200600_302600_NS6detail15normal_iteratorINS8_7pointerIsNS8_11hip_rocprim3tagENS8_11use_defaultESE_EEEENSA_INSB_IlSD_SE_SE_EEEEZNS1_13binary_searchIS3_S5_NSA_INS8_10device_ptrIsEEEESG_SI_NS1_21lower_bound_search_opENS9_16wrapped_functionINS8_7greaterIsEEbEEEE10hipError_tPvRmT1_T2_T3_mmT4_T5_P12ihipStream_tbEUlRKsE_EESS_SW_SX_mSY_S11_bEUlT_E_NS1_11comp_targetILNS1_3genE8ELNS1_11target_archE1030ELNS1_3gpuE2ELNS1_3repE0EEENS1_30default_config_static_selectorELNS0_4arch9wavefront6targetE0EEEvSV_
	.p2align	8
	.type	_ZN7rocprim17ROCPRIM_400000_NS6detail17trampoline_kernelINS0_14default_configENS1_27lower_bound_config_selectorIslEEZNS1_14transform_implILb0ES3_S5_N6thrust23THRUST_200600_302600_NS6detail15normal_iteratorINS8_7pointerIsNS8_11hip_rocprim3tagENS8_11use_defaultESE_EEEENSA_INSB_IlSD_SE_SE_EEEEZNS1_13binary_searchIS3_S5_NSA_INS8_10device_ptrIsEEEESG_SI_NS1_21lower_bound_search_opENS9_16wrapped_functionINS8_7greaterIsEEbEEEE10hipError_tPvRmT1_T2_T3_mmT4_T5_P12ihipStream_tbEUlRKsE_EESS_SW_SX_mSY_S11_bEUlT_E_NS1_11comp_targetILNS1_3genE8ELNS1_11target_archE1030ELNS1_3gpuE2ELNS1_3repE0EEENS1_30default_config_static_selectorELNS0_4arch9wavefront6targetE0EEEvSV_,@function
_ZN7rocprim17ROCPRIM_400000_NS6detail17trampoline_kernelINS0_14default_configENS1_27lower_bound_config_selectorIslEEZNS1_14transform_implILb0ES3_S5_N6thrust23THRUST_200600_302600_NS6detail15normal_iteratorINS8_7pointerIsNS8_11hip_rocprim3tagENS8_11use_defaultESE_EEEENSA_INSB_IlSD_SE_SE_EEEEZNS1_13binary_searchIS3_S5_NSA_INS8_10device_ptrIsEEEESG_SI_NS1_21lower_bound_search_opENS9_16wrapped_functionINS8_7greaterIsEEbEEEE10hipError_tPvRmT1_T2_T3_mmT4_T5_P12ihipStream_tbEUlRKsE_EESS_SW_SX_mSY_S11_bEUlT_E_NS1_11comp_targetILNS1_3genE8ELNS1_11target_archE1030ELNS1_3gpuE2ELNS1_3repE0EEENS1_30default_config_static_selectorELNS0_4arch9wavefront6targetE0EEEvSV_: ; @_ZN7rocprim17ROCPRIM_400000_NS6detail17trampoline_kernelINS0_14default_configENS1_27lower_bound_config_selectorIslEEZNS1_14transform_implILb0ES3_S5_N6thrust23THRUST_200600_302600_NS6detail15normal_iteratorINS8_7pointerIsNS8_11hip_rocprim3tagENS8_11use_defaultESE_EEEENSA_INSB_IlSD_SE_SE_EEEEZNS1_13binary_searchIS3_S5_NSA_INS8_10device_ptrIsEEEESG_SI_NS1_21lower_bound_search_opENS9_16wrapped_functionINS8_7greaterIsEEbEEEE10hipError_tPvRmT1_T2_T3_mmT4_T5_P12ihipStream_tbEUlRKsE_EESS_SW_SX_mSY_S11_bEUlT_E_NS1_11comp_targetILNS1_3genE8ELNS1_11target_archE1030ELNS1_3gpuE2ELNS1_3repE0EEENS1_30default_config_static_selectorELNS0_4arch9wavefront6targetE0EEEvSV_
; %bb.0:
	.section	.rodata,"a",@progbits
	.p2align	6, 0x0
	.amdhsa_kernel _ZN7rocprim17ROCPRIM_400000_NS6detail17trampoline_kernelINS0_14default_configENS1_27lower_bound_config_selectorIslEEZNS1_14transform_implILb0ES3_S5_N6thrust23THRUST_200600_302600_NS6detail15normal_iteratorINS8_7pointerIsNS8_11hip_rocprim3tagENS8_11use_defaultESE_EEEENSA_INSB_IlSD_SE_SE_EEEEZNS1_13binary_searchIS3_S5_NSA_INS8_10device_ptrIsEEEESG_SI_NS1_21lower_bound_search_opENS9_16wrapped_functionINS8_7greaterIsEEbEEEE10hipError_tPvRmT1_T2_T3_mmT4_T5_P12ihipStream_tbEUlRKsE_EESS_SW_SX_mSY_S11_bEUlT_E_NS1_11comp_targetILNS1_3genE8ELNS1_11target_archE1030ELNS1_3gpuE2ELNS1_3repE0EEENS1_30default_config_static_selectorELNS0_4arch9wavefront6targetE0EEEvSV_
		.amdhsa_group_segment_fixed_size 0
		.amdhsa_private_segment_fixed_size 0
		.amdhsa_kernarg_size 56
		.amdhsa_user_sgpr_count 2
		.amdhsa_user_sgpr_dispatch_ptr 0
		.amdhsa_user_sgpr_queue_ptr 0
		.amdhsa_user_sgpr_kernarg_segment_ptr 1
		.amdhsa_user_sgpr_dispatch_id 0
		.amdhsa_user_sgpr_kernarg_preload_length 0
		.amdhsa_user_sgpr_kernarg_preload_offset 0
		.amdhsa_user_sgpr_private_segment_size 0
		.amdhsa_wavefront_size32 1
		.amdhsa_uses_dynamic_stack 0
		.amdhsa_enable_private_segment 0
		.amdhsa_system_sgpr_workgroup_id_x 1
		.amdhsa_system_sgpr_workgroup_id_y 0
		.amdhsa_system_sgpr_workgroup_id_z 0
		.amdhsa_system_sgpr_workgroup_info 0
		.amdhsa_system_vgpr_workitem_id 0
		.amdhsa_next_free_vgpr 1
		.amdhsa_next_free_sgpr 1
		.amdhsa_named_barrier_count 0
		.amdhsa_reserve_vcc 0
		.amdhsa_float_round_mode_32 0
		.amdhsa_float_round_mode_16_64 0
		.amdhsa_float_denorm_mode_32 3
		.amdhsa_float_denorm_mode_16_64 3
		.amdhsa_fp16_overflow 0
		.amdhsa_memory_ordered 1
		.amdhsa_forward_progress 1
		.amdhsa_inst_pref_size 0
		.amdhsa_round_robin_scheduling 0
		.amdhsa_exception_fp_ieee_invalid_op 0
		.amdhsa_exception_fp_denorm_src 0
		.amdhsa_exception_fp_ieee_div_zero 0
		.amdhsa_exception_fp_ieee_overflow 0
		.amdhsa_exception_fp_ieee_underflow 0
		.amdhsa_exception_fp_ieee_inexact 0
		.amdhsa_exception_int_div_zero 0
	.end_amdhsa_kernel
	.section	.text._ZN7rocprim17ROCPRIM_400000_NS6detail17trampoline_kernelINS0_14default_configENS1_27lower_bound_config_selectorIslEEZNS1_14transform_implILb0ES3_S5_N6thrust23THRUST_200600_302600_NS6detail15normal_iteratorINS8_7pointerIsNS8_11hip_rocprim3tagENS8_11use_defaultESE_EEEENSA_INSB_IlSD_SE_SE_EEEEZNS1_13binary_searchIS3_S5_NSA_INS8_10device_ptrIsEEEESG_SI_NS1_21lower_bound_search_opENS9_16wrapped_functionINS8_7greaterIsEEbEEEE10hipError_tPvRmT1_T2_T3_mmT4_T5_P12ihipStream_tbEUlRKsE_EESS_SW_SX_mSY_S11_bEUlT_E_NS1_11comp_targetILNS1_3genE8ELNS1_11target_archE1030ELNS1_3gpuE2ELNS1_3repE0EEENS1_30default_config_static_selectorELNS0_4arch9wavefront6targetE0EEEvSV_,"axG",@progbits,_ZN7rocprim17ROCPRIM_400000_NS6detail17trampoline_kernelINS0_14default_configENS1_27lower_bound_config_selectorIslEEZNS1_14transform_implILb0ES3_S5_N6thrust23THRUST_200600_302600_NS6detail15normal_iteratorINS8_7pointerIsNS8_11hip_rocprim3tagENS8_11use_defaultESE_EEEENSA_INSB_IlSD_SE_SE_EEEEZNS1_13binary_searchIS3_S5_NSA_INS8_10device_ptrIsEEEESG_SI_NS1_21lower_bound_search_opENS9_16wrapped_functionINS8_7greaterIsEEbEEEE10hipError_tPvRmT1_T2_T3_mmT4_T5_P12ihipStream_tbEUlRKsE_EESS_SW_SX_mSY_S11_bEUlT_E_NS1_11comp_targetILNS1_3genE8ELNS1_11target_archE1030ELNS1_3gpuE2ELNS1_3repE0EEENS1_30default_config_static_selectorELNS0_4arch9wavefront6targetE0EEEvSV_,comdat
.Lfunc_end19:
	.size	_ZN7rocprim17ROCPRIM_400000_NS6detail17trampoline_kernelINS0_14default_configENS1_27lower_bound_config_selectorIslEEZNS1_14transform_implILb0ES3_S5_N6thrust23THRUST_200600_302600_NS6detail15normal_iteratorINS8_7pointerIsNS8_11hip_rocprim3tagENS8_11use_defaultESE_EEEENSA_INSB_IlSD_SE_SE_EEEEZNS1_13binary_searchIS3_S5_NSA_INS8_10device_ptrIsEEEESG_SI_NS1_21lower_bound_search_opENS9_16wrapped_functionINS8_7greaterIsEEbEEEE10hipError_tPvRmT1_T2_T3_mmT4_T5_P12ihipStream_tbEUlRKsE_EESS_SW_SX_mSY_S11_bEUlT_E_NS1_11comp_targetILNS1_3genE8ELNS1_11target_archE1030ELNS1_3gpuE2ELNS1_3repE0EEENS1_30default_config_static_selectorELNS0_4arch9wavefront6targetE0EEEvSV_, .Lfunc_end19-_ZN7rocprim17ROCPRIM_400000_NS6detail17trampoline_kernelINS0_14default_configENS1_27lower_bound_config_selectorIslEEZNS1_14transform_implILb0ES3_S5_N6thrust23THRUST_200600_302600_NS6detail15normal_iteratorINS8_7pointerIsNS8_11hip_rocprim3tagENS8_11use_defaultESE_EEEENSA_INSB_IlSD_SE_SE_EEEEZNS1_13binary_searchIS3_S5_NSA_INS8_10device_ptrIsEEEESG_SI_NS1_21lower_bound_search_opENS9_16wrapped_functionINS8_7greaterIsEEbEEEE10hipError_tPvRmT1_T2_T3_mmT4_T5_P12ihipStream_tbEUlRKsE_EESS_SW_SX_mSY_S11_bEUlT_E_NS1_11comp_targetILNS1_3genE8ELNS1_11target_archE1030ELNS1_3gpuE2ELNS1_3repE0EEENS1_30default_config_static_selectorELNS0_4arch9wavefront6targetE0EEEvSV_
                                        ; -- End function
	.set _ZN7rocprim17ROCPRIM_400000_NS6detail17trampoline_kernelINS0_14default_configENS1_27lower_bound_config_selectorIslEEZNS1_14transform_implILb0ES3_S5_N6thrust23THRUST_200600_302600_NS6detail15normal_iteratorINS8_7pointerIsNS8_11hip_rocprim3tagENS8_11use_defaultESE_EEEENSA_INSB_IlSD_SE_SE_EEEEZNS1_13binary_searchIS3_S5_NSA_INS8_10device_ptrIsEEEESG_SI_NS1_21lower_bound_search_opENS9_16wrapped_functionINS8_7greaterIsEEbEEEE10hipError_tPvRmT1_T2_T3_mmT4_T5_P12ihipStream_tbEUlRKsE_EESS_SW_SX_mSY_S11_bEUlT_E_NS1_11comp_targetILNS1_3genE8ELNS1_11target_archE1030ELNS1_3gpuE2ELNS1_3repE0EEENS1_30default_config_static_selectorELNS0_4arch9wavefront6targetE0EEEvSV_.num_vgpr, 0
	.set _ZN7rocprim17ROCPRIM_400000_NS6detail17trampoline_kernelINS0_14default_configENS1_27lower_bound_config_selectorIslEEZNS1_14transform_implILb0ES3_S5_N6thrust23THRUST_200600_302600_NS6detail15normal_iteratorINS8_7pointerIsNS8_11hip_rocprim3tagENS8_11use_defaultESE_EEEENSA_INSB_IlSD_SE_SE_EEEEZNS1_13binary_searchIS3_S5_NSA_INS8_10device_ptrIsEEEESG_SI_NS1_21lower_bound_search_opENS9_16wrapped_functionINS8_7greaterIsEEbEEEE10hipError_tPvRmT1_T2_T3_mmT4_T5_P12ihipStream_tbEUlRKsE_EESS_SW_SX_mSY_S11_bEUlT_E_NS1_11comp_targetILNS1_3genE8ELNS1_11target_archE1030ELNS1_3gpuE2ELNS1_3repE0EEENS1_30default_config_static_selectorELNS0_4arch9wavefront6targetE0EEEvSV_.num_agpr, 0
	.set _ZN7rocprim17ROCPRIM_400000_NS6detail17trampoline_kernelINS0_14default_configENS1_27lower_bound_config_selectorIslEEZNS1_14transform_implILb0ES3_S5_N6thrust23THRUST_200600_302600_NS6detail15normal_iteratorINS8_7pointerIsNS8_11hip_rocprim3tagENS8_11use_defaultESE_EEEENSA_INSB_IlSD_SE_SE_EEEEZNS1_13binary_searchIS3_S5_NSA_INS8_10device_ptrIsEEEESG_SI_NS1_21lower_bound_search_opENS9_16wrapped_functionINS8_7greaterIsEEbEEEE10hipError_tPvRmT1_T2_T3_mmT4_T5_P12ihipStream_tbEUlRKsE_EESS_SW_SX_mSY_S11_bEUlT_E_NS1_11comp_targetILNS1_3genE8ELNS1_11target_archE1030ELNS1_3gpuE2ELNS1_3repE0EEENS1_30default_config_static_selectorELNS0_4arch9wavefront6targetE0EEEvSV_.numbered_sgpr, 0
	.set _ZN7rocprim17ROCPRIM_400000_NS6detail17trampoline_kernelINS0_14default_configENS1_27lower_bound_config_selectorIslEEZNS1_14transform_implILb0ES3_S5_N6thrust23THRUST_200600_302600_NS6detail15normal_iteratorINS8_7pointerIsNS8_11hip_rocprim3tagENS8_11use_defaultESE_EEEENSA_INSB_IlSD_SE_SE_EEEEZNS1_13binary_searchIS3_S5_NSA_INS8_10device_ptrIsEEEESG_SI_NS1_21lower_bound_search_opENS9_16wrapped_functionINS8_7greaterIsEEbEEEE10hipError_tPvRmT1_T2_T3_mmT4_T5_P12ihipStream_tbEUlRKsE_EESS_SW_SX_mSY_S11_bEUlT_E_NS1_11comp_targetILNS1_3genE8ELNS1_11target_archE1030ELNS1_3gpuE2ELNS1_3repE0EEENS1_30default_config_static_selectorELNS0_4arch9wavefront6targetE0EEEvSV_.num_named_barrier, 0
	.set _ZN7rocprim17ROCPRIM_400000_NS6detail17trampoline_kernelINS0_14default_configENS1_27lower_bound_config_selectorIslEEZNS1_14transform_implILb0ES3_S5_N6thrust23THRUST_200600_302600_NS6detail15normal_iteratorINS8_7pointerIsNS8_11hip_rocprim3tagENS8_11use_defaultESE_EEEENSA_INSB_IlSD_SE_SE_EEEEZNS1_13binary_searchIS3_S5_NSA_INS8_10device_ptrIsEEEESG_SI_NS1_21lower_bound_search_opENS9_16wrapped_functionINS8_7greaterIsEEbEEEE10hipError_tPvRmT1_T2_T3_mmT4_T5_P12ihipStream_tbEUlRKsE_EESS_SW_SX_mSY_S11_bEUlT_E_NS1_11comp_targetILNS1_3genE8ELNS1_11target_archE1030ELNS1_3gpuE2ELNS1_3repE0EEENS1_30default_config_static_selectorELNS0_4arch9wavefront6targetE0EEEvSV_.private_seg_size, 0
	.set _ZN7rocprim17ROCPRIM_400000_NS6detail17trampoline_kernelINS0_14default_configENS1_27lower_bound_config_selectorIslEEZNS1_14transform_implILb0ES3_S5_N6thrust23THRUST_200600_302600_NS6detail15normal_iteratorINS8_7pointerIsNS8_11hip_rocprim3tagENS8_11use_defaultESE_EEEENSA_INSB_IlSD_SE_SE_EEEEZNS1_13binary_searchIS3_S5_NSA_INS8_10device_ptrIsEEEESG_SI_NS1_21lower_bound_search_opENS9_16wrapped_functionINS8_7greaterIsEEbEEEE10hipError_tPvRmT1_T2_T3_mmT4_T5_P12ihipStream_tbEUlRKsE_EESS_SW_SX_mSY_S11_bEUlT_E_NS1_11comp_targetILNS1_3genE8ELNS1_11target_archE1030ELNS1_3gpuE2ELNS1_3repE0EEENS1_30default_config_static_selectorELNS0_4arch9wavefront6targetE0EEEvSV_.uses_vcc, 0
	.set _ZN7rocprim17ROCPRIM_400000_NS6detail17trampoline_kernelINS0_14default_configENS1_27lower_bound_config_selectorIslEEZNS1_14transform_implILb0ES3_S5_N6thrust23THRUST_200600_302600_NS6detail15normal_iteratorINS8_7pointerIsNS8_11hip_rocprim3tagENS8_11use_defaultESE_EEEENSA_INSB_IlSD_SE_SE_EEEEZNS1_13binary_searchIS3_S5_NSA_INS8_10device_ptrIsEEEESG_SI_NS1_21lower_bound_search_opENS9_16wrapped_functionINS8_7greaterIsEEbEEEE10hipError_tPvRmT1_T2_T3_mmT4_T5_P12ihipStream_tbEUlRKsE_EESS_SW_SX_mSY_S11_bEUlT_E_NS1_11comp_targetILNS1_3genE8ELNS1_11target_archE1030ELNS1_3gpuE2ELNS1_3repE0EEENS1_30default_config_static_selectorELNS0_4arch9wavefront6targetE0EEEvSV_.uses_flat_scratch, 0
	.set _ZN7rocprim17ROCPRIM_400000_NS6detail17trampoline_kernelINS0_14default_configENS1_27lower_bound_config_selectorIslEEZNS1_14transform_implILb0ES3_S5_N6thrust23THRUST_200600_302600_NS6detail15normal_iteratorINS8_7pointerIsNS8_11hip_rocprim3tagENS8_11use_defaultESE_EEEENSA_INSB_IlSD_SE_SE_EEEEZNS1_13binary_searchIS3_S5_NSA_INS8_10device_ptrIsEEEESG_SI_NS1_21lower_bound_search_opENS9_16wrapped_functionINS8_7greaterIsEEbEEEE10hipError_tPvRmT1_T2_T3_mmT4_T5_P12ihipStream_tbEUlRKsE_EESS_SW_SX_mSY_S11_bEUlT_E_NS1_11comp_targetILNS1_3genE8ELNS1_11target_archE1030ELNS1_3gpuE2ELNS1_3repE0EEENS1_30default_config_static_selectorELNS0_4arch9wavefront6targetE0EEEvSV_.has_dyn_sized_stack, 0
	.set _ZN7rocprim17ROCPRIM_400000_NS6detail17trampoline_kernelINS0_14default_configENS1_27lower_bound_config_selectorIslEEZNS1_14transform_implILb0ES3_S5_N6thrust23THRUST_200600_302600_NS6detail15normal_iteratorINS8_7pointerIsNS8_11hip_rocprim3tagENS8_11use_defaultESE_EEEENSA_INSB_IlSD_SE_SE_EEEEZNS1_13binary_searchIS3_S5_NSA_INS8_10device_ptrIsEEEESG_SI_NS1_21lower_bound_search_opENS9_16wrapped_functionINS8_7greaterIsEEbEEEE10hipError_tPvRmT1_T2_T3_mmT4_T5_P12ihipStream_tbEUlRKsE_EESS_SW_SX_mSY_S11_bEUlT_E_NS1_11comp_targetILNS1_3genE8ELNS1_11target_archE1030ELNS1_3gpuE2ELNS1_3repE0EEENS1_30default_config_static_selectorELNS0_4arch9wavefront6targetE0EEEvSV_.has_recursion, 0
	.set _ZN7rocprim17ROCPRIM_400000_NS6detail17trampoline_kernelINS0_14default_configENS1_27lower_bound_config_selectorIslEEZNS1_14transform_implILb0ES3_S5_N6thrust23THRUST_200600_302600_NS6detail15normal_iteratorINS8_7pointerIsNS8_11hip_rocprim3tagENS8_11use_defaultESE_EEEENSA_INSB_IlSD_SE_SE_EEEEZNS1_13binary_searchIS3_S5_NSA_INS8_10device_ptrIsEEEESG_SI_NS1_21lower_bound_search_opENS9_16wrapped_functionINS8_7greaterIsEEbEEEE10hipError_tPvRmT1_T2_T3_mmT4_T5_P12ihipStream_tbEUlRKsE_EESS_SW_SX_mSY_S11_bEUlT_E_NS1_11comp_targetILNS1_3genE8ELNS1_11target_archE1030ELNS1_3gpuE2ELNS1_3repE0EEENS1_30default_config_static_selectorELNS0_4arch9wavefront6targetE0EEEvSV_.has_indirect_call, 0
	.section	.AMDGPU.csdata,"",@progbits
; Kernel info:
; codeLenInByte = 0
; TotalNumSgprs: 0
; NumVgprs: 0
; ScratchSize: 0
; MemoryBound: 0
; FloatMode: 240
; IeeeMode: 1
; LDSByteSize: 0 bytes/workgroup (compile time only)
; SGPRBlocks: 0
; VGPRBlocks: 0
; NumSGPRsForWavesPerEU: 1
; NumVGPRsForWavesPerEU: 1
; NamedBarCnt: 0
; Occupancy: 16
; WaveLimiterHint : 0
; COMPUTE_PGM_RSRC2:SCRATCH_EN: 0
; COMPUTE_PGM_RSRC2:USER_SGPR: 2
; COMPUTE_PGM_RSRC2:TRAP_HANDLER: 0
; COMPUTE_PGM_RSRC2:TGID_X_EN: 1
; COMPUTE_PGM_RSRC2:TGID_Y_EN: 0
; COMPUTE_PGM_RSRC2:TGID_Z_EN: 0
; COMPUTE_PGM_RSRC2:TIDIG_COMP_CNT: 0
	.section	.text._ZN6thrust23THRUST_200600_302600_NS11hip_rocprim14__parallel_for6kernelILj256ENS1_20__uninitialized_fill7functorINS0_10device_ptrIiEEiEEmLj1EEEvT0_T1_SA_,"axG",@progbits,_ZN6thrust23THRUST_200600_302600_NS11hip_rocprim14__parallel_for6kernelILj256ENS1_20__uninitialized_fill7functorINS0_10device_ptrIiEEiEEmLj1EEEvT0_T1_SA_,comdat
	.protected	_ZN6thrust23THRUST_200600_302600_NS11hip_rocprim14__parallel_for6kernelILj256ENS1_20__uninitialized_fill7functorINS0_10device_ptrIiEEiEEmLj1EEEvT0_T1_SA_ ; -- Begin function _ZN6thrust23THRUST_200600_302600_NS11hip_rocprim14__parallel_for6kernelILj256ENS1_20__uninitialized_fill7functorINS0_10device_ptrIiEEiEEmLj1EEEvT0_T1_SA_
	.globl	_ZN6thrust23THRUST_200600_302600_NS11hip_rocprim14__parallel_for6kernelILj256ENS1_20__uninitialized_fill7functorINS0_10device_ptrIiEEiEEmLj1EEEvT0_T1_SA_
	.p2align	8
	.type	_ZN6thrust23THRUST_200600_302600_NS11hip_rocprim14__parallel_for6kernelILj256ENS1_20__uninitialized_fill7functorINS0_10device_ptrIiEEiEEmLj1EEEvT0_T1_SA_,@function
_ZN6thrust23THRUST_200600_302600_NS11hip_rocprim14__parallel_for6kernelILj256ENS1_20__uninitialized_fill7functorINS0_10device_ptrIiEEiEEmLj1EEEvT0_T1_SA_: ; @_ZN6thrust23THRUST_200600_302600_NS11hip_rocprim14__parallel_for6kernelILj256ENS1_20__uninitialized_fill7functorINS0_10device_ptrIiEEiEEmLj1EEEvT0_T1_SA_
; %bb.0:
	s_load_b128 s[8:11], s[0:1], 0x10
	s_bfe_u32 s2, ttmp6, 0x4000c
	s_and_b32 s3, ttmp6, 15
	s_add_co_i32 s2, s2, 1
	s_getreg_b32 s4, hwreg(HW_REG_IB_STS2, 6, 4)
	s_mul_i32 s2, ttmp9, s2
	s_delay_alu instid0(SALU_CYCLE_1)
	s_add_co_i32 s3, s3, s2
	s_cmp_eq_u32 s4, 0
	s_load_b96 s[4:6], s[0:1], 0x0
	s_wait_xcnt 0x0
	s_cselect_b32 s0, ttmp9, s3
	s_mov_b32 s1, 0
	s_lshl_b32 s0, s0, 8
	s_wait_kmcnt 0x0
	s_add_nc_u64 s[0:1], s[10:11], s[0:1]
	s_delay_alu instid0(SALU_CYCLE_1) | instskip(NEXT) | instid1(SALU_CYCLE_1)
	s_sub_nc_u64 s[2:3], s[8:9], s[0:1]
	v_cmp_lt_u64_e64 s3, 0xff, s[2:3]
	s_and_b32 vcc_lo, exec_lo, s3
	s_mov_b32 s3, -1
	s_cbranch_vccz .LBB20_3
; %bb.1:
	s_and_not1_b32 vcc_lo, exec_lo, s3
	s_cbranch_vccz .LBB20_6
.LBB20_2:
	s_endpgm
.LBB20_3:
	v_cmp_gt_u32_e32 vcc_lo, s2, v0
	s_and_saveexec_b32 s2, vcc_lo
	s_cbranch_execz .LBB20_5
; %bb.4:
	v_mov_b32_e32 v1, s6
	s_lshl_b64 s[8:9], s[0:1], 2
	s_delay_alu instid0(SALU_CYCLE_1)
	s_add_nc_u64 s[8:9], s[4:5], s[8:9]
	flat_store_b32 v0, v1, s[8:9] scale_offset
.LBB20_5:
	s_wait_xcnt 0x0
	s_or_b32 exec_lo, exec_lo, s2
	s_cbranch_execnz .LBB20_2
.LBB20_6:
	v_mov_b32_e32 v1, s6
	s_lshl_b64 s[0:1], s[0:1], 2
	s_delay_alu instid0(SALU_CYCLE_1)
	s_add_nc_u64 s[0:1], s[4:5], s[0:1]
	flat_store_b32 v0, v1, s[0:1] scale_offset
	s_endpgm
	.section	.rodata,"a",@progbits
	.p2align	6, 0x0
	.amdhsa_kernel _ZN6thrust23THRUST_200600_302600_NS11hip_rocprim14__parallel_for6kernelILj256ENS1_20__uninitialized_fill7functorINS0_10device_ptrIiEEiEEmLj1EEEvT0_T1_SA_
		.amdhsa_group_segment_fixed_size 0
		.amdhsa_private_segment_fixed_size 0
		.amdhsa_kernarg_size 32
		.amdhsa_user_sgpr_count 2
		.amdhsa_user_sgpr_dispatch_ptr 0
		.amdhsa_user_sgpr_queue_ptr 0
		.amdhsa_user_sgpr_kernarg_segment_ptr 1
		.amdhsa_user_sgpr_dispatch_id 0
		.amdhsa_user_sgpr_kernarg_preload_length 0
		.amdhsa_user_sgpr_kernarg_preload_offset 0
		.amdhsa_user_sgpr_private_segment_size 0
		.amdhsa_wavefront_size32 1
		.amdhsa_uses_dynamic_stack 0
		.amdhsa_enable_private_segment 0
		.amdhsa_system_sgpr_workgroup_id_x 1
		.amdhsa_system_sgpr_workgroup_id_y 0
		.amdhsa_system_sgpr_workgroup_id_z 0
		.amdhsa_system_sgpr_workgroup_info 0
		.amdhsa_system_vgpr_workitem_id 0
		.amdhsa_next_free_vgpr 2
		.amdhsa_next_free_sgpr 12
		.amdhsa_named_barrier_count 0
		.amdhsa_reserve_vcc 1
		.amdhsa_float_round_mode_32 0
		.amdhsa_float_round_mode_16_64 0
		.amdhsa_float_denorm_mode_32 3
		.amdhsa_float_denorm_mode_16_64 3
		.amdhsa_fp16_overflow 0
		.amdhsa_memory_ordered 1
		.amdhsa_forward_progress 1
		.amdhsa_inst_pref_size 2
		.amdhsa_round_robin_scheduling 0
		.amdhsa_exception_fp_ieee_invalid_op 0
		.amdhsa_exception_fp_denorm_src 0
		.amdhsa_exception_fp_ieee_div_zero 0
		.amdhsa_exception_fp_ieee_overflow 0
		.amdhsa_exception_fp_ieee_underflow 0
		.amdhsa_exception_fp_ieee_inexact 0
		.amdhsa_exception_int_div_zero 0
	.end_amdhsa_kernel
	.section	.text._ZN6thrust23THRUST_200600_302600_NS11hip_rocprim14__parallel_for6kernelILj256ENS1_20__uninitialized_fill7functorINS0_10device_ptrIiEEiEEmLj1EEEvT0_T1_SA_,"axG",@progbits,_ZN6thrust23THRUST_200600_302600_NS11hip_rocprim14__parallel_for6kernelILj256ENS1_20__uninitialized_fill7functorINS0_10device_ptrIiEEiEEmLj1EEEvT0_T1_SA_,comdat
.Lfunc_end20:
	.size	_ZN6thrust23THRUST_200600_302600_NS11hip_rocprim14__parallel_for6kernelILj256ENS1_20__uninitialized_fill7functorINS0_10device_ptrIiEEiEEmLj1EEEvT0_T1_SA_, .Lfunc_end20-_ZN6thrust23THRUST_200600_302600_NS11hip_rocprim14__parallel_for6kernelILj256ENS1_20__uninitialized_fill7functorINS0_10device_ptrIiEEiEEmLj1EEEvT0_T1_SA_
                                        ; -- End function
	.set _ZN6thrust23THRUST_200600_302600_NS11hip_rocprim14__parallel_for6kernelILj256ENS1_20__uninitialized_fill7functorINS0_10device_ptrIiEEiEEmLj1EEEvT0_T1_SA_.num_vgpr, 2
	.set _ZN6thrust23THRUST_200600_302600_NS11hip_rocprim14__parallel_for6kernelILj256ENS1_20__uninitialized_fill7functorINS0_10device_ptrIiEEiEEmLj1EEEvT0_T1_SA_.num_agpr, 0
	.set _ZN6thrust23THRUST_200600_302600_NS11hip_rocprim14__parallel_for6kernelILj256ENS1_20__uninitialized_fill7functorINS0_10device_ptrIiEEiEEmLj1EEEvT0_T1_SA_.numbered_sgpr, 12
	.set _ZN6thrust23THRUST_200600_302600_NS11hip_rocprim14__parallel_for6kernelILj256ENS1_20__uninitialized_fill7functorINS0_10device_ptrIiEEiEEmLj1EEEvT0_T1_SA_.num_named_barrier, 0
	.set _ZN6thrust23THRUST_200600_302600_NS11hip_rocprim14__parallel_for6kernelILj256ENS1_20__uninitialized_fill7functorINS0_10device_ptrIiEEiEEmLj1EEEvT0_T1_SA_.private_seg_size, 0
	.set _ZN6thrust23THRUST_200600_302600_NS11hip_rocprim14__parallel_for6kernelILj256ENS1_20__uninitialized_fill7functorINS0_10device_ptrIiEEiEEmLj1EEEvT0_T1_SA_.uses_vcc, 1
	.set _ZN6thrust23THRUST_200600_302600_NS11hip_rocprim14__parallel_for6kernelILj256ENS1_20__uninitialized_fill7functorINS0_10device_ptrIiEEiEEmLj1EEEvT0_T1_SA_.uses_flat_scratch, 0
	.set _ZN6thrust23THRUST_200600_302600_NS11hip_rocprim14__parallel_for6kernelILj256ENS1_20__uninitialized_fill7functorINS0_10device_ptrIiEEiEEmLj1EEEvT0_T1_SA_.has_dyn_sized_stack, 0
	.set _ZN6thrust23THRUST_200600_302600_NS11hip_rocprim14__parallel_for6kernelILj256ENS1_20__uninitialized_fill7functorINS0_10device_ptrIiEEiEEmLj1EEEvT0_T1_SA_.has_recursion, 0
	.set _ZN6thrust23THRUST_200600_302600_NS11hip_rocprim14__parallel_for6kernelILj256ENS1_20__uninitialized_fill7functorINS0_10device_ptrIiEEiEEmLj1EEEvT0_T1_SA_.has_indirect_call, 0
	.section	.AMDGPU.csdata,"",@progbits
; Kernel info:
; codeLenInByte = 204
; TotalNumSgprs: 14
; NumVgprs: 2
; ScratchSize: 0
; MemoryBound: 0
; FloatMode: 240
; IeeeMode: 1
; LDSByteSize: 0 bytes/workgroup (compile time only)
; SGPRBlocks: 0
; VGPRBlocks: 0
; NumSGPRsForWavesPerEU: 14
; NumVGPRsForWavesPerEU: 2
; NamedBarCnt: 0
; Occupancy: 16
; WaveLimiterHint : 0
; COMPUTE_PGM_RSRC2:SCRATCH_EN: 0
; COMPUTE_PGM_RSRC2:USER_SGPR: 2
; COMPUTE_PGM_RSRC2:TRAP_HANDLER: 0
; COMPUTE_PGM_RSRC2:TGID_X_EN: 1
; COMPUTE_PGM_RSRC2:TGID_Y_EN: 0
; COMPUTE_PGM_RSRC2:TGID_Z_EN: 0
; COMPUTE_PGM_RSRC2:TIDIG_COMP_CNT: 0
	.section	.text._ZN7rocprim17ROCPRIM_400000_NS6detail17trampoline_kernelINS0_14default_configENS1_27lower_bound_config_selectorIilEEZNS1_14transform_implILb0ES3_S5_N6thrust23THRUST_200600_302600_NS6detail15normal_iteratorINS8_7pointerIiNS8_11hip_rocprim3tagENS8_11use_defaultESE_EEEENSA_INSB_IlSD_SE_SE_EEEEZNS1_13binary_searchIS3_S5_NSA_INS8_10device_ptrIiEEEESG_SI_NS1_21lower_bound_search_opENS9_16wrapped_functionINS8_7greaterIiEEbEEEE10hipError_tPvRmT1_T2_T3_mmT4_T5_P12ihipStream_tbEUlRKiE_EESS_SW_SX_mSY_S11_bEUlT_E_NS1_11comp_targetILNS1_3genE0ELNS1_11target_archE4294967295ELNS1_3gpuE0ELNS1_3repE0EEENS1_30default_config_static_selectorELNS0_4arch9wavefront6targetE0EEEvSV_,"axG",@progbits,_ZN7rocprim17ROCPRIM_400000_NS6detail17trampoline_kernelINS0_14default_configENS1_27lower_bound_config_selectorIilEEZNS1_14transform_implILb0ES3_S5_N6thrust23THRUST_200600_302600_NS6detail15normal_iteratorINS8_7pointerIiNS8_11hip_rocprim3tagENS8_11use_defaultESE_EEEENSA_INSB_IlSD_SE_SE_EEEEZNS1_13binary_searchIS3_S5_NSA_INS8_10device_ptrIiEEEESG_SI_NS1_21lower_bound_search_opENS9_16wrapped_functionINS8_7greaterIiEEbEEEE10hipError_tPvRmT1_T2_T3_mmT4_T5_P12ihipStream_tbEUlRKiE_EESS_SW_SX_mSY_S11_bEUlT_E_NS1_11comp_targetILNS1_3genE0ELNS1_11target_archE4294967295ELNS1_3gpuE0ELNS1_3repE0EEENS1_30default_config_static_selectorELNS0_4arch9wavefront6targetE0EEEvSV_,comdat
	.protected	_ZN7rocprim17ROCPRIM_400000_NS6detail17trampoline_kernelINS0_14default_configENS1_27lower_bound_config_selectorIilEEZNS1_14transform_implILb0ES3_S5_N6thrust23THRUST_200600_302600_NS6detail15normal_iteratorINS8_7pointerIiNS8_11hip_rocprim3tagENS8_11use_defaultESE_EEEENSA_INSB_IlSD_SE_SE_EEEEZNS1_13binary_searchIS3_S5_NSA_INS8_10device_ptrIiEEEESG_SI_NS1_21lower_bound_search_opENS9_16wrapped_functionINS8_7greaterIiEEbEEEE10hipError_tPvRmT1_T2_T3_mmT4_T5_P12ihipStream_tbEUlRKiE_EESS_SW_SX_mSY_S11_bEUlT_E_NS1_11comp_targetILNS1_3genE0ELNS1_11target_archE4294967295ELNS1_3gpuE0ELNS1_3repE0EEENS1_30default_config_static_selectorELNS0_4arch9wavefront6targetE0EEEvSV_ ; -- Begin function _ZN7rocprim17ROCPRIM_400000_NS6detail17trampoline_kernelINS0_14default_configENS1_27lower_bound_config_selectorIilEEZNS1_14transform_implILb0ES3_S5_N6thrust23THRUST_200600_302600_NS6detail15normal_iteratorINS8_7pointerIiNS8_11hip_rocprim3tagENS8_11use_defaultESE_EEEENSA_INSB_IlSD_SE_SE_EEEEZNS1_13binary_searchIS3_S5_NSA_INS8_10device_ptrIiEEEESG_SI_NS1_21lower_bound_search_opENS9_16wrapped_functionINS8_7greaterIiEEbEEEE10hipError_tPvRmT1_T2_T3_mmT4_T5_P12ihipStream_tbEUlRKiE_EESS_SW_SX_mSY_S11_bEUlT_E_NS1_11comp_targetILNS1_3genE0ELNS1_11target_archE4294967295ELNS1_3gpuE0ELNS1_3repE0EEENS1_30default_config_static_selectorELNS0_4arch9wavefront6targetE0EEEvSV_
	.globl	_ZN7rocprim17ROCPRIM_400000_NS6detail17trampoline_kernelINS0_14default_configENS1_27lower_bound_config_selectorIilEEZNS1_14transform_implILb0ES3_S5_N6thrust23THRUST_200600_302600_NS6detail15normal_iteratorINS8_7pointerIiNS8_11hip_rocprim3tagENS8_11use_defaultESE_EEEENSA_INSB_IlSD_SE_SE_EEEEZNS1_13binary_searchIS3_S5_NSA_INS8_10device_ptrIiEEEESG_SI_NS1_21lower_bound_search_opENS9_16wrapped_functionINS8_7greaterIiEEbEEEE10hipError_tPvRmT1_T2_T3_mmT4_T5_P12ihipStream_tbEUlRKiE_EESS_SW_SX_mSY_S11_bEUlT_E_NS1_11comp_targetILNS1_3genE0ELNS1_11target_archE4294967295ELNS1_3gpuE0ELNS1_3repE0EEENS1_30default_config_static_selectorELNS0_4arch9wavefront6targetE0EEEvSV_
	.p2align	8
	.type	_ZN7rocprim17ROCPRIM_400000_NS6detail17trampoline_kernelINS0_14default_configENS1_27lower_bound_config_selectorIilEEZNS1_14transform_implILb0ES3_S5_N6thrust23THRUST_200600_302600_NS6detail15normal_iteratorINS8_7pointerIiNS8_11hip_rocprim3tagENS8_11use_defaultESE_EEEENSA_INSB_IlSD_SE_SE_EEEEZNS1_13binary_searchIS3_S5_NSA_INS8_10device_ptrIiEEEESG_SI_NS1_21lower_bound_search_opENS9_16wrapped_functionINS8_7greaterIiEEbEEEE10hipError_tPvRmT1_T2_T3_mmT4_T5_P12ihipStream_tbEUlRKiE_EESS_SW_SX_mSY_S11_bEUlT_E_NS1_11comp_targetILNS1_3genE0ELNS1_11target_archE4294967295ELNS1_3gpuE0ELNS1_3repE0EEENS1_30default_config_static_selectorELNS0_4arch9wavefront6targetE0EEEvSV_,@function
_ZN7rocprim17ROCPRIM_400000_NS6detail17trampoline_kernelINS0_14default_configENS1_27lower_bound_config_selectorIilEEZNS1_14transform_implILb0ES3_S5_N6thrust23THRUST_200600_302600_NS6detail15normal_iteratorINS8_7pointerIiNS8_11hip_rocprim3tagENS8_11use_defaultESE_EEEENSA_INSB_IlSD_SE_SE_EEEEZNS1_13binary_searchIS3_S5_NSA_INS8_10device_ptrIiEEEESG_SI_NS1_21lower_bound_search_opENS9_16wrapped_functionINS8_7greaterIiEEbEEEE10hipError_tPvRmT1_T2_T3_mmT4_T5_P12ihipStream_tbEUlRKiE_EESS_SW_SX_mSY_S11_bEUlT_E_NS1_11comp_targetILNS1_3genE0ELNS1_11target_archE4294967295ELNS1_3gpuE0ELNS1_3repE0EEENS1_30default_config_static_selectorELNS0_4arch9wavefront6targetE0EEEvSV_: ; @_ZN7rocprim17ROCPRIM_400000_NS6detail17trampoline_kernelINS0_14default_configENS1_27lower_bound_config_selectorIilEEZNS1_14transform_implILb0ES3_S5_N6thrust23THRUST_200600_302600_NS6detail15normal_iteratorINS8_7pointerIiNS8_11hip_rocprim3tagENS8_11use_defaultESE_EEEENSA_INSB_IlSD_SE_SE_EEEEZNS1_13binary_searchIS3_S5_NSA_INS8_10device_ptrIiEEEESG_SI_NS1_21lower_bound_search_opENS9_16wrapped_functionINS8_7greaterIiEEbEEEE10hipError_tPvRmT1_T2_T3_mmT4_T5_P12ihipStream_tbEUlRKiE_EESS_SW_SX_mSY_S11_bEUlT_E_NS1_11comp_targetILNS1_3genE0ELNS1_11target_archE4294967295ELNS1_3gpuE0ELNS1_3repE0EEENS1_30default_config_static_selectorELNS0_4arch9wavefront6targetE0EEEvSV_
; %bb.0:
	s_clause 0x3
	s_load_b128 s[12:15], s[0:1], 0x0
	s_load_b128 s[4:7], s[0:1], 0x18
	s_load_b32 s16, s[0:1], 0x38
	s_load_b64 s[8:9], s[0:1], 0x28
	s_bfe_u32 s2, ttmp6, 0x4000c
	s_and_b32 s3, ttmp6, 15
	s_add_co_i32 s2, s2, 1
	s_getreg_b32 s10, hwreg(HW_REG_IB_STS2, 6, 4)
	s_mul_i32 s2, ttmp9, s2
	s_delay_alu instid0(SALU_CYCLE_1)
	s_add_co_i32 s17, s3, s2
	s_wait_kmcnt 0x0
	s_lshl_b64 s[2:3], s[14:15], 2
	s_lshl_b64 s[14:15], s[14:15], 3
	s_cmp_eq_u32 s10, 0
	s_add_nc_u64 s[10:11], s[12:13], s[2:3]
	s_cselect_b32 s12, ttmp9, s17
	s_add_co_i32 s16, s16, -1
	s_add_nc_u64 s[2:3], s[4:5], s[14:15]
	s_lshl_b32 s4, s12, 8
	s_mov_b32 s5, 0
	s_cmp_lg_u32 s12, s16
	s_mov_b32 s12, -1
	s_cbranch_scc0 .LBB21_7
; %bb.1:
	s_cmp_eq_u64 s[8:9], 0
	s_cbranch_scc1 .LBB21_5
; %bb.2:
	s_lshl_b64 s[12:13], s[4:5], 2
	v_mov_b64_e32 v[2:3], 0
	s_add_nc_u64 s[12:13], s[10:11], s[12:13]
	v_mov_b64_e32 v[4:5], s[8:9]
	flat_load_b32 v1, v0, s[12:13] scale_offset
	s_wait_xcnt 0x0
	s_mov_b32 s12, 0
.LBB21_3:                               ; =>This Inner Loop Header: Depth=1
	v_sub_nc_u64_e32 v[6:7], v[4:5], v[2:3]
	s_delay_alu instid0(VALU_DEP_1) | instskip(SKIP_1) | instid1(VALU_DEP_2)
	v_lshrrev_b64 v[8:9], 1, v[6:7]
	v_lshrrev_b64 v[6:7], 6, v[6:7]
	v_add_nc_u64_e32 v[8:9], v[8:9], v[2:3]
	s_delay_alu instid0(VALU_DEP_1) | instskip(NEXT) | instid1(VALU_DEP_1)
	v_add_nc_u64_e32 v[6:7], v[8:9], v[6:7]
	v_lshl_add_u64 v[8:9], v[6:7], 2, s[6:7]
	global_load_b32 v10, v[8:9], off
	s_wait_xcnt 0x0
	v_add_nc_u64_e32 v[8:9], 1, v[6:7]
	s_wait_loadcnt_dscnt 0x0
	v_cmp_gt_i32_e32 vcc_lo, v10, v1
	v_dual_cndmask_b32 v5, v7, v5 :: v_dual_cndmask_b32 v4, v6, v4
	s_delay_alu instid0(VALU_DEP_3) | instskip(NEXT) | instid1(VALU_DEP_1)
	v_dual_cndmask_b32 v3, v3, v9 :: v_dual_cndmask_b32 v2, v2, v8
	v_cmp_ge_u64_e32 vcc_lo, v[2:3], v[4:5]
	s_or_b32 s12, vcc_lo, s12
	s_delay_alu instid0(SALU_CYCLE_1)
	s_and_not1_b32 exec_lo, exec_lo, s12
	s_cbranch_execnz .LBB21_3
; %bb.4:
	s_or_b32 exec_lo, exec_lo, s12
	s_branch .LBB21_6
.LBB21_5:
	v_mov_b64_e32 v[2:3], 0
.LBB21_6:
	s_lshl_b64 s[12:13], s[4:5], 3
	s_delay_alu instid0(SALU_CYCLE_1)
	s_add_nc_u64 s[14:15], s[2:3], s[12:13]
	s_mov_b32 s12, 0
	flat_store_b64 v0, v[2:3], s[14:15] scale_offset
.LBB21_7:
	s_and_b32 vcc_lo, exec_lo, s12
	s_cbranch_vccz .LBB21_16
; %bb.8:
	s_load_b32 s0, s[0:1], 0x10
                                        ; implicit-def: $vgpr1
	s_wait_kmcnt 0x0
	s_sub_co_i32 s1, s0, s4
	s_delay_alu instid0(SALU_CYCLE_1)
	v_cmp_le_u32_e64 s0, s1, v0
	v_cmp_gt_u32_e32 vcc_lo, s1, v0
	s_and_saveexec_b32 s1, vcc_lo
	s_cbranch_execz .LBB21_10
; %bb.9:
	s_lshl_b64 s[12:13], s[4:5], 2
	s_delay_alu instid0(SALU_CYCLE_1)
	s_add_nc_u64 s[10:11], s[10:11], s[12:13]
	flat_load_b32 v1, v0, s[10:11] scale_offset
.LBB21_10:
	s_wait_xcnt 0x0
	s_or_b32 exec_lo, exec_lo, s1
	v_mov_b64_e32 v[2:3], 0
	s_cmp_lg_u64 s[8:9], 0
	s_cselect_b32 s1, -1, 0
	s_xor_b32 s0, s0, -1
	s_delay_alu instid0(SALU_CYCLE_1) | instskip(NEXT) | instid1(SALU_CYCLE_1)
	s_and_b32 s0, s0, s1
	s_and_saveexec_b32 s1, s0
	s_cbranch_execz .LBB21_14
; %bb.11:
	v_mov_b64_e32 v[2:3], 0
	v_mov_b64_e32 v[4:5], s[8:9]
	s_mov_b32 s8, 0
.LBB21_12:                              ; =>This Inner Loop Header: Depth=1
	s_delay_alu instid0(VALU_DEP_1) | instskip(NEXT) | instid1(VALU_DEP_1)
	v_sub_nc_u64_e32 v[6:7], v[4:5], v[2:3]
	v_lshrrev_b64 v[8:9], 1, v[6:7]
	v_lshrrev_b64 v[6:7], 6, v[6:7]
	s_delay_alu instid0(VALU_DEP_2) | instskip(NEXT) | instid1(VALU_DEP_1)
	v_add_nc_u64_e32 v[8:9], v[8:9], v[2:3]
	v_add_nc_u64_e32 v[6:7], v[8:9], v[6:7]
	s_delay_alu instid0(VALU_DEP_1)
	v_lshl_add_u64 v[8:9], v[6:7], 2, s[6:7]
	global_load_b32 v10, v[8:9], off
	s_wait_xcnt 0x0
	v_add_nc_u64_e32 v[8:9], 1, v[6:7]
	s_wait_loadcnt_dscnt 0x0
	v_cmp_gt_i32_e64 s0, v10, v1
	s_delay_alu instid0(VALU_DEP_1) | instskip(NEXT) | instid1(VALU_DEP_3)
	v_dual_cndmask_b32 v5, v7, v5, s0 :: v_dual_cndmask_b32 v4, v6, v4, s0
	v_dual_cndmask_b32 v3, v3, v9, s0 :: v_dual_cndmask_b32 v2, v2, v8, s0
	s_delay_alu instid0(VALU_DEP_1) | instskip(SKIP_1) | instid1(SALU_CYCLE_1)
	v_cmp_ge_u64_e64 s0, v[2:3], v[4:5]
	s_or_b32 s8, s0, s8
	s_and_not1_b32 exec_lo, exec_lo, s8
	s_cbranch_execnz .LBB21_12
; %bb.13:
	s_or_b32 exec_lo, exec_lo, s8
.LBB21_14:
	s_delay_alu instid0(SALU_CYCLE_1)
	s_or_b32 exec_lo, exec_lo, s1
	s_and_saveexec_b32 s0, vcc_lo
	s_cbranch_execz .LBB21_16
; %bb.15:
	s_lshl_b64 s[0:1], s[4:5], 3
	s_delay_alu instid0(SALU_CYCLE_1)
	s_add_nc_u64 s[0:1], s[2:3], s[0:1]
	flat_store_b64 v0, v[2:3], s[0:1] scale_offset
.LBB21_16:
	s_endpgm
	.section	.rodata,"a",@progbits
	.p2align	6, 0x0
	.amdhsa_kernel _ZN7rocprim17ROCPRIM_400000_NS6detail17trampoline_kernelINS0_14default_configENS1_27lower_bound_config_selectorIilEEZNS1_14transform_implILb0ES3_S5_N6thrust23THRUST_200600_302600_NS6detail15normal_iteratorINS8_7pointerIiNS8_11hip_rocprim3tagENS8_11use_defaultESE_EEEENSA_INSB_IlSD_SE_SE_EEEEZNS1_13binary_searchIS3_S5_NSA_INS8_10device_ptrIiEEEESG_SI_NS1_21lower_bound_search_opENS9_16wrapped_functionINS8_7greaterIiEEbEEEE10hipError_tPvRmT1_T2_T3_mmT4_T5_P12ihipStream_tbEUlRKiE_EESS_SW_SX_mSY_S11_bEUlT_E_NS1_11comp_targetILNS1_3genE0ELNS1_11target_archE4294967295ELNS1_3gpuE0ELNS1_3repE0EEENS1_30default_config_static_selectorELNS0_4arch9wavefront6targetE0EEEvSV_
		.amdhsa_group_segment_fixed_size 0
		.amdhsa_private_segment_fixed_size 0
		.amdhsa_kernarg_size 312
		.amdhsa_user_sgpr_count 2
		.amdhsa_user_sgpr_dispatch_ptr 0
		.amdhsa_user_sgpr_queue_ptr 0
		.amdhsa_user_sgpr_kernarg_segment_ptr 1
		.amdhsa_user_sgpr_dispatch_id 0
		.amdhsa_user_sgpr_kernarg_preload_length 0
		.amdhsa_user_sgpr_kernarg_preload_offset 0
		.amdhsa_user_sgpr_private_segment_size 0
		.amdhsa_wavefront_size32 1
		.amdhsa_uses_dynamic_stack 0
		.amdhsa_enable_private_segment 0
		.amdhsa_system_sgpr_workgroup_id_x 1
		.amdhsa_system_sgpr_workgroup_id_y 0
		.amdhsa_system_sgpr_workgroup_id_z 0
		.amdhsa_system_sgpr_workgroup_info 0
		.amdhsa_system_vgpr_workitem_id 0
		.amdhsa_next_free_vgpr 11
		.amdhsa_next_free_sgpr 18
		.amdhsa_named_barrier_count 0
		.amdhsa_reserve_vcc 1
		.amdhsa_float_round_mode_32 0
		.amdhsa_float_round_mode_16_64 0
		.amdhsa_float_denorm_mode_32 3
		.amdhsa_float_denorm_mode_16_64 3
		.amdhsa_fp16_overflow 0
		.amdhsa_memory_ordered 1
		.amdhsa_forward_progress 1
		.amdhsa_inst_pref_size 5
		.amdhsa_round_robin_scheduling 0
		.amdhsa_exception_fp_ieee_invalid_op 0
		.amdhsa_exception_fp_denorm_src 0
		.amdhsa_exception_fp_ieee_div_zero 0
		.amdhsa_exception_fp_ieee_overflow 0
		.amdhsa_exception_fp_ieee_underflow 0
		.amdhsa_exception_fp_ieee_inexact 0
		.amdhsa_exception_int_div_zero 0
	.end_amdhsa_kernel
	.section	.text._ZN7rocprim17ROCPRIM_400000_NS6detail17trampoline_kernelINS0_14default_configENS1_27lower_bound_config_selectorIilEEZNS1_14transform_implILb0ES3_S5_N6thrust23THRUST_200600_302600_NS6detail15normal_iteratorINS8_7pointerIiNS8_11hip_rocprim3tagENS8_11use_defaultESE_EEEENSA_INSB_IlSD_SE_SE_EEEEZNS1_13binary_searchIS3_S5_NSA_INS8_10device_ptrIiEEEESG_SI_NS1_21lower_bound_search_opENS9_16wrapped_functionINS8_7greaterIiEEbEEEE10hipError_tPvRmT1_T2_T3_mmT4_T5_P12ihipStream_tbEUlRKiE_EESS_SW_SX_mSY_S11_bEUlT_E_NS1_11comp_targetILNS1_3genE0ELNS1_11target_archE4294967295ELNS1_3gpuE0ELNS1_3repE0EEENS1_30default_config_static_selectorELNS0_4arch9wavefront6targetE0EEEvSV_,"axG",@progbits,_ZN7rocprim17ROCPRIM_400000_NS6detail17trampoline_kernelINS0_14default_configENS1_27lower_bound_config_selectorIilEEZNS1_14transform_implILb0ES3_S5_N6thrust23THRUST_200600_302600_NS6detail15normal_iteratorINS8_7pointerIiNS8_11hip_rocprim3tagENS8_11use_defaultESE_EEEENSA_INSB_IlSD_SE_SE_EEEEZNS1_13binary_searchIS3_S5_NSA_INS8_10device_ptrIiEEEESG_SI_NS1_21lower_bound_search_opENS9_16wrapped_functionINS8_7greaterIiEEbEEEE10hipError_tPvRmT1_T2_T3_mmT4_T5_P12ihipStream_tbEUlRKiE_EESS_SW_SX_mSY_S11_bEUlT_E_NS1_11comp_targetILNS1_3genE0ELNS1_11target_archE4294967295ELNS1_3gpuE0ELNS1_3repE0EEENS1_30default_config_static_selectorELNS0_4arch9wavefront6targetE0EEEvSV_,comdat
.Lfunc_end21:
	.size	_ZN7rocprim17ROCPRIM_400000_NS6detail17trampoline_kernelINS0_14default_configENS1_27lower_bound_config_selectorIilEEZNS1_14transform_implILb0ES3_S5_N6thrust23THRUST_200600_302600_NS6detail15normal_iteratorINS8_7pointerIiNS8_11hip_rocprim3tagENS8_11use_defaultESE_EEEENSA_INSB_IlSD_SE_SE_EEEEZNS1_13binary_searchIS3_S5_NSA_INS8_10device_ptrIiEEEESG_SI_NS1_21lower_bound_search_opENS9_16wrapped_functionINS8_7greaterIiEEbEEEE10hipError_tPvRmT1_T2_T3_mmT4_T5_P12ihipStream_tbEUlRKiE_EESS_SW_SX_mSY_S11_bEUlT_E_NS1_11comp_targetILNS1_3genE0ELNS1_11target_archE4294967295ELNS1_3gpuE0ELNS1_3repE0EEENS1_30default_config_static_selectorELNS0_4arch9wavefront6targetE0EEEvSV_, .Lfunc_end21-_ZN7rocprim17ROCPRIM_400000_NS6detail17trampoline_kernelINS0_14default_configENS1_27lower_bound_config_selectorIilEEZNS1_14transform_implILb0ES3_S5_N6thrust23THRUST_200600_302600_NS6detail15normal_iteratorINS8_7pointerIiNS8_11hip_rocprim3tagENS8_11use_defaultESE_EEEENSA_INSB_IlSD_SE_SE_EEEEZNS1_13binary_searchIS3_S5_NSA_INS8_10device_ptrIiEEEESG_SI_NS1_21lower_bound_search_opENS9_16wrapped_functionINS8_7greaterIiEEbEEEE10hipError_tPvRmT1_T2_T3_mmT4_T5_P12ihipStream_tbEUlRKiE_EESS_SW_SX_mSY_S11_bEUlT_E_NS1_11comp_targetILNS1_3genE0ELNS1_11target_archE4294967295ELNS1_3gpuE0ELNS1_3repE0EEENS1_30default_config_static_selectorELNS0_4arch9wavefront6targetE0EEEvSV_
                                        ; -- End function
	.set _ZN7rocprim17ROCPRIM_400000_NS6detail17trampoline_kernelINS0_14default_configENS1_27lower_bound_config_selectorIilEEZNS1_14transform_implILb0ES3_S5_N6thrust23THRUST_200600_302600_NS6detail15normal_iteratorINS8_7pointerIiNS8_11hip_rocprim3tagENS8_11use_defaultESE_EEEENSA_INSB_IlSD_SE_SE_EEEEZNS1_13binary_searchIS3_S5_NSA_INS8_10device_ptrIiEEEESG_SI_NS1_21lower_bound_search_opENS9_16wrapped_functionINS8_7greaterIiEEbEEEE10hipError_tPvRmT1_T2_T3_mmT4_T5_P12ihipStream_tbEUlRKiE_EESS_SW_SX_mSY_S11_bEUlT_E_NS1_11comp_targetILNS1_3genE0ELNS1_11target_archE4294967295ELNS1_3gpuE0ELNS1_3repE0EEENS1_30default_config_static_selectorELNS0_4arch9wavefront6targetE0EEEvSV_.num_vgpr, 11
	.set _ZN7rocprim17ROCPRIM_400000_NS6detail17trampoline_kernelINS0_14default_configENS1_27lower_bound_config_selectorIilEEZNS1_14transform_implILb0ES3_S5_N6thrust23THRUST_200600_302600_NS6detail15normal_iteratorINS8_7pointerIiNS8_11hip_rocprim3tagENS8_11use_defaultESE_EEEENSA_INSB_IlSD_SE_SE_EEEEZNS1_13binary_searchIS3_S5_NSA_INS8_10device_ptrIiEEEESG_SI_NS1_21lower_bound_search_opENS9_16wrapped_functionINS8_7greaterIiEEbEEEE10hipError_tPvRmT1_T2_T3_mmT4_T5_P12ihipStream_tbEUlRKiE_EESS_SW_SX_mSY_S11_bEUlT_E_NS1_11comp_targetILNS1_3genE0ELNS1_11target_archE4294967295ELNS1_3gpuE0ELNS1_3repE0EEENS1_30default_config_static_selectorELNS0_4arch9wavefront6targetE0EEEvSV_.num_agpr, 0
	.set _ZN7rocprim17ROCPRIM_400000_NS6detail17trampoline_kernelINS0_14default_configENS1_27lower_bound_config_selectorIilEEZNS1_14transform_implILb0ES3_S5_N6thrust23THRUST_200600_302600_NS6detail15normal_iteratorINS8_7pointerIiNS8_11hip_rocprim3tagENS8_11use_defaultESE_EEEENSA_INSB_IlSD_SE_SE_EEEEZNS1_13binary_searchIS3_S5_NSA_INS8_10device_ptrIiEEEESG_SI_NS1_21lower_bound_search_opENS9_16wrapped_functionINS8_7greaterIiEEbEEEE10hipError_tPvRmT1_T2_T3_mmT4_T5_P12ihipStream_tbEUlRKiE_EESS_SW_SX_mSY_S11_bEUlT_E_NS1_11comp_targetILNS1_3genE0ELNS1_11target_archE4294967295ELNS1_3gpuE0ELNS1_3repE0EEENS1_30default_config_static_selectorELNS0_4arch9wavefront6targetE0EEEvSV_.numbered_sgpr, 18
	.set _ZN7rocprim17ROCPRIM_400000_NS6detail17trampoline_kernelINS0_14default_configENS1_27lower_bound_config_selectorIilEEZNS1_14transform_implILb0ES3_S5_N6thrust23THRUST_200600_302600_NS6detail15normal_iteratorINS8_7pointerIiNS8_11hip_rocprim3tagENS8_11use_defaultESE_EEEENSA_INSB_IlSD_SE_SE_EEEEZNS1_13binary_searchIS3_S5_NSA_INS8_10device_ptrIiEEEESG_SI_NS1_21lower_bound_search_opENS9_16wrapped_functionINS8_7greaterIiEEbEEEE10hipError_tPvRmT1_T2_T3_mmT4_T5_P12ihipStream_tbEUlRKiE_EESS_SW_SX_mSY_S11_bEUlT_E_NS1_11comp_targetILNS1_3genE0ELNS1_11target_archE4294967295ELNS1_3gpuE0ELNS1_3repE0EEENS1_30default_config_static_selectorELNS0_4arch9wavefront6targetE0EEEvSV_.num_named_barrier, 0
	.set _ZN7rocprim17ROCPRIM_400000_NS6detail17trampoline_kernelINS0_14default_configENS1_27lower_bound_config_selectorIilEEZNS1_14transform_implILb0ES3_S5_N6thrust23THRUST_200600_302600_NS6detail15normal_iteratorINS8_7pointerIiNS8_11hip_rocprim3tagENS8_11use_defaultESE_EEEENSA_INSB_IlSD_SE_SE_EEEEZNS1_13binary_searchIS3_S5_NSA_INS8_10device_ptrIiEEEESG_SI_NS1_21lower_bound_search_opENS9_16wrapped_functionINS8_7greaterIiEEbEEEE10hipError_tPvRmT1_T2_T3_mmT4_T5_P12ihipStream_tbEUlRKiE_EESS_SW_SX_mSY_S11_bEUlT_E_NS1_11comp_targetILNS1_3genE0ELNS1_11target_archE4294967295ELNS1_3gpuE0ELNS1_3repE0EEENS1_30default_config_static_selectorELNS0_4arch9wavefront6targetE0EEEvSV_.private_seg_size, 0
	.set _ZN7rocprim17ROCPRIM_400000_NS6detail17trampoline_kernelINS0_14default_configENS1_27lower_bound_config_selectorIilEEZNS1_14transform_implILb0ES3_S5_N6thrust23THRUST_200600_302600_NS6detail15normal_iteratorINS8_7pointerIiNS8_11hip_rocprim3tagENS8_11use_defaultESE_EEEENSA_INSB_IlSD_SE_SE_EEEEZNS1_13binary_searchIS3_S5_NSA_INS8_10device_ptrIiEEEESG_SI_NS1_21lower_bound_search_opENS9_16wrapped_functionINS8_7greaterIiEEbEEEE10hipError_tPvRmT1_T2_T3_mmT4_T5_P12ihipStream_tbEUlRKiE_EESS_SW_SX_mSY_S11_bEUlT_E_NS1_11comp_targetILNS1_3genE0ELNS1_11target_archE4294967295ELNS1_3gpuE0ELNS1_3repE0EEENS1_30default_config_static_selectorELNS0_4arch9wavefront6targetE0EEEvSV_.uses_vcc, 1
	.set _ZN7rocprim17ROCPRIM_400000_NS6detail17trampoline_kernelINS0_14default_configENS1_27lower_bound_config_selectorIilEEZNS1_14transform_implILb0ES3_S5_N6thrust23THRUST_200600_302600_NS6detail15normal_iteratorINS8_7pointerIiNS8_11hip_rocprim3tagENS8_11use_defaultESE_EEEENSA_INSB_IlSD_SE_SE_EEEEZNS1_13binary_searchIS3_S5_NSA_INS8_10device_ptrIiEEEESG_SI_NS1_21lower_bound_search_opENS9_16wrapped_functionINS8_7greaterIiEEbEEEE10hipError_tPvRmT1_T2_T3_mmT4_T5_P12ihipStream_tbEUlRKiE_EESS_SW_SX_mSY_S11_bEUlT_E_NS1_11comp_targetILNS1_3genE0ELNS1_11target_archE4294967295ELNS1_3gpuE0ELNS1_3repE0EEENS1_30default_config_static_selectorELNS0_4arch9wavefront6targetE0EEEvSV_.uses_flat_scratch, 0
	.set _ZN7rocprim17ROCPRIM_400000_NS6detail17trampoline_kernelINS0_14default_configENS1_27lower_bound_config_selectorIilEEZNS1_14transform_implILb0ES3_S5_N6thrust23THRUST_200600_302600_NS6detail15normal_iteratorINS8_7pointerIiNS8_11hip_rocprim3tagENS8_11use_defaultESE_EEEENSA_INSB_IlSD_SE_SE_EEEEZNS1_13binary_searchIS3_S5_NSA_INS8_10device_ptrIiEEEESG_SI_NS1_21lower_bound_search_opENS9_16wrapped_functionINS8_7greaterIiEEbEEEE10hipError_tPvRmT1_T2_T3_mmT4_T5_P12ihipStream_tbEUlRKiE_EESS_SW_SX_mSY_S11_bEUlT_E_NS1_11comp_targetILNS1_3genE0ELNS1_11target_archE4294967295ELNS1_3gpuE0ELNS1_3repE0EEENS1_30default_config_static_selectorELNS0_4arch9wavefront6targetE0EEEvSV_.has_dyn_sized_stack, 0
	.set _ZN7rocprim17ROCPRIM_400000_NS6detail17trampoline_kernelINS0_14default_configENS1_27lower_bound_config_selectorIilEEZNS1_14transform_implILb0ES3_S5_N6thrust23THRUST_200600_302600_NS6detail15normal_iteratorINS8_7pointerIiNS8_11hip_rocprim3tagENS8_11use_defaultESE_EEEENSA_INSB_IlSD_SE_SE_EEEEZNS1_13binary_searchIS3_S5_NSA_INS8_10device_ptrIiEEEESG_SI_NS1_21lower_bound_search_opENS9_16wrapped_functionINS8_7greaterIiEEbEEEE10hipError_tPvRmT1_T2_T3_mmT4_T5_P12ihipStream_tbEUlRKiE_EESS_SW_SX_mSY_S11_bEUlT_E_NS1_11comp_targetILNS1_3genE0ELNS1_11target_archE4294967295ELNS1_3gpuE0ELNS1_3repE0EEENS1_30default_config_static_selectorELNS0_4arch9wavefront6targetE0EEEvSV_.has_recursion, 0
	.set _ZN7rocprim17ROCPRIM_400000_NS6detail17trampoline_kernelINS0_14default_configENS1_27lower_bound_config_selectorIilEEZNS1_14transform_implILb0ES3_S5_N6thrust23THRUST_200600_302600_NS6detail15normal_iteratorINS8_7pointerIiNS8_11hip_rocprim3tagENS8_11use_defaultESE_EEEENSA_INSB_IlSD_SE_SE_EEEEZNS1_13binary_searchIS3_S5_NSA_INS8_10device_ptrIiEEEESG_SI_NS1_21lower_bound_search_opENS9_16wrapped_functionINS8_7greaterIiEEbEEEE10hipError_tPvRmT1_T2_T3_mmT4_T5_P12ihipStream_tbEUlRKiE_EESS_SW_SX_mSY_S11_bEUlT_E_NS1_11comp_targetILNS1_3genE0ELNS1_11target_archE4294967295ELNS1_3gpuE0ELNS1_3repE0EEENS1_30default_config_static_selectorELNS0_4arch9wavefront6targetE0EEEvSV_.has_indirect_call, 0
	.section	.AMDGPU.csdata,"",@progbits
; Kernel info:
; codeLenInByte = 620
; TotalNumSgprs: 20
; NumVgprs: 11
; ScratchSize: 0
; MemoryBound: 0
; FloatMode: 240
; IeeeMode: 1
; LDSByteSize: 0 bytes/workgroup (compile time only)
; SGPRBlocks: 0
; VGPRBlocks: 0
; NumSGPRsForWavesPerEU: 20
; NumVGPRsForWavesPerEU: 11
; NamedBarCnt: 0
; Occupancy: 16
; WaveLimiterHint : 0
; COMPUTE_PGM_RSRC2:SCRATCH_EN: 0
; COMPUTE_PGM_RSRC2:USER_SGPR: 2
; COMPUTE_PGM_RSRC2:TRAP_HANDLER: 0
; COMPUTE_PGM_RSRC2:TGID_X_EN: 1
; COMPUTE_PGM_RSRC2:TGID_Y_EN: 0
; COMPUTE_PGM_RSRC2:TGID_Z_EN: 0
; COMPUTE_PGM_RSRC2:TIDIG_COMP_CNT: 0
	.section	.text._ZN7rocprim17ROCPRIM_400000_NS6detail17trampoline_kernelINS0_14default_configENS1_27lower_bound_config_selectorIilEEZNS1_14transform_implILb0ES3_S5_N6thrust23THRUST_200600_302600_NS6detail15normal_iteratorINS8_7pointerIiNS8_11hip_rocprim3tagENS8_11use_defaultESE_EEEENSA_INSB_IlSD_SE_SE_EEEEZNS1_13binary_searchIS3_S5_NSA_INS8_10device_ptrIiEEEESG_SI_NS1_21lower_bound_search_opENS9_16wrapped_functionINS8_7greaterIiEEbEEEE10hipError_tPvRmT1_T2_T3_mmT4_T5_P12ihipStream_tbEUlRKiE_EESS_SW_SX_mSY_S11_bEUlT_E_NS1_11comp_targetILNS1_3genE5ELNS1_11target_archE942ELNS1_3gpuE9ELNS1_3repE0EEENS1_30default_config_static_selectorELNS0_4arch9wavefront6targetE0EEEvSV_,"axG",@progbits,_ZN7rocprim17ROCPRIM_400000_NS6detail17trampoline_kernelINS0_14default_configENS1_27lower_bound_config_selectorIilEEZNS1_14transform_implILb0ES3_S5_N6thrust23THRUST_200600_302600_NS6detail15normal_iteratorINS8_7pointerIiNS8_11hip_rocprim3tagENS8_11use_defaultESE_EEEENSA_INSB_IlSD_SE_SE_EEEEZNS1_13binary_searchIS3_S5_NSA_INS8_10device_ptrIiEEEESG_SI_NS1_21lower_bound_search_opENS9_16wrapped_functionINS8_7greaterIiEEbEEEE10hipError_tPvRmT1_T2_T3_mmT4_T5_P12ihipStream_tbEUlRKiE_EESS_SW_SX_mSY_S11_bEUlT_E_NS1_11comp_targetILNS1_3genE5ELNS1_11target_archE942ELNS1_3gpuE9ELNS1_3repE0EEENS1_30default_config_static_selectorELNS0_4arch9wavefront6targetE0EEEvSV_,comdat
	.protected	_ZN7rocprim17ROCPRIM_400000_NS6detail17trampoline_kernelINS0_14default_configENS1_27lower_bound_config_selectorIilEEZNS1_14transform_implILb0ES3_S5_N6thrust23THRUST_200600_302600_NS6detail15normal_iteratorINS8_7pointerIiNS8_11hip_rocprim3tagENS8_11use_defaultESE_EEEENSA_INSB_IlSD_SE_SE_EEEEZNS1_13binary_searchIS3_S5_NSA_INS8_10device_ptrIiEEEESG_SI_NS1_21lower_bound_search_opENS9_16wrapped_functionINS8_7greaterIiEEbEEEE10hipError_tPvRmT1_T2_T3_mmT4_T5_P12ihipStream_tbEUlRKiE_EESS_SW_SX_mSY_S11_bEUlT_E_NS1_11comp_targetILNS1_3genE5ELNS1_11target_archE942ELNS1_3gpuE9ELNS1_3repE0EEENS1_30default_config_static_selectorELNS0_4arch9wavefront6targetE0EEEvSV_ ; -- Begin function _ZN7rocprim17ROCPRIM_400000_NS6detail17trampoline_kernelINS0_14default_configENS1_27lower_bound_config_selectorIilEEZNS1_14transform_implILb0ES3_S5_N6thrust23THRUST_200600_302600_NS6detail15normal_iteratorINS8_7pointerIiNS8_11hip_rocprim3tagENS8_11use_defaultESE_EEEENSA_INSB_IlSD_SE_SE_EEEEZNS1_13binary_searchIS3_S5_NSA_INS8_10device_ptrIiEEEESG_SI_NS1_21lower_bound_search_opENS9_16wrapped_functionINS8_7greaterIiEEbEEEE10hipError_tPvRmT1_T2_T3_mmT4_T5_P12ihipStream_tbEUlRKiE_EESS_SW_SX_mSY_S11_bEUlT_E_NS1_11comp_targetILNS1_3genE5ELNS1_11target_archE942ELNS1_3gpuE9ELNS1_3repE0EEENS1_30default_config_static_selectorELNS0_4arch9wavefront6targetE0EEEvSV_
	.globl	_ZN7rocprim17ROCPRIM_400000_NS6detail17trampoline_kernelINS0_14default_configENS1_27lower_bound_config_selectorIilEEZNS1_14transform_implILb0ES3_S5_N6thrust23THRUST_200600_302600_NS6detail15normal_iteratorINS8_7pointerIiNS8_11hip_rocprim3tagENS8_11use_defaultESE_EEEENSA_INSB_IlSD_SE_SE_EEEEZNS1_13binary_searchIS3_S5_NSA_INS8_10device_ptrIiEEEESG_SI_NS1_21lower_bound_search_opENS9_16wrapped_functionINS8_7greaterIiEEbEEEE10hipError_tPvRmT1_T2_T3_mmT4_T5_P12ihipStream_tbEUlRKiE_EESS_SW_SX_mSY_S11_bEUlT_E_NS1_11comp_targetILNS1_3genE5ELNS1_11target_archE942ELNS1_3gpuE9ELNS1_3repE0EEENS1_30default_config_static_selectorELNS0_4arch9wavefront6targetE0EEEvSV_
	.p2align	8
	.type	_ZN7rocprim17ROCPRIM_400000_NS6detail17trampoline_kernelINS0_14default_configENS1_27lower_bound_config_selectorIilEEZNS1_14transform_implILb0ES3_S5_N6thrust23THRUST_200600_302600_NS6detail15normal_iteratorINS8_7pointerIiNS8_11hip_rocprim3tagENS8_11use_defaultESE_EEEENSA_INSB_IlSD_SE_SE_EEEEZNS1_13binary_searchIS3_S5_NSA_INS8_10device_ptrIiEEEESG_SI_NS1_21lower_bound_search_opENS9_16wrapped_functionINS8_7greaterIiEEbEEEE10hipError_tPvRmT1_T2_T3_mmT4_T5_P12ihipStream_tbEUlRKiE_EESS_SW_SX_mSY_S11_bEUlT_E_NS1_11comp_targetILNS1_3genE5ELNS1_11target_archE942ELNS1_3gpuE9ELNS1_3repE0EEENS1_30default_config_static_selectorELNS0_4arch9wavefront6targetE0EEEvSV_,@function
_ZN7rocprim17ROCPRIM_400000_NS6detail17trampoline_kernelINS0_14default_configENS1_27lower_bound_config_selectorIilEEZNS1_14transform_implILb0ES3_S5_N6thrust23THRUST_200600_302600_NS6detail15normal_iteratorINS8_7pointerIiNS8_11hip_rocprim3tagENS8_11use_defaultESE_EEEENSA_INSB_IlSD_SE_SE_EEEEZNS1_13binary_searchIS3_S5_NSA_INS8_10device_ptrIiEEEESG_SI_NS1_21lower_bound_search_opENS9_16wrapped_functionINS8_7greaterIiEEbEEEE10hipError_tPvRmT1_T2_T3_mmT4_T5_P12ihipStream_tbEUlRKiE_EESS_SW_SX_mSY_S11_bEUlT_E_NS1_11comp_targetILNS1_3genE5ELNS1_11target_archE942ELNS1_3gpuE9ELNS1_3repE0EEENS1_30default_config_static_selectorELNS0_4arch9wavefront6targetE0EEEvSV_: ; @_ZN7rocprim17ROCPRIM_400000_NS6detail17trampoline_kernelINS0_14default_configENS1_27lower_bound_config_selectorIilEEZNS1_14transform_implILb0ES3_S5_N6thrust23THRUST_200600_302600_NS6detail15normal_iteratorINS8_7pointerIiNS8_11hip_rocprim3tagENS8_11use_defaultESE_EEEENSA_INSB_IlSD_SE_SE_EEEEZNS1_13binary_searchIS3_S5_NSA_INS8_10device_ptrIiEEEESG_SI_NS1_21lower_bound_search_opENS9_16wrapped_functionINS8_7greaterIiEEbEEEE10hipError_tPvRmT1_T2_T3_mmT4_T5_P12ihipStream_tbEUlRKiE_EESS_SW_SX_mSY_S11_bEUlT_E_NS1_11comp_targetILNS1_3genE5ELNS1_11target_archE942ELNS1_3gpuE9ELNS1_3repE0EEENS1_30default_config_static_selectorELNS0_4arch9wavefront6targetE0EEEvSV_
; %bb.0:
	.section	.rodata,"a",@progbits
	.p2align	6, 0x0
	.amdhsa_kernel _ZN7rocprim17ROCPRIM_400000_NS6detail17trampoline_kernelINS0_14default_configENS1_27lower_bound_config_selectorIilEEZNS1_14transform_implILb0ES3_S5_N6thrust23THRUST_200600_302600_NS6detail15normal_iteratorINS8_7pointerIiNS8_11hip_rocprim3tagENS8_11use_defaultESE_EEEENSA_INSB_IlSD_SE_SE_EEEEZNS1_13binary_searchIS3_S5_NSA_INS8_10device_ptrIiEEEESG_SI_NS1_21lower_bound_search_opENS9_16wrapped_functionINS8_7greaterIiEEbEEEE10hipError_tPvRmT1_T2_T3_mmT4_T5_P12ihipStream_tbEUlRKiE_EESS_SW_SX_mSY_S11_bEUlT_E_NS1_11comp_targetILNS1_3genE5ELNS1_11target_archE942ELNS1_3gpuE9ELNS1_3repE0EEENS1_30default_config_static_selectorELNS0_4arch9wavefront6targetE0EEEvSV_
		.amdhsa_group_segment_fixed_size 0
		.amdhsa_private_segment_fixed_size 0
		.amdhsa_kernarg_size 56
		.amdhsa_user_sgpr_count 2
		.amdhsa_user_sgpr_dispatch_ptr 0
		.amdhsa_user_sgpr_queue_ptr 0
		.amdhsa_user_sgpr_kernarg_segment_ptr 1
		.amdhsa_user_sgpr_dispatch_id 0
		.amdhsa_user_sgpr_kernarg_preload_length 0
		.amdhsa_user_sgpr_kernarg_preload_offset 0
		.amdhsa_user_sgpr_private_segment_size 0
		.amdhsa_wavefront_size32 1
		.amdhsa_uses_dynamic_stack 0
		.amdhsa_enable_private_segment 0
		.amdhsa_system_sgpr_workgroup_id_x 1
		.amdhsa_system_sgpr_workgroup_id_y 0
		.amdhsa_system_sgpr_workgroup_id_z 0
		.amdhsa_system_sgpr_workgroup_info 0
		.amdhsa_system_vgpr_workitem_id 0
		.amdhsa_next_free_vgpr 1
		.amdhsa_next_free_sgpr 1
		.amdhsa_named_barrier_count 0
		.amdhsa_reserve_vcc 0
		.amdhsa_float_round_mode_32 0
		.amdhsa_float_round_mode_16_64 0
		.amdhsa_float_denorm_mode_32 3
		.amdhsa_float_denorm_mode_16_64 3
		.amdhsa_fp16_overflow 0
		.amdhsa_memory_ordered 1
		.amdhsa_forward_progress 1
		.amdhsa_inst_pref_size 0
		.amdhsa_round_robin_scheduling 0
		.amdhsa_exception_fp_ieee_invalid_op 0
		.amdhsa_exception_fp_denorm_src 0
		.amdhsa_exception_fp_ieee_div_zero 0
		.amdhsa_exception_fp_ieee_overflow 0
		.amdhsa_exception_fp_ieee_underflow 0
		.amdhsa_exception_fp_ieee_inexact 0
		.amdhsa_exception_int_div_zero 0
	.end_amdhsa_kernel
	.section	.text._ZN7rocprim17ROCPRIM_400000_NS6detail17trampoline_kernelINS0_14default_configENS1_27lower_bound_config_selectorIilEEZNS1_14transform_implILb0ES3_S5_N6thrust23THRUST_200600_302600_NS6detail15normal_iteratorINS8_7pointerIiNS8_11hip_rocprim3tagENS8_11use_defaultESE_EEEENSA_INSB_IlSD_SE_SE_EEEEZNS1_13binary_searchIS3_S5_NSA_INS8_10device_ptrIiEEEESG_SI_NS1_21lower_bound_search_opENS9_16wrapped_functionINS8_7greaterIiEEbEEEE10hipError_tPvRmT1_T2_T3_mmT4_T5_P12ihipStream_tbEUlRKiE_EESS_SW_SX_mSY_S11_bEUlT_E_NS1_11comp_targetILNS1_3genE5ELNS1_11target_archE942ELNS1_3gpuE9ELNS1_3repE0EEENS1_30default_config_static_selectorELNS0_4arch9wavefront6targetE0EEEvSV_,"axG",@progbits,_ZN7rocprim17ROCPRIM_400000_NS6detail17trampoline_kernelINS0_14default_configENS1_27lower_bound_config_selectorIilEEZNS1_14transform_implILb0ES3_S5_N6thrust23THRUST_200600_302600_NS6detail15normal_iteratorINS8_7pointerIiNS8_11hip_rocprim3tagENS8_11use_defaultESE_EEEENSA_INSB_IlSD_SE_SE_EEEEZNS1_13binary_searchIS3_S5_NSA_INS8_10device_ptrIiEEEESG_SI_NS1_21lower_bound_search_opENS9_16wrapped_functionINS8_7greaterIiEEbEEEE10hipError_tPvRmT1_T2_T3_mmT4_T5_P12ihipStream_tbEUlRKiE_EESS_SW_SX_mSY_S11_bEUlT_E_NS1_11comp_targetILNS1_3genE5ELNS1_11target_archE942ELNS1_3gpuE9ELNS1_3repE0EEENS1_30default_config_static_selectorELNS0_4arch9wavefront6targetE0EEEvSV_,comdat
.Lfunc_end22:
	.size	_ZN7rocprim17ROCPRIM_400000_NS6detail17trampoline_kernelINS0_14default_configENS1_27lower_bound_config_selectorIilEEZNS1_14transform_implILb0ES3_S5_N6thrust23THRUST_200600_302600_NS6detail15normal_iteratorINS8_7pointerIiNS8_11hip_rocprim3tagENS8_11use_defaultESE_EEEENSA_INSB_IlSD_SE_SE_EEEEZNS1_13binary_searchIS3_S5_NSA_INS8_10device_ptrIiEEEESG_SI_NS1_21lower_bound_search_opENS9_16wrapped_functionINS8_7greaterIiEEbEEEE10hipError_tPvRmT1_T2_T3_mmT4_T5_P12ihipStream_tbEUlRKiE_EESS_SW_SX_mSY_S11_bEUlT_E_NS1_11comp_targetILNS1_3genE5ELNS1_11target_archE942ELNS1_3gpuE9ELNS1_3repE0EEENS1_30default_config_static_selectorELNS0_4arch9wavefront6targetE0EEEvSV_, .Lfunc_end22-_ZN7rocprim17ROCPRIM_400000_NS6detail17trampoline_kernelINS0_14default_configENS1_27lower_bound_config_selectorIilEEZNS1_14transform_implILb0ES3_S5_N6thrust23THRUST_200600_302600_NS6detail15normal_iteratorINS8_7pointerIiNS8_11hip_rocprim3tagENS8_11use_defaultESE_EEEENSA_INSB_IlSD_SE_SE_EEEEZNS1_13binary_searchIS3_S5_NSA_INS8_10device_ptrIiEEEESG_SI_NS1_21lower_bound_search_opENS9_16wrapped_functionINS8_7greaterIiEEbEEEE10hipError_tPvRmT1_T2_T3_mmT4_T5_P12ihipStream_tbEUlRKiE_EESS_SW_SX_mSY_S11_bEUlT_E_NS1_11comp_targetILNS1_3genE5ELNS1_11target_archE942ELNS1_3gpuE9ELNS1_3repE0EEENS1_30default_config_static_selectorELNS0_4arch9wavefront6targetE0EEEvSV_
                                        ; -- End function
	.set _ZN7rocprim17ROCPRIM_400000_NS6detail17trampoline_kernelINS0_14default_configENS1_27lower_bound_config_selectorIilEEZNS1_14transform_implILb0ES3_S5_N6thrust23THRUST_200600_302600_NS6detail15normal_iteratorINS8_7pointerIiNS8_11hip_rocprim3tagENS8_11use_defaultESE_EEEENSA_INSB_IlSD_SE_SE_EEEEZNS1_13binary_searchIS3_S5_NSA_INS8_10device_ptrIiEEEESG_SI_NS1_21lower_bound_search_opENS9_16wrapped_functionINS8_7greaterIiEEbEEEE10hipError_tPvRmT1_T2_T3_mmT4_T5_P12ihipStream_tbEUlRKiE_EESS_SW_SX_mSY_S11_bEUlT_E_NS1_11comp_targetILNS1_3genE5ELNS1_11target_archE942ELNS1_3gpuE9ELNS1_3repE0EEENS1_30default_config_static_selectorELNS0_4arch9wavefront6targetE0EEEvSV_.num_vgpr, 0
	.set _ZN7rocprim17ROCPRIM_400000_NS6detail17trampoline_kernelINS0_14default_configENS1_27lower_bound_config_selectorIilEEZNS1_14transform_implILb0ES3_S5_N6thrust23THRUST_200600_302600_NS6detail15normal_iteratorINS8_7pointerIiNS8_11hip_rocprim3tagENS8_11use_defaultESE_EEEENSA_INSB_IlSD_SE_SE_EEEEZNS1_13binary_searchIS3_S5_NSA_INS8_10device_ptrIiEEEESG_SI_NS1_21lower_bound_search_opENS9_16wrapped_functionINS8_7greaterIiEEbEEEE10hipError_tPvRmT1_T2_T3_mmT4_T5_P12ihipStream_tbEUlRKiE_EESS_SW_SX_mSY_S11_bEUlT_E_NS1_11comp_targetILNS1_3genE5ELNS1_11target_archE942ELNS1_3gpuE9ELNS1_3repE0EEENS1_30default_config_static_selectorELNS0_4arch9wavefront6targetE0EEEvSV_.num_agpr, 0
	.set _ZN7rocprim17ROCPRIM_400000_NS6detail17trampoline_kernelINS0_14default_configENS1_27lower_bound_config_selectorIilEEZNS1_14transform_implILb0ES3_S5_N6thrust23THRUST_200600_302600_NS6detail15normal_iteratorINS8_7pointerIiNS8_11hip_rocprim3tagENS8_11use_defaultESE_EEEENSA_INSB_IlSD_SE_SE_EEEEZNS1_13binary_searchIS3_S5_NSA_INS8_10device_ptrIiEEEESG_SI_NS1_21lower_bound_search_opENS9_16wrapped_functionINS8_7greaterIiEEbEEEE10hipError_tPvRmT1_T2_T3_mmT4_T5_P12ihipStream_tbEUlRKiE_EESS_SW_SX_mSY_S11_bEUlT_E_NS1_11comp_targetILNS1_3genE5ELNS1_11target_archE942ELNS1_3gpuE9ELNS1_3repE0EEENS1_30default_config_static_selectorELNS0_4arch9wavefront6targetE0EEEvSV_.numbered_sgpr, 0
	.set _ZN7rocprim17ROCPRIM_400000_NS6detail17trampoline_kernelINS0_14default_configENS1_27lower_bound_config_selectorIilEEZNS1_14transform_implILb0ES3_S5_N6thrust23THRUST_200600_302600_NS6detail15normal_iteratorINS8_7pointerIiNS8_11hip_rocprim3tagENS8_11use_defaultESE_EEEENSA_INSB_IlSD_SE_SE_EEEEZNS1_13binary_searchIS3_S5_NSA_INS8_10device_ptrIiEEEESG_SI_NS1_21lower_bound_search_opENS9_16wrapped_functionINS8_7greaterIiEEbEEEE10hipError_tPvRmT1_T2_T3_mmT4_T5_P12ihipStream_tbEUlRKiE_EESS_SW_SX_mSY_S11_bEUlT_E_NS1_11comp_targetILNS1_3genE5ELNS1_11target_archE942ELNS1_3gpuE9ELNS1_3repE0EEENS1_30default_config_static_selectorELNS0_4arch9wavefront6targetE0EEEvSV_.num_named_barrier, 0
	.set _ZN7rocprim17ROCPRIM_400000_NS6detail17trampoline_kernelINS0_14default_configENS1_27lower_bound_config_selectorIilEEZNS1_14transform_implILb0ES3_S5_N6thrust23THRUST_200600_302600_NS6detail15normal_iteratorINS8_7pointerIiNS8_11hip_rocprim3tagENS8_11use_defaultESE_EEEENSA_INSB_IlSD_SE_SE_EEEEZNS1_13binary_searchIS3_S5_NSA_INS8_10device_ptrIiEEEESG_SI_NS1_21lower_bound_search_opENS9_16wrapped_functionINS8_7greaterIiEEbEEEE10hipError_tPvRmT1_T2_T3_mmT4_T5_P12ihipStream_tbEUlRKiE_EESS_SW_SX_mSY_S11_bEUlT_E_NS1_11comp_targetILNS1_3genE5ELNS1_11target_archE942ELNS1_3gpuE9ELNS1_3repE0EEENS1_30default_config_static_selectorELNS0_4arch9wavefront6targetE0EEEvSV_.private_seg_size, 0
	.set _ZN7rocprim17ROCPRIM_400000_NS6detail17trampoline_kernelINS0_14default_configENS1_27lower_bound_config_selectorIilEEZNS1_14transform_implILb0ES3_S5_N6thrust23THRUST_200600_302600_NS6detail15normal_iteratorINS8_7pointerIiNS8_11hip_rocprim3tagENS8_11use_defaultESE_EEEENSA_INSB_IlSD_SE_SE_EEEEZNS1_13binary_searchIS3_S5_NSA_INS8_10device_ptrIiEEEESG_SI_NS1_21lower_bound_search_opENS9_16wrapped_functionINS8_7greaterIiEEbEEEE10hipError_tPvRmT1_T2_T3_mmT4_T5_P12ihipStream_tbEUlRKiE_EESS_SW_SX_mSY_S11_bEUlT_E_NS1_11comp_targetILNS1_3genE5ELNS1_11target_archE942ELNS1_3gpuE9ELNS1_3repE0EEENS1_30default_config_static_selectorELNS0_4arch9wavefront6targetE0EEEvSV_.uses_vcc, 0
	.set _ZN7rocprim17ROCPRIM_400000_NS6detail17trampoline_kernelINS0_14default_configENS1_27lower_bound_config_selectorIilEEZNS1_14transform_implILb0ES3_S5_N6thrust23THRUST_200600_302600_NS6detail15normal_iteratorINS8_7pointerIiNS8_11hip_rocprim3tagENS8_11use_defaultESE_EEEENSA_INSB_IlSD_SE_SE_EEEEZNS1_13binary_searchIS3_S5_NSA_INS8_10device_ptrIiEEEESG_SI_NS1_21lower_bound_search_opENS9_16wrapped_functionINS8_7greaterIiEEbEEEE10hipError_tPvRmT1_T2_T3_mmT4_T5_P12ihipStream_tbEUlRKiE_EESS_SW_SX_mSY_S11_bEUlT_E_NS1_11comp_targetILNS1_3genE5ELNS1_11target_archE942ELNS1_3gpuE9ELNS1_3repE0EEENS1_30default_config_static_selectorELNS0_4arch9wavefront6targetE0EEEvSV_.uses_flat_scratch, 0
	.set _ZN7rocprim17ROCPRIM_400000_NS6detail17trampoline_kernelINS0_14default_configENS1_27lower_bound_config_selectorIilEEZNS1_14transform_implILb0ES3_S5_N6thrust23THRUST_200600_302600_NS6detail15normal_iteratorINS8_7pointerIiNS8_11hip_rocprim3tagENS8_11use_defaultESE_EEEENSA_INSB_IlSD_SE_SE_EEEEZNS1_13binary_searchIS3_S5_NSA_INS8_10device_ptrIiEEEESG_SI_NS1_21lower_bound_search_opENS9_16wrapped_functionINS8_7greaterIiEEbEEEE10hipError_tPvRmT1_T2_T3_mmT4_T5_P12ihipStream_tbEUlRKiE_EESS_SW_SX_mSY_S11_bEUlT_E_NS1_11comp_targetILNS1_3genE5ELNS1_11target_archE942ELNS1_3gpuE9ELNS1_3repE0EEENS1_30default_config_static_selectorELNS0_4arch9wavefront6targetE0EEEvSV_.has_dyn_sized_stack, 0
	.set _ZN7rocprim17ROCPRIM_400000_NS6detail17trampoline_kernelINS0_14default_configENS1_27lower_bound_config_selectorIilEEZNS1_14transform_implILb0ES3_S5_N6thrust23THRUST_200600_302600_NS6detail15normal_iteratorINS8_7pointerIiNS8_11hip_rocprim3tagENS8_11use_defaultESE_EEEENSA_INSB_IlSD_SE_SE_EEEEZNS1_13binary_searchIS3_S5_NSA_INS8_10device_ptrIiEEEESG_SI_NS1_21lower_bound_search_opENS9_16wrapped_functionINS8_7greaterIiEEbEEEE10hipError_tPvRmT1_T2_T3_mmT4_T5_P12ihipStream_tbEUlRKiE_EESS_SW_SX_mSY_S11_bEUlT_E_NS1_11comp_targetILNS1_3genE5ELNS1_11target_archE942ELNS1_3gpuE9ELNS1_3repE0EEENS1_30default_config_static_selectorELNS0_4arch9wavefront6targetE0EEEvSV_.has_recursion, 0
	.set _ZN7rocprim17ROCPRIM_400000_NS6detail17trampoline_kernelINS0_14default_configENS1_27lower_bound_config_selectorIilEEZNS1_14transform_implILb0ES3_S5_N6thrust23THRUST_200600_302600_NS6detail15normal_iteratorINS8_7pointerIiNS8_11hip_rocprim3tagENS8_11use_defaultESE_EEEENSA_INSB_IlSD_SE_SE_EEEEZNS1_13binary_searchIS3_S5_NSA_INS8_10device_ptrIiEEEESG_SI_NS1_21lower_bound_search_opENS9_16wrapped_functionINS8_7greaterIiEEbEEEE10hipError_tPvRmT1_T2_T3_mmT4_T5_P12ihipStream_tbEUlRKiE_EESS_SW_SX_mSY_S11_bEUlT_E_NS1_11comp_targetILNS1_3genE5ELNS1_11target_archE942ELNS1_3gpuE9ELNS1_3repE0EEENS1_30default_config_static_selectorELNS0_4arch9wavefront6targetE0EEEvSV_.has_indirect_call, 0
	.section	.AMDGPU.csdata,"",@progbits
; Kernel info:
; codeLenInByte = 0
; TotalNumSgprs: 0
; NumVgprs: 0
; ScratchSize: 0
; MemoryBound: 0
; FloatMode: 240
; IeeeMode: 1
; LDSByteSize: 0 bytes/workgroup (compile time only)
; SGPRBlocks: 0
; VGPRBlocks: 0
; NumSGPRsForWavesPerEU: 1
; NumVGPRsForWavesPerEU: 1
; NamedBarCnt: 0
; Occupancy: 16
; WaveLimiterHint : 0
; COMPUTE_PGM_RSRC2:SCRATCH_EN: 0
; COMPUTE_PGM_RSRC2:USER_SGPR: 2
; COMPUTE_PGM_RSRC2:TRAP_HANDLER: 0
; COMPUTE_PGM_RSRC2:TGID_X_EN: 1
; COMPUTE_PGM_RSRC2:TGID_Y_EN: 0
; COMPUTE_PGM_RSRC2:TGID_Z_EN: 0
; COMPUTE_PGM_RSRC2:TIDIG_COMP_CNT: 0
	.section	.text._ZN7rocprim17ROCPRIM_400000_NS6detail17trampoline_kernelINS0_14default_configENS1_27lower_bound_config_selectorIilEEZNS1_14transform_implILb0ES3_S5_N6thrust23THRUST_200600_302600_NS6detail15normal_iteratorINS8_7pointerIiNS8_11hip_rocprim3tagENS8_11use_defaultESE_EEEENSA_INSB_IlSD_SE_SE_EEEEZNS1_13binary_searchIS3_S5_NSA_INS8_10device_ptrIiEEEESG_SI_NS1_21lower_bound_search_opENS9_16wrapped_functionINS8_7greaterIiEEbEEEE10hipError_tPvRmT1_T2_T3_mmT4_T5_P12ihipStream_tbEUlRKiE_EESS_SW_SX_mSY_S11_bEUlT_E_NS1_11comp_targetILNS1_3genE4ELNS1_11target_archE910ELNS1_3gpuE8ELNS1_3repE0EEENS1_30default_config_static_selectorELNS0_4arch9wavefront6targetE0EEEvSV_,"axG",@progbits,_ZN7rocprim17ROCPRIM_400000_NS6detail17trampoline_kernelINS0_14default_configENS1_27lower_bound_config_selectorIilEEZNS1_14transform_implILb0ES3_S5_N6thrust23THRUST_200600_302600_NS6detail15normal_iteratorINS8_7pointerIiNS8_11hip_rocprim3tagENS8_11use_defaultESE_EEEENSA_INSB_IlSD_SE_SE_EEEEZNS1_13binary_searchIS3_S5_NSA_INS8_10device_ptrIiEEEESG_SI_NS1_21lower_bound_search_opENS9_16wrapped_functionINS8_7greaterIiEEbEEEE10hipError_tPvRmT1_T2_T3_mmT4_T5_P12ihipStream_tbEUlRKiE_EESS_SW_SX_mSY_S11_bEUlT_E_NS1_11comp_targetILNS1_3genE4ELNS1_11target_archE910ELNS1_3gpuE8ELNS1_3repE0EEENS1_30default_config_static_selectorELNS0_4arch9wavefront6targetE0EEEvSV_,comdat
	.protected	_ZN7rocprim17ROCPRIM_400000_NS6detail17trampoline_kernelINS0_14default_configENS1_27lower_bound_config_selectorIilEEZNS1_14transform_implILb0ES3_S5_N6thrust23THRUST_200600_302600_NS6detail15normal_iteratorINS8_7pointerIiNS8_11hip_rocprim3tagENS8_11use_defaultESE_EEEENSA_INSB_IlSD_SE_SE_EEEEZNS1_13binary_searchIS3_S5_NSA_INS8_10device_ptrIiEEEESG_SI_NS1_21lower_bound_search_opENS9_16wrapped_functionINS8_7greaterIiEEbEEEE10hipError_tPvRmT1_T2_T3_mmT4_T5_P12ihipStream_tbEUlRKiE_EESS_SW_SX_mSY_S11_bEUlT_E_NS1_11comp_targetILNS1_3genE4ELNS1_11target_archE910ELNS1_3gpuE8ELNS1_3repE0EEENS1_30default_config_static_selectorELNS0_4arch9wavefront6targetE0EEEvSV_ ; -- Begin function _ZN7rocprim17ROCPRIM_400000_NS6detail17trampoline_kernelINS0_14default_configENS1_27lower_bound_config_selectorIilEEZNS1_14transform_implILb0ES3_S5_N6thrust23THRUST_200600_302600_NS6detail15normal_iteratorINS8_7pointerIiNS8_11hip_rocprim3tagENS8_11use_defaultESE_EEEENSA_INSB_IlSD_SE_SE_EEEEZNS1_13binary_searchIS3_S5_NSA_INS8_10device_ptrIiEEEESG_SI_NS1_21lower_bound_search_opENS9_16wrapped_functionINS8_7greaterIiEEbEEEE10hipError_tPvRmT1_T2_T3_mmT4_T5_P12ihipStream_tbEUlRKiE_EESS_SW_SX_mSY_S11_bEUlT_E_NS1_11comp_targetILNS1_3genE4ELNS1_11target_archE910ELNS1_3gpuE8ELNS1_3repE0EEENS1_30default_config_static_selectorELNS0_4arch9wavefront6targetE0EEEvSV_
	.globl	_ZN7rocprim17ROCPRIM_400000_NS6detail17trampoline_kernelINS0_14default_configENS1_27lower_bound_config_selectorIilEEZNS1_14transform_implILb0ES3_S5_N6thrust23THRUST_200600_302600_NS6detail15normal_iteratorINS8_7pointerIiNS8_11hip_rocprim3tagENS8_11use_defaultESE_EEEENSA_INSB_IlSD_SE_SE_EEEEZNS1_13binary_searchIS3_S5_NSA_INS8_10device_ptrIiEEEESG_SI_NS1_21lower_bound_search_opENS9_16wrapped_functionINS8_7greaterIiEEbEEEE10hipError_tPvRmT1_T2_T3_mmT4_T5_P12ihipStream_tbEUlRKiE_EESS_SW_SX_mSY_S11_bEUlT_E_NS1_11comp_targetILNS1_3genE4ELNS1_11target_archE910ELNS1_3gpuE8ELNS1_3repE0EEENS1_30default_config_static_selectorELNS0_4arch9wavefront6targetE0EEEvSV_
	.p2align	8
	.type	_ZN7rocprim17ROCPRIM_400000_NS6detail17trampoline_kernelINS0_14default_configENS1_27lower_bound_config_selectorIilEEZNS1_14transform_implILb0ES3_S5_N6thrust23THRUST_200600_302600_NS6detail15normal_iteratorINS8_7pointerIiNS8_11hip_rocprim3tagENS8_11use_defaultESE_EEEENSA_INSB_IlSD_SE_SE_EEEEZNS1_13binary_searchIS3_S5_NSA_INS8_10device_ptrIiEEEESG_SI_NS1_21lower_bound_search_opENS9_16wrapped_functionINS8_7greaterIiEEbEEEE10hipError_tPvRmT1_T2_T3_mmT4_T5_P12ihipStream_tbEUlRKiE_EESS_SW_SX_mSY_S11_bEUlT_E_NS1_11comp_targetILNS1_3genE4ELNS1_11target_archE910ELNS1_3gpuE8ELNS1_3repE0EEENS1_30default_config_static_selectorELNS0_4arch9wavefront6targetE0EEEvSV_,@function
_ZN7rocprim17ROCPRIM_400000_NS6detail17trampoline_kernelINS0_14default_configENS1_27lower_bound_config_selectorIilEEZNS1_14transform_implILb0ES3_S5_N6thrust23THRUST_200600_302600_NS6detail15normal_iteratorINS8_7pointerIiNS8_11hip_rocprim3tagENS8_11use_defaultESE_EEEENSA_INSB_IlSD_SE_SE_EEEEZNS1_13binary_searchIS3_S5_NSA_INS8_10device_ptrIiEEEESG_SI_NS1_21lower_bound_search_opENS9_16wrapped_functionINS8_7greaterIiEEbEEEE10hipError_tPvRmT1_T2_T3_mmT4_T5_P12ihipStream_tbEUlRKiE_EESS_SW_SX_mSY_S11_bEUlT_E_NS1_11comp_targetILNS1_3genE4ELNS1_11target_archE910ELNS1_3gpuE8ELNS1_3repE0EEENS1_30default_config_static_selectorELNS0_4arch9wavefront6targetE0EEEvSV_: ; @_ZN7rocprim17ROCPRIM_400000_NS6detail17trampoline_kernelINS0_14default_configENS1_27lower_bound_config_selectorIilEEZNS1_14transform_implILb0ES3_S5_N6thrust23THRUST_200600_302600_NS6detail15normal_iteratorINS8_7pointerIiNS8_11hip_rocprim3tagENS8_11use_defaultESE_EEEENSA_INSB_IlSD_SE_SE_EEEEZNS1_13binary_searchIS3_S5_NSA_INS8_10device_ptrIiEEEESG_SI_NS1_21lower_bound_search_opENS9_16wrapped_functionINS8_7greaterIiEEbEEEE10hipError_tPvRmT1_T2_T3_mmT4_T5_P12ihipStream_tbEUlRKiE_EESS_SW_SX_mSY_S11_bEUlT_E_NS1_11comp_targetILNS1_3genE4ELNS1_11target_archE910ELNS1_3gpuE8ELNS1_3repE0EEENS1_30default_config_static_selectorELNS0_4arch9wavefront6targetE0EEEvSV_
; %bb.0:
	.section	.rodata,"a",@progbits
	.p2align	6, 0x0
	.amdhsa_kernel _ZN7rocprim17ROCPRIM_400000_NS6detail17trampoline_kernelINS0_14default_configENS1_27lower_bound_config_selectorIilEEZNS1_14transform_implILb0ES3_S5_N6thrust23THRUST_200600_302600_NS6detail15normal_iteratorINS8_7pointerIiNS8_11hip_rocprim3tagENS8_11use_defaultESE_EEEENSA_INSB_IlSD_SE_SE_EEEEZNS1_13binary_searchIS3_S5_NSA_INS8_10device_ptrIiEEEESG_SI_NS1_21lower_bound_search_opENS9_16wrapped_functionINS8_7greaterIiEEbEEEE10hipError_tPvRmT1_T2_T3_mmT4_T5_P12ihipStream_tbEUlRKiE_EESS_SW_SX_mSY_S11_bEUlT_E_NS1_11comp_targetILNS1_3genE4ELNS1_11target_archE910ELNS1_3gpuE8ELNS1_3repE0EEENS1_30default_config_static_selectorELNS0_4arch9wavefront6targetE0EEEvSV_
		.amdhsa_group_segment_fixed_size 0
		.amdhsa_private_segment_fixed_size 0
		.amdhsa_kernarg_size 56
		.amdhsa_user_sgpr_count 2
		.amdhsa_user_sgpr_dispatch_ptr 0
		.amdhsa_user_sgpr_queue_ptr 0
		.amdhsa_user_sgpr_kernarg_segment_ptr 1
		.amdhsa_user_sgpr_dispatch_id 0
		.amdhsa_user_sgpr_kernarg_preload_length 0
		.amdhsa_user_sgpr_kernarg_preload_offset 0
		.amdhsa_user_sgpr_private_segment_size 0
		.amdhsa_wavefront_size32 1
		.amdhsa_uses_dynamic_stack 0
		.amdhsa_enable_private_segment 0
		.amdhsa_system_sgpr_workgroup_id_x 1
		.amdhsa_system_sgpr_workgroup_id_y 0
		.amdhsa_system_sgpr_workgroup_id_z 0
		.amdhsa_system_sgpr_workgroup_info 0
		.amdhsa_system_vgpr_workitem_id 0
		.amdhsa_next_free_vgpr 1
		.amdhsa_next_free_sgpr 1
		.amdhsa_named_barrier_count 0
		.amdhsa_reserve_vcc 0
		.amdhsa_float_round_mode_32 0
		.amdhsa_float_round_mode_16_64 0
		.amdhsa_float_denorm_mode_32 3
		.amdhsa_float_denorm_mode_16_64 3
		.amdhsa_fp16_overflow 0
		.amdhsa_memory_ordered 1
		.amdhsa_forward_progress 1
		.amdhsa_inst_pref_size 0
		.amdhsa_round_robin_scheduling 0
		.amdhsa_exception_fp_ieee_invalid_op 0
		.amdhsa_exception_fp_denorm_src 0
		.amdhsa_exception_fp_ieee_div_zero 0
		.amdhsa_exception_fp_ieee_overflow 0
		.amdhsa_exception_fp_ieee_underflow 0
		.amdhsa_exception_fp_ieee_inexact 0
		.amdhsa_exception_int_div_zero 0
	.end_amdhsa_kernel
	.section	.text._ZN7rocprim17ROCPRIM_400000_NS6detail17trampoline_kernelINS0_14default_configENS1_27lower_bound_config_selectorIilEEZNS1_14transform_implILb0ES3_S5_N6thrust23THRUST_200600_302600_NS6detail15normal_iteratorINS8_7pointerIiNS8_11hip_rocprim3tagENS8_11use_defaultESE_EEEENSA_INSB_IlSD_SE_SE_EEEEZNS1_13binary_searchIS3_S5_NSA_INS8_10device_ptrIiEEEESG_SI_NS1_21lower_bound_search_opENS9_16wrapped_functionINS8_7greaterIiEEbEEEE10hipError_tPvRmT1_T2_T3_mmT4_T5_P12ihipStream_tbEUlRKiE_EESS_SW_SX_mSY_S11_bEUlT_E_NS1_11comp_targetILNS1_3genE4ELNS1_11target_archE910ELNS1_3gpuE8ELNS1_3repE0EEENS1_30default_config_static_selectorELNS0_4arch9wavefront6targetE0EEEvSV_,"axG",@progbits,_ZN7rocprim17ROCPRIM_400000_NS6detail17trampoline_kernelINS0_14default_configENS1_27lower_bound_config_selectorIilEEZNS1_14transform_implILb0ES3_S5_N6thrust23THRUST_200600_302600_NS6detail15normal_iteratorINS8_7pointerIiNS8_11hip_rocprim3tagENS8_11use_defaultESE_EEEENSA_INSB_IlSD_SE_SE_EEEEZNS1_13binary_searchIS3_S5_NSA_INS8_10device_ptrIiEEEESG_SI_NS1_21lower_bound_search_opENS9_16wrapped_functionINS8_7greaterIiEEbEEEE10hipError_tPvRmT1_T2_T3_mmT4_T5_P12ihipStream_tbEUlRKiE_EESS_SW_SX_mSY_S11_bEUlT_E_NS1_11comp_targetILNS1_3genE4ELNS1_11target_archE910ELNS1_3gpuE8ELNS1_3repE0EEENS1_30default_config_static_selectorELNS0_4arch9wavefront6targetE0EEEvSV_,comdat
.Lfunc_end23:
	.size	_ZN7rocprim17ROCPRIM_400000_NS6detail17trampoline_kernelINS0_14default_configENS1_27lower_bound_config_selectorIilEEZNS1_14transform_implILb0ES3_S5_N6thrust23THRUST_200600_302600_NS6detail15normal_iteratorINS8_7pointerIiNS8_11hip_rocprim3tagENS8_11use_defaultESE_EEEENSA_INSB_IlSD_SE_SE_EEEEZNS1_13binary_searchIS3_S5_NSA_INS8_10device_ptrIiEEEESG_SI_NS1_21lower_bound_search_opENS9_16wrapped_functionINS8_7greaterIiEEbEEEE10hipError_tPvRmT1_T2_T3_mmT4_T5_P12ihipStream_tbEUlRKiE_EESS_SW_SX_mSY_S11_bEUlT_E_NS1_11comp_targetILNS1_3genE4ELNS1_11target_archE910ELNS1_3gpuE8ELNS1_3repE0EEENS1_30default_config_static_selectorELNS0_4arch9wavefront6targetE0EEEvSV_, .Lfunc_end23-_ZN7rocprim17ROCPRIM_400000_NS6detail17trampoline_kernelINS0_14default_configENS1_27lower_bound_config_selectorIilEEZNS1_14transform_implILb0ES3_S5_N6thrust23THRUST_200600_302600_NS6detail15normal_iteratorINS8_7pointerIiNS8_11hip_rocprim3tagENS8_11use_defaultESE_EEEENSA_INSB_IlSD_SE_SE_EEEEZNS1_13binary_searchIS3_S5_NSA_INS8_10device_ptrIiEEEESG_SI_NS1_21lower_bound_search_opENS9_16wrapped_functionINS8_7greaterIiEEbEEEE10hipError_tPvRmT1_T2_T3_mmT4_T5_P12ihipStream_tbEUlRKiE_EESS_SW_SX_mSY_S11_bEUlT_E_NS1_11comp_targetILNS1_3genE4ELNS1_11target_archE910ELNS1_3gpuE8ELNS1_3repE0EEENS1_30default_config_static_selectorELNS0_4arch9wavefront6targetE0EEEvSV_
                                        ; -- End function
	.set _ZN7rocprim17ROCPRIM_400000_NS6detail17trampoline_kernelINS0_14default_configENS1_27lower_bound_config_selectorIilEEZNS1_14transform_implILb0ES3_S5_N6thrust23THRUST_200600_302600_NS6detail15normal_iteratorINS8_7pointerIiNS8_11hip_rocprim3tagENS8_11use_defaultESE_EEEENSA_INSB_IlSD_SE_SE_EEEEZNS1_13binary_searchIS3_S5_NSA_INS8_10device_ptrIiEEEESG_SI_NS1_21lower_bound_search_opENS9_16wrapped_functionINS8_7greaterIiEEbEEEE10hipError_tPvRmT1_T2_T3_mmT4_T5_P12ihipStream_tbEUlRKiE_EESS_SW_SX_mSY_S11_bEUlT_E_NS1_11comp_targetILNS1_3genE4ELNS1_11target_archE910ELNS1_3gpuE8ELNS1_3repE0EEENS1_30default_config_static_selectorELNS0_4arch9wavefront6targetE0EEEvSV_.num_vgpr, 0
	.set _ZN7rocprim17ROCPRIM_400000_NS6detail17trampoline_kernelINS0_14default_configENS1_27lower_bound_config_selectorIilEEZNS1_14transform_implILb0ES3_S5_N6thrust23THRUST_200600_302600_NS6detail15normal_iteratorINS8_7pointerIiNS8_11hip_rocprim3tagENS8_11use_defaultESE_EEEENSA_INSB_IlSD_SE_SE_EEEEZNS1_13binary_searchIS3_S5_NSA_INS8_10device_ptrIiEEEESG_SI_NS1_21lower_bound_search_opENS9_16wrapped_functionINS8_7greaterIiEEbEEEE10hipError_tPvRmT1_T2_T3_mmT4_T5_P12ihipStream_tbEUlRKiE_EESS_SW_SX_mSY_S11_bEUlT_E_NS1_11comp_targetILNS1_3genE4ELNS1_11target_archE910ELNS1_3gpuE8ELNS1_3repE0EEENS1_30default_config_static_selectorELNS0_4arch9wavefront6targetE0EEEvSV_.num_agpr, 0
	.set _ZN7rocprim17ROCPRIM_400000_NS6detail17trampoline_kernelINS0_14default_configENS1_27lower_bound_config_selectorIilEEZNS1_14transform_implILb0ES3_S5_N6thrust23THRUST_200600_302600_NS6detail15normal_iteratorINS8_7pointerIiNS8_11hip_rocprim3tagENS8_11use_defaultESE_EEEENSA_INSB_IlSD_SE_SE_EEEEZNS1_13binary_searchIS3_S5_NSA_INS8_10device_ptrIiEEEESG_SI_NS1_21lower_bound_search_opENS9_16wrapped_functionINS8_7greaterIiEEbEEEE10hipError_tPvRmT1_T2_T3_mmT4_T5_P12ihipStream_tbEUlRKiE_EESS_SW_SX_mSY_S11_bEUlT_E_NS1_11comp_targetILNS1_3genE4ELNS1_11target_archE910ELNS1_3gpuE8ELNS1_3repE0EEENS1_30default_config_static_selectorELNS0_4arch9wavefront6targetE0EEEvSV_.numbered_sgpr, 0
	.set _ZN7rocprim17ROCPRIM_400000_NS6detail17trampoline_kernelINS0_14default_configENS1_27lower_bound_config_selectorIilEEZNS1_14transform_implILb0ES3_S5_N6thrust23THRUST_200600_302600_NS6detail15normal_iteratorINS8_7pointerIiNS8_11hip_rocprim3tagENS8_11use_defaultESE_EEEENSA_INSB_IlSD_SE_SE_EEEEZNS1_13binary_searchIS3_S5_NSA_INS8_10device_ptrIiEEEESG_SI_NS1_21lower_bound_search_opENS9_16wrapped_functionINS8_7greaterIiEEbEEEE10hipError_tPvRmT1_T2_T3_mmT4_T5_P12ihipStream_tbEUlRKiE_EESS_SW_SX_mSY_S11_bEUlT_E_NS1_11comp_targetILNS1_3genE4ELNS1_11target_archE910ELNS1_3gpuE8ELNS1_3repE0EEENS1_30default_config_static_selectorELNS0_4arch9wavefront6targetE0EEEvSV_.num_named_barrier, 0
	.set _ZN7rocprim17ROCPRIM_400000_NS6detail17trampoline_kernelINS0_14default_configENS1_27lower_bound_config_selectorIilEEZNS1_14transform_implILb0ES3_S5_N6thrust23THRUST_200600_302600_NS6detail15normal_iteratorINS8_7pointerIiNS8_11hip_rocprim3tagENS8_11use_defaultESE_EEEENSA_INSB_IlSD_SE_SE_EEEEZNS1_13binary_searchIS3_S5_NSA_INS8_10device_ptrIiEEEESG_SI_NS1_21lower_bound_search_opENS9_16wrapped_functionINS8_7greaterIiEEbEEEE10hipError_tPvRmT1_T2_T3_mmT4_T5_P12ihipStream_tbEUlRKiE_EESS_SW_SX_mSY_S11_bEUlT_E_NS1_11comp_targetILNS1_3genE4ELNS1_11target_archE910ELNS1_3gpuE8ELNS1_3repE0EEENS1_30default_config_static_selectorELNS0_4arch9wavefront6targetE0EEEvSV_.private_seg_size, 0
	.set _ZN7rocprim17ROCPRIM_400000_NS6detail17trampoline_kernelINS0_14default_configENS1_27lower_bound_config_selectorIilEEZNS1_14transform_implILb0ES3_S5_N6thrust23THRUST_200600_302600_NS6detail15normal_iteratorINS8_7pointerIiNS8_11hip_rocprim3tagENS8_11use_defaultESE_EEEENSA_INSB_IlSD_SE_SE_EEEEZNS1_13binary_searchIS3_S5_NSA_INS8_10device_ptrIiEEEESG_SI_NS1_21lower_bound_search_opENS9_16wrapped_functionINS8_7greaterIiEEbEEEE10hipError_tPvRmT1_T2_T3_mmT4_T5_P12ihipStream_tbEUlRKiE_EESS_SW_SX_mSY_S11_bEUlT_E_NS1_11comp_targetILNS1_3genE4ELNS1_11target_archE910ELNS1_3gpuE8ELNS1_3repE0EEENS1_30default_config_static_selectorELNS0_4arch9wavefront6targetE0EEEvSV_.uses_vcc, 0
	.set _ZN7rocprim17ROCPRIM_400000_NS6detail17trampoline_kernelINS0_14default_configENS1_27lower_bound_config_selectorIilEEZNS1_14transform_implILb0ES3_S5_N6thrust23THRUST_200600_302600_NS6detail15normal_iteratorINS8_7pointerIiNS8_11hip_rocprim3tagENS8_11use_defaultESE_EEEENSA_INSB_IlSD_SE_SE_EEEEZNS1_13binary_searchIS3_S5_NSA_INS8_10device_ptrIiEEEESG_SI_NS1_21lower_bound_search_opENS9_16wrapped_functionINS8_7greaterIiEEbEEEE10hipError_tPvRmT1_T2_T3_mmT4_T5_P12ihipStream_tbEUlRKiE_EESS_SW_SX_mSY_S11_bEUlT_E_NS1_11comp_targetILNS1_3genE4ELNS1_11target_archE910ELNS1_3gpuE8ELNS1_3repE0EEENS1_30default_config_static_selectorELNS0_4arch9wavefront6targetE0EEEvSV_.uses_flat_scratch, 0
	.set _ZN7rocprim17ROCPRIM_400000_NS6detail17trampoline_kernelINS0_14default_configENS1_27lower_bound_config_selectorIilEEZNS1_14transform_implILb0ES3_S5_N6thrust23THRUST_200600_302600_NS6detail15normal_iteratorINS8_7pointerIiNS8_11hip_rocprim3tagENS8_11use_defaultESE_EEEENSA_INSB_IlSD_SE_SE_EEEEZNS1_13binary_searchIS3_S5_NSA_INS8_10device_ptrIiEEEESG_SI_NS1_21lower_bound_search_opENS9_16wrapped_functionINS8_7greaterIiEEbEEEE10hipError_tPvRmT1_T2_T3_mmT4_T5_P12ihipStream_tbEUlRKiE_EESS_SW_SX_mSY_S11_bEUlT_E_NS1_11comp_targetILNS1_3genE4ELNS1_11target_archE910ELNS1_3gpuE8ELNS1_3repE0EEENS1_30default_config_static_selectorELNS0_4arch9wavefront6targetE0EEEvSV_.has_dyn_sized_stack, 0
	.set _ZN7rocprim17ROCPRIM_400000_NS6detail17trampoline_kernelINS0_14default_configENS1_27lower_bound_config_selectorIilEEZNS1_14transform_implILb0ES3_S5_N6thrust23THRUST_200600_302600_NS6detail15normal_iteratorINS8_7pointerIiNS8_11hip_rocprim3tagENS8_11use_defaultESE_EEEENSA_INSB_IlSD_SE_SE_EEEEZNS1_13binary_searchIS3_S5_NSA_INS8_10device_ptrIiEEEESG_SI_NS1_21lower_bound_search_opENS9_16wrapped_functionINS8_7greaterIiEEbEEEE10hipError_tPvRmT1_T2_T3_mmT4_T5_P12ihipStream_tbEUlRKiE_EESS_SW_SX_mSY_S11_bEUlT_E_NS1_11comp_targetILNS1_3genE4ELNS1_11target_archE910ELNS1_3gpuE8ELNS1_3repE0EEENS1_30default_config_static_selectorELNS0_4arch9wavefront6targetE0EEEvSV_.has_recursion, 0
	.set _ZN7rocprim17ROCPRIM_400000_NS6detail17trampoline_kernelINS0_14default_configENS1_27lower_bound_config_selectorIilEEZNS1_14transform_implILb0ES3_S5_N6thrust23THRUST_200600_302600_NS6detail15normal_iteratorINS8_7pointerIiNS8_11hip_rocprim3tagENS8_11use_defaultESE_EEEENSA_INSB_IlSD_SE_SE_EEEEZNS1_13binary_searchIS3_S5_NSA_INS8_10device_ptrIiEEEESG_SI_NS1_21lower_bound_search_opENS9_16wrapped_functionINS8_7greaterIiEEbEEEE10hipError_tPvRmT1_T2_T3_mmT4_T5_P12ihipStream_tbEUlRKiE_EESS_SW_SX_mSY_S11_bEUlT_E_NS1_11comp_targetILNS1_3genE4ELNS1_11target_archE910ELNS1_3gpuE8ELNS1_3repE0EEENS1_30default_config_static_selectorELNS0_4arch9wavefront6targetE0EEEvSV_.has_indirect_call, 0
	.section	.AMDGPU.csdata,"",@progbits
; Kernel info:
; codeLenInByte = 0
; TotalNumSgprs: 0
; NumVgprs: 0
; ScratchSize: 0
; MemoryBound: 0
; FloatMode: 240
; IeeeMode: 1
; LDSByteSize: 0 bytes/workgroup (compile time only)
; SGPRBlocks: 0
; VGPRBlocks: 0
; NumSGPRsForWavesPerEU: 1
; NumVGPRsForWavesPerEU: 1
; NamedBarCnt: 0
; Occupancy: 16
; WaveLimiterHint : 0
; COMPUTE_PGM_RSRC2:SCRATCH_EN: 0
; COMPUTE_PGM_RSRC2:USER_SGPR: 2
; COMPUTE_PGM_RSRC2:TRAP_HANDLER: 0
; COMPUTE_PGM_RSRC2:TGID_X_EN: 1
; COMPUTE_PGM_RSRC2:TGID_Y_EN: 0
; COMPUTE_PGM_RSRC2:TGID_Z_EN: 0
; COMPUTE_PGM_RSRC2:TIDIG_COMP_CNT: 0
	.section	.text._ZN7rocprim17ROCPRIM_400000_NS6detail17trampoline_kernelINS0_14default_configENS1_27lower_bound_config_selectorIilEEZNS1_14transform_implILb0ES3_S5_N6thrust23THRUST_200600_302600_NS6detail15normal_iteratorINS8_7pointerIiNS8_11hip_rocprim3tagENS8_11use_defaultESE_EEEENSA_INSB_IlSD_SE_SE_EEEEZNS1_13binary_searchIS3_S5_NSA_INS8_10device_ptrIiEEEESG_SI_NS1_21lower_bound_search_opENS9_16wrapped_functionINS8_7greaterIiEEbEEEE10hipError_tPvRmT1_T2_T3_mmT4_T5_P12ihipStream_tbEUlRKiE_EESS_SW_SX_mSY_S11_bEUlT_E_NS1_11comp_targetILNS1_3genE3ELNS1_11target_archE908ELNS1_3gpuE7ELNS1_3repE0EEENS1_30default_config_static_selectorELNS0_4arch9wavefront6targetE0EEEvSV_,"axG",@progbits,_ZN7rocprim17ROCPRIM_400000_NS6detail17trampoline_kernelINS0_14default_configENS1_27lower_bound_config_selectorIilEEZNS1_14transform_implILb0ES3_S5_N6thrust23THRUST_200600_302600_NS6detail15normal_iteratorINS8_7pointerIiNS8_11hip_rocprim3tagENS8_11use_defaultESE_EEEENSA_INSB_IlSD_SE_SE_EEEEZNS1_13binary_searchIS3_S5_NSA_INS8_10device_ptrIiEEEESG_SI_NS1_21lower_bound_search_opENS9_16wrapped_functionINS8_7greaterIiEEbEEEE10hipError_tPvRmT1_T2_T3_mmT4_T5_P12ihipStream_tbEUlRKiE_EESS_SW_SX_mSY_S11_bEUlT_E_NS1_11comp_targetILNS1_3genE3ELNS1_11target_archE908ELNS1_3gpuE7ELNS1_3repE0EEENS1_30default_config_static_selectorELNS0_4arch9wavefront6targetE0EEEvSV_,comdat
	.protected	_ZN7rocprim17ROCPRIM_400000_NS6detail17trampoline_kernelINS0_14default_configENS1_27lower_bound_config_selectorIilEEZNS1_14transform_implILb0ES3_S5_N6thrust23THRUST_200600_302600_NS6detail15normal_iteratorINS8_7pointerIiNS8_11hip_rocprim3tagENS8_11use_defaultESE_EEEENSA_INSB_IlSD_SE_SE_EEEEZNS1_13binary_searchIS3_S5_NSA_INS8_10device_ptrIiEEEESG_SI_NS1_21lower_bound_search_opENS9_16wrapped_functionINS8_7greaterIiEEbEEEE10hipError_tPvRmT1_T2_T3_mmT4_T5_P12ihipStream_tbEUlRKiE_EESS_SW_SX_mSY_S11_bEUlT_E_NS1_11comp_targetILNS1_3genE3ELNS1_11target_archE908ELNS1_3gpuE7ELNS1_3repE0EEENS1_30default_config_static_selectorELNS0_4arch9wavefront6targetE0EEEvSV_ ; -- Begin function _ZN7rocprim17ROCPRIM_400000_NS6detail17trampoline_kernelINS0_14default_configENS1_27lower_bound_config_selectorIilEEZNS1_14transform_implILb0ES3_S5_N6thrust23THRUST_200600_302600_NS6detail15normal_iteratorINS8_7pointerIiNS8_11hip_rocprim3tagENS8_11use_defaultESE_EEEENSA_INSB_IlSD_SE_SE_EEEEZNS1_13binary_searchIS3_S5_NSA_INS8_10device_ptrIiEEEESG_SI_NS1_21lower_bound_search_opENS9_16wrapped_functionINS8_7greaterIiEEbEEEE10hipError_tPvRmT1_T2_T3_mmT4_T5_P12ihipStream_tbEUlRKiE_EESS_SW_SX_mSY_S11_bEUlT_E_NS1_11comp_targetILNS1_3genE3ELNS1_11target_archE908ELNS1_3gpuE7ELNS1_3repE0EEENS1_30default_config_static_selectorELNS0_4arch9wavefront6targetE0EEEvSV_
	.globl	_ZN7rocprim17ROCPRIM_400000_NS6detail17trampoline_kernelINS0_14default_configENS1_27lower_bound_config_selectorIilEEZNS1_14transform_implILb0ES3_S5_N6thrust23THRUST_200600_302600_NS6detail15normal_iteratorINS8_7pointerIiNS8_11hip_rocprim3tagENS8_11use_defaultESE_EEEENSA_INSB_IlSD_SE_SE_EEEEZNS1_13binary_searchIS3_S5_NSA_INS8_10device_ptrIiEEEESG_SI_NS1_21lower_bound_search_opENS9_16wrapped_functionINS8_7greaterIiEEbEEEE10hipError_tPvRmT1_T2_T3_mmT4_T5_P12ihipStream_tbEUlRKiE_EESS_SW_SX_mSY_S11_bEUlT_E_NS1_11comp_targetILNS1_3genE3ELNS1_11target_archE908ELNS1_3gpuE7ELNS1_3repE0EEENS1_30default_config_static_selectorELNS0_4arch9wavefront6targetE0EEEvSV_
	.p2align	8
	.type	_ZN7rocprim17ROCPRIM_400000_NS6detail17trampoline_kernelINS0_14default_configENS1_27lower_bound_config_selectorIilEEZNS1_14transform_implILb0ES3_S5_N6thrust23THRUST_200600_302600_NS6detail15normal_iteratorINS8_7pointerIiNS8_11hip_rocprim3tagENS8_11use_defaultESE_EEEENSA_INSB_IlSD_SE_SE_EEEEZNS1_13binary_searchIS3_S5_NSA_INS8_10device_ptrIiEEEESG_SI_NS1_21lower_bound_search_opENS9_16wrapped_functionINS8_7greaterIiEEbEEEE10hipError_tPvRmT1_T2_T3_mmT4_T5_P12ihipStream_tbEUlRKiE_EESS_SW_SX_mSY_S11_bEUlT_E_NS1_11comp_targetILNS1_3genE3ELNS1_11target_archE908ELNS1_3gpuE7ELNS1_3repE0EEENS1_30default_config_static_selectorELNS0_4arch9wavefront6targetE0EEEvSV_,@function
_ZN7rocprim17ROCPRIM_400000_NS6detail17trampoline_kernelINS0_14default_configENS1_27lower_bound_config_selectorIilEEZNS1_14transform_implILb0ES3_S5_N6thrust23THRUST_200600_302600_NS6detail15normal_iteratorINS8_7pointerIiNS8_11hip_rocprim3tagENS8_11use_defaultESE_EEEENSA_INSB_IlSD_SE_SE_EEEEZNS1_13binary_searchIS3_S5_NSA_INS8_10device_ptrIiEEEESG_SI_NS1_21lower_bound_search_opENS9_16wrapped_functionINS8_7greaterIiEEbEEEE10hipError_tPvRmT1_T2_T3_mmT4_T5_P12ihipStream_tbEUlRKiE_EESS_SW_SX_mSY_S11_bEUlT_E_NS1_11comp_targetILNS1_3genE3ELNS1_11target_archE908ELNS1_3gpuE7ELNS1_3repE0EEENS1_30default_config_static_selectorELNS0_4arch9wavefront6targetE0EEEvSV_: ; @_ZN7rocprim17ROCPRIM_400000_NS6detail17trampoline_kernelINS0_14default_configENS1_27lower_bound_config_selectorIilEEZNS1_14transform_implILb0ES3_S5_N6thrust23THRUST_200600_302600_NS6detail15normal_iteratorINS8_7pointerIiNS8_11hip_rocprim3tagENS8_11use_defaultESE_EEEENSA_INSB_IlSD_SE_SE_EEEEZNS1_13binary_searchIS3_S5_NSA_INS8_10device_ptrIiEEEESG_SI_NS1_21lower_bound_search_opENS9_16wrapped_functionINS8_7greaterIiEEbEEEE10hipError_tPvRmT1_T2_T3_mmT4_T5_P12ihipStream_tbEUlRKiE_EESS_SW_SX_mSY_S11_bEUlT_E_NS1_11comp_targetILNS1_3genE3ELNS1_11target_archE908ELNS1_3gpuE7ELNS1_3repE0EEENS1_30default_config_static_selectorELNS0_4arch9wavefront6targetE0EEEvSV_
; %bb.0:
	.section	.rodata,"a",@progbits
	.p2align	6, 0x0
	.amdhsa_kernel _ZN7rocprim17ROCPRIM_400000_NS6detail17trampoline_kernelINS0_14default_configENS1_27lower_bound_config_selectorIilEEZNS1_14transform_implILb0ES3_S5_N6thrust23THRUST_200600_302600_NS6detail15normal_iteratorINS8_7pointerIiNS8_11hip_rocprim3tagENS8_11use_defaultESE_EEEENSA_INSB_IlSD_SE_SE_EEEEZNS1_13binary_searchIS3_S5_NSA_INS8_10device_ptrIiEEEESG_SI_NS1_21lower_bound_search_opENS9_16wrapped_functionINS8_7greaterIiEEbEEEE10hipError_tPvRmT1_T2_T3_mmT4_T5_P12ihipStream_tbEUlRKiE_EESS_SW_SX_mSY_S11_bEUlT_E_NS1_11comp_targetILNS1_3genE3ELNS1_11target_archE908ELNS1_3gpuE7ELNS1_3repE0EEENS1_30default_config_static_selectorELNS0_4arch9wavefront6targetE0EEEvSV_
		.amdhsa_group_segment_fixed_size 0
		.amdhsa_private_segment_fixed_size 0
		.amdhsa_kernarg_size 56
		.amdhsa_user_sgpr_count 2
		.amdhsa_user_sgpr_dispatch_ptr 0
		.amdhsa_user_sgpr_queue_ptr 0
		.amdhsa_user_sgpr_kernarg_segment_ptr 1
		.amdhsa_user_sgpr_dispatch_id 0
		.amdhsa_user_sgpr_kernarg_preload_length 0
		.amdhsa_user_sgpr_kernarg_preload_offset 0
		.amdhsa_user_sgpr_private_segment_size 0
		.amdhsa_wavefront_size32 1
		.amdhsa_uses_dynamic_stack 0
		.amdhsa_enable_private_segment 0
		.amdhsa_system_sgpr_workgroup_id_x 1
		.amdhsa_system_sgpr_workgroup_id_y 0
		.amdhsa_system_sgpr_workgroup_id_z 0
		.amdhsa_system_sgpr_workgroup_info 0
		.amdhsa_system_vgpr_workitem_id 0
		.amdhsa_next_free_vgpr 1
		.amdhsa_next_free_sgpr 1
		.amdhsa_named_barrier_count 0
		.amdhsa_reserve_vcc 0
		.amdhsa_float_round_mode_32 0
		.amdhsa_float_round_mode_16_64 0
		.amdhsa_float_denorm_mode_32 3
		.amdhsa_float_denorm_mode_16_64 3
		.amdhsa_fp16_overflow 0
		.amdhsa_memory_ordered 1
		.amdhsa_forward_progress 1
		.amdhsa_inst_pref_size 0
		.amdhsa_round_robin_scheduling 0
		.amdhsa_exception_fp_ieee_invalid_op 0
		.amdhsa_exception_fp_denorm_src 0
		.amdhsa_exception_fp_ieee_div_zero 0
		.amdhsa_exception_fp_ieee_overflow 0
		.amdhsa_exception_fp_ieee_underflow 0
		.amdhsa_exception_fp_ieee_inexact 0
		.amdhsa_exception_int_div_zero 0
	.end_amdhsa_kernel
	.section	.text._ZN7rocprim17ROCPRIM_400000_NS6detail17trampoline_kernelINS0_14default_configENS1_27lower_bound_config_selectorIilEEZNS1_14transform_implILb0ES3_S5_N6thrust23THRUST_200600_302600_NS6detail15normal_iteratorINS8_7pointerIiNS8_11hip_rocprim3tagENS8_11use_defaultESE_EEEENSA_INSB_IlSD_SE_SE_EEEEZNS1_13binary_searchIS3_S5_NSA_INS8_10device_ptrIiEEEESG_SI_NS1_21lower_bound_search_opENS9_16wrapped_functionINS8_7greaterIiEEbEEEE10hipError_tPvRmT1_T2_T3_mmT4_T5_P12ihipStream_tbEUlRKiE_EESS_SW_SX_mSY_S11_bEUlT_E_NS1_11comp_targetILNS1_3genE3ELNS1_11target_archE908ELNS1_3gpuE7ELNS1_3repE0EEENS1_30default_config_static_selectorELNS0_4arch9wavefront6targetE0EEEvSV_,"axG",@progbits,_ZN7rocprim17ROCPRIM_400000_NS6detail17trampoline_kernelINS0_14default_configENS1_27lower_bound_config_selectorIilEEZNS1_14transform_implILb0ES3_S5_N6thrust23THRUST_200600_302600_NS6detail15normal_iteratorINS8_7pointerIiNS8_11hip_rocprim3tagENS8_11use_defaultESE_EEEENSA_INSB_IlSD_SE_SE_EEEEZNS1_13binary_searchIS3_S5_NSA_INS8_10device_ptrIiEEEESG_SI_NS1_21lower_bound_search_opENS9_16wrapped_functionINS8_7greaterIiEEbEEEE10hipError_tPvRmT1_T2_T3_mmT4_T5_P12ihipStream_tbEUlRKiE_EESS_SW_SX_mSY_S11_bEUlT_E_NS1_11comp_targetILNS1_3genE3ELNS1_11target_archE908ELNS1_3gpuE7ELNS1_3repE0EEENS1_30default_config_static_selectorELNS0_4arch9wavefront6targetE0EEEvSV_,comdat
.Lfunc_end24:
	.size	_ZN7rocprim17ROCPRIM_400000_NS6detail17trampoline_kernelINS0_14default_configENS1_27lower_bound_config_selectorIilEEZNS1_14transform_implILb0ES3_S5_N6thrust23THRUST_200600_302600_NS6detail15normal_iteratorINS8_7pointerIiNS8_11hip_rocprim3tagENS8_11use_defaultESE_EEEENSA_INSB_IlSD_SE_SE_EEEEZNS1_13binary_searchIS3_S5_NSA_INS8_10device_ptrIiEEEESG_SI_NS1_21lower_bound_search_opENS9_16wrapped_functionINS8_7greaterIiEEbEEEE10hipError_tPvRmT1_T2_T3_mmT4_T5_P12ihipStream_tbEUlRKiE_EESS_SW_SX_mSY_S11_bEUlT_E_NS1_11comp_targetILNS1_3genE3ELNS1_11target_archE908ELNS1_3gpuE7ELNS1_3repE0EEENS1_30default_config_static_selectorELNS0_4arch9wavefront6targetE0EEEvSV_, .Lfunc_end24-_ZN7rocprim17ROCPRIM_400000_NS6detail17trampoline_kernelINS0_14default_configENS1_27lower_bound_config_selectorIilEEZNS1_14transform_implILb0ES3_S5_N6thrust23THRUST_200600_302600_NS6detail15normal_iteratorINS8_7pointerIiNS8_11hip_rocprim3tagENS8_11use_defaultESE_EEEENSA_INSB_IlSD_SE_SE_EEEEZNS1_13binary_searchIS3_S5_NSA_INS8_10device_ptrIiEEEESG_SI_NS1_21lower_bound_search_opENS9_16wrapped_functionINS8_7greaterIiEEbEEEE10hipError_tPvRmT1_T2_T3_mmT4_T5_P12ihipStream_tbEUlRKiE_EESS_SW_SX_mSY_S11_bEUlT_E_NS1_11comp_targetILNS1_3genE3ELNS1_11target_archE908ELNS1_3gpuE7ELNS1_3repE0EEENS1_30default_config_static_selectorELNS0_4arch9wavefront6targetE0EEEvSV_
                                        ; -- End function
	.set _ZN7rocprim17ROCPRIM_400000_NS6detail17trampoline_kernelINS0_14default_configENS1_27lower_bound_config_selectorIilEEZNS1_14transform_implILb0ES3_S5_N6thrust23THRUST_200600_302600_NS6detail15normal_iteratorINS8_7pointerIiNS8_11hip_rocprim3tagENS8_11use_defaultESE_EEEENSA_INSB_IlSD_SE_SE_EEEEZNS1_13binary_searchIS3_S5_NSA_INS8_10device_ptrIiEEEESG_SI_NS1_21lower_bound_search_opENS9_16wrapped_functionINS8_7greaterIiEEbEEEE10hipError_tPvRmT1_T2_T3_mmT4_T5_P12ihipStream_tbEUlRKiE_EESS_SW_SX_mSY_S11_bEUlT_E_NS1_11comp_targetILNS1_3genE3ELNS1_11target_archE908ELNS1_3gpuE7ELNS1_3repE0EEENS1_30default_config_static_selectorELNS0_4arch9wavefront6targetE0EEEvSV_.num_vgpr, 0
	.set _ZN7rocprim17ROCPRIM_400000_NS6detail17trampoline_kernelINS0_14default_configENS1_27lower_bound_config_selectorIilEEZNS1_14transform_implILb0ES3_S5_N6thrust23THRUST_200600_302600_NS6detail15normal_iteratorINS8_7pointerIiNS8_11hip_rocprim3tagENS8_11use_defaultESE_EEEENSA_INSB_IlSD_SE_SE_EEEEZNS1_13binary_searchIS3_S5_NSA_INS8_10device_ptrIiEEEESG_SI_NS1_21lower_bound_search_opENS9_16wrapped_functionINS8_7greaterIiEEbEEEE10hipError_tPvRmT1_T2_T3_mmT4_T5_P12ihipStream_tbEUlRKiE_EESS_SW_SX_mSY_S11_bEUlT_E_NS1_11comp_targetILNS1_3genE3ELNS1_11target_archE908ELNS1_3gpuE7ELNS1_3repE0EEENS1_30default_config_static_selectorELNS0_4arch9wavefront6targetE0EEEvSV_.num_agpr, 0
	.set _ZN7rocprim17ROCPRIM_400000_NS6detail17trampoline_kernelINS0_14default_configENS1_27lower_bound_config_selectorIilEEZNS1_14transform_implILb0ES3_S5_N6thrust23THRUST_200600_302600_NS6detail15normal_iteratorINS8_7pointerIiNS8_11hip_rocprim3tagENS8_11use_defaultESE_EEEENSA_INSB_IlSD_SE_SE_EEEEZNS1_13binary_searchIS3_S5_NSA_INS8_10device_ptrIiEEEESG_SI_NS1_21lower_bound_search_opENS9_16wrapped_functionINS8_7greaterIiEEbEEEE10hipError_tPvRmT1_T2_T3_mmT4_T5_P12ihipStream_tbEUlRKiE_EESS_SW_SX_mSY_S11_bEUlT_E_NS1_11comp_targetILNS1_3genE3ELNS1_11target_archE908ELNS1_3gpuE7ELNS1_3repE0EEENS1_30default_config_static_selectorELNS0_4arch9wavefront6targetE0EEEvSV_.numbered_sgpr, 0
	.set _ZN7rocprim17ROCPRIM_400000_NS6detail17trampoline_kernelINS0_14default_configENS1_27lower_bound_config_selectorIilEEZNS1_14transform_implILb0ES3_S5_N6thrust23THRUST_200600_302600_NS6detail15normal_iteratorINS8_7pointerIiNS8_11hip_rocprim3tagENS8_11use_defaultESE_EEEENSA_INSB_IlSD_SE_SE_EEEEZNS1_13binary_searchIS3_S5_NSA_INS8_10device_ptrIiEEEESG_SI_NS1_21lower_bound_search_opENS9_16wrapped_functionINS8_7greaterIiEEbEEEE10hipError_tPvRmT1_T2_T3_mmT4_T5_P12ihipStream_tbEUlRKiE_EESS_SW_SX_mSY_S11_bEUlT_E_NS1_11comp_targetILNS1_3genE3ELNS1_11target_archE908ELNS1_3gpuE7ELNS1_3repE0EEENS1_30default_config_static_selectorELNS0_4arch9wavefront6targetE0EEEvSV_.num_named_barrier, 0
	.set _ZN7rocprim17ROCPRIM_400000_NS6detail17trampoline_kernelINS0_14default_configENS1_27lower_bound_config_selectorIilEEZNS1_14transform_implILb0ES3_S5_N6thrust23THRUST_200600_302600_NS6detail15normal_iteratorINS8_7pointerIiNS8_11hip_rocprim3tagENS8_11use_defaultESE_EEEENSA_INSB_IlSD_SE_SE_EEEEZNS1_13binary_searchIS3_S5_NSA_INS8_10device_ptrIiEEEESG_SI_NS1_21lower_bound_search_opENS9_16wrapped_functionINS8_7greaterIiEEbEEEE10hipError_tPvRmT1_T2_T3_mmT4_T5_P12ihipStream_tbEUlRKiE_EESS_SW_SX_mSY_S11_bEUlT_E_NS1_11comp_targetILNS1_3genE3ELNS1_11target_archE908ELNS1_3gpuE7ELNS1_3repE0EEENS1_30default_config_static_selectorELNS0_4arch9wavefront6targetE0EEEvSV_.private_seg_size, 0
	.set _ZN7rocprim17ROCPRIM_400000_NS6detail17trampoline_kernelINS0_14default_configENS1_27lower_bound_config_selectorIilEEZNS1_14transform_implILb0ES3_S5_N6thrust23THRUST_200600_302600_NS6detail15normal_iteratorINS8_7pointerIiNS8_11hip_rocprim3tagENS8_11use_defaultESE_EEEENSA_INSB_IlSD_SE_SE_EEEEZNS1_13binary_searchIS3_S5_NSA_INS8_10device_ptrIiEEEESG_SI_NS1_21lower_bound_search_opENS9_16wrapped_functionINS8_7greaterIiEEbEEEE10hipError_tPvRmT1_T2_T3_mmT4_T5_P12ihipStream_tbEUlRKiE_EESS_SW_SX_mSY_S11_bEUlT_E_NS1_11comp_targetILNS1_3genE3ELNS1_11target_archE908ELNS1_3gpuE7ELNS1_3repE0EEENS1_30default_config_static_selectorELNS0_4arch9wavefront6targetE0EEEvSV_.uses_vcc, 0
	.set _ZN7rocprim17ROCPRIM_400000_NS6detail17trampoline_kernelINS0_14default_configENS1_27lower_bound_config_selectorIilEEZNS1_14transform_implILb0ES3_S5_N6thrust23THRUST_200600_302600_NS6detail15normal_iteratorINS8_7pointerIiNS8_11hip_rocprim3tagENS8_11use_defaultESE_EEEENSA_INSB_IlSD_SE_SE_EEEEZNS1_13binary_searchIS3_S5_NSA_INS8_10device_ptrIiEEEESG_SI_NS1_21lower_bound_search_opENS9_16wrapped_functionINS8_7greaterIiEEbEEEE10hipError_tPvRmT1_T2_T3_mmT4_T5_P12ihipStream_tbEUlRKiE_EESS_SW_SX_mSY_S11_bEUlT_E_NS1_11comp_targetILNS1_3genE3ELNS1_11target_archE908ELNS1_3gpuE7ELNS1_3repE0EEENS1_30default_config_static_selectorELNS0_4arch9wavefront6targetE0EEEvSV_.uses_flat_scratch, 0
	.set _ZN7rocprim17ROCPRIM_400000_NS6detail17trampoline_kernelINS0_14default_configENS1_27lower_bound_config_selectorIilEEZNS1_14transform_implILb0ES3_S5_N6thrust23THRUST_200600_302600_NS6detail15normal_iteratorINS8_7pointerIiNS8_11hip_rocprim3tagENS8_11use_defaultESE_EEEENSA_INSB_IlSD_SE_SE_EEEEZNS1_13binary_searchIS3_S5_NSA_INS8_10device_ptrIiEEEESG_SI_NS1_21lower_bound_search_opENS9_16wrapped_functionINS8_7greaterIiEEbEEEE10hipError_tPvRmT1_T2_T3_mmT4_T5_P12ihipStream_tbEUlRKiE_EESS_SW_SX_mSY_S11_bEUlT_E_NS1_11comp_targetILNS1_3genE3ELNS1_11target_archE908ELNS1_3gpuE7ELNS1_3repE0EEENS1_30default_config_static_selectorELNS0_4arch9wavefront6targetE0EEEvSV_.has_dyn_sized_stack, 0
	.set _ZN7rocprim17ROCPRIM_400000_NS6detail17trampoline_kernelINS0_14default_configENS1_27lower_bound_config_selectorIilEEZNS1_14transform_implILb0ES3_S5_N6thrust23THRUST_200600_302600_NS6detail15normal_iteratorINS8_7pointerIiNS8_11hip_rocprim3tagENS8_11use_defaultESE_EEEENSA_INSB_IlSD_SE_SE_EEEEZNS1_13binary_searchIS3_S5_NSA_INS8_10device_ptrIiEEEESG_SI_NS1_21lower_bound_search_opENS9_16wrapped_functionINS8_7greaterIiEEbEEEE10hipError_tPvRmT1_T2_T3_mmT4_T5_P12ihipStream_tbEUlRKiE_EESS_SW_SX_mSY_S11_bEUlT_E_NS1_11comp_targetILNS1_3genE3ELNS1_11target_archE908ELNS1_3gpuE7ELNS1_3repE0EEENS1_30default_config_static_selectorELNS0_4arch9wavefront6targetE0EEEvSV_.has_recursion, 0
	.set _ZN7rocprim17ROCPRIM_400000_NS6detail17trampoline_kernelINS0_14default_configENS1_27lower_bound_config_selectorIilEEZNS1_14transform_implILb0ES3_S5_N6thrust23THRUST_200600_302600_NS6detail15normal_iteratorINS8_7pointerIiNS8_11hip_rocprim3tagENS8_11use_defaultESE_EEEENSA_INSB_IlSD_SE_SE_EEEEZNS1_13binary_searchIS3_S5_NSA_INS8_10device_ptrIiEEEESG_SI_NS1_21lower_bound_search_opENS9_16wrapped_functionINS8_7greaterIiEEbEEEE10hipError_tPvRmT1_T2_T3_mmT4_T5_P12ihipStream_tbEUlRKiE_EESS_SW_SX_mSY_S11_bEUlT_E_NS1_11comp_targetILNS1_3genE3ELNS1_11target_archE908ELNS1_3gpuE7ELNS1_3repE0EEENS1_30default_config_static_selectorELNS0_4arch9wavefront6targetE0EEEvSV_.has_indirect_call, 0
	.section	.AMDGPU.csdata,"",@progbits
; Kernel info:
; codeLenInByte = 0
; TotalNumSgprs: 0
; NumVgprs: 0
; ScratchSize: 0
; MemoryBound: 0
; FloatMode: 240
; IeeeMode: 1
; LDSByteSize: 0 bytes/workgroup (compile time only)
; SGPRBlocks: 0
; VGPRBlocks: 0
; NumSGPRsForWavesPerEU: 1
; NumVGPRsForWavesPerEU: 1
; NamedBarCnt: 0
; Occupancy: 16
; WaveLimiterHint : 0
; COMPUTE_PGM_RSRC2:SCRATCH_EN: 0
; COMPUTE_PGM_RSRC2:USER_SGPR: 2
; COMPUTE_PGM_RSRC2:TRAP_HANDLER: 0
; COMPUTE_PGM_RSRC2:TGID_X_EN: 1
; COMPUTE_PGM_RSRC2:TGID_Y_EN: 0
; COMPUTE_PGM_RSRC2:TGID_Z_EN: 0
; COMPUTE_PGM_RSRC2:TIDIG_COMP_CNT: 0
	.section	.text._ZN7rocprim17ROCPRIM_400000_NS6detail17trampoline_kernelINS0_14default_configENS1_27lower_bound_config_selectorIilEEZNS1_14transform_implILb0ES3_S5_N6thrust23THRUST_200600_302600_NS6detail15normal_iteratorINS8_7pointerIiNS8_11hip_rocprim3tagENS8_11use_defaultESE_EEEENSA_INSB_IlSD_SE_SE_EEEEZNS1_13binary_searchIS3_S5_NSA_INS8_10device_ptrIiEEEESG_SI_NS1_21lower_bound_search_opENS9_16wrapped_functionINS8_7greaterIiEEbEEEE10hipError_tPvRmT1_T2_T3_mmT4_T5_P12ihipStream_tbEUlRKiE_EESS_SW_SX_mSY_S11_bEUlT_E_NS1_11comp_targetILNS1_3genE2ELNS1_11target_archE906ELNS1_3gpuE6ELNS1_3repE0EEENS1_30default_config_static_selectorELNS0_4arch9wavefront6targetE0EEEvSV_,"axG",@progbits,_ZN7rocprim17ROCPRIM_400000_NS6detail17trampoline_kernelINS0_14default_configENS1_27lower_bound_config_selectorIilEEZNS1_14transform_implILb0ES3_S5_N6thrust23THRUST_200600_302600_NS6detail15normal_iteratorINS8_7pointerIiNS8_11hip_rocprim3tagENS8_11use_defaultESE_EEEENSA_INSB_IlSD_SE_SE_EEEEZNS1_13binary_searchIS3_S5_NSA_INS8_10device_ptrIiEEEESG_SI_NS1_21lower_bound_search_opENS9_16wrapped_functionINS8_7greaterIiEEbEEEE10hipError_tPvRmT1_T2_T3_mmT4_T5_P12ihipStream_tbEUlRKiE_EESS_SW_SX_mSY_S11_bEUlT_E_NS1_11comp_targetILNS1_3genE2ELNS1_11target_archE906ELNS1_3gpuE6ELNS1_3repE0EEENS1_30default_config_static_selectorELNS0_4arch9wavefront6targetE0EEEvSV_,comdat
	.protected	_ZN7rocprim17ROCPRIM_400000_NS6detail17trampoline_kernelINS0_14default_configENS1_27lower_bound_config_selectorIilEEZNS1_14transform_implILb0ES3_S5_N6thrust23THRUST_200600_302600_NS6detail15normal_iteratorINS8_7pointerIiNS8_11hip_rocprim3tagENS8_11use_defaultESE_EEEENSA_INSB_IlSD_SE_SE_EEEEZNS1_13binary_searchIS3_S5_NSA_INS8_10device_ptrIiEEEESG_SI_NS1_21lower_bound_search_opENS9_16wrapped_functionINS8_7greaterIiEEbEEEE10hipError_tPvRmT1_T2_T3_mmT4_T5_P12ihipStream_tbEUlRKiE_EESS_SW_SX_mSY_S11_bEUlT_E_NS1_11comp_targetILNS1_3genE2ELNS1_11target_archE906ELNS1_3gpuE6ELNS1_3repE0EEENS1_30default_config_static_selectorELNS0_4arch9wavefront6targetE0EEEvSV_ ; -- Begin function _ZN7rocprim17ROCPRIM_400000_NS6detail17trampoline_kernelINS0_14default_configENS1_27lower_bound_config_selectorIilEEZNS1_14transform_implILb0ES3_S5_N6thrust23THRUST_200600_302600_NS6detail15normal_iteratorINS8_7pointerIiNS8_11hip_rocprim3tagENS8_11use_defaultESE_EEEENSA_INSB_IlSD_SE_SE_EEEEZNS1_13binary_searchIS3_S5_NSA_INS8_10device_ptrIiEEEESG_SI_NS1_21lower_bound_search_opENS9_16wrapped_functionINS8_7greaterIiEEbEEEE10hipError_tPvRmT1_T2_T3_mmT4_T5_P12ihipStream_tbEUlRKiE_EESS_SW_SX_mSY_S11_bEUlT_E_NS1_11comp_targetILNS1_3genE2ELNS1_11target_archE906ELNS1_3gpuE6ELNS1_3repE0EEENS1_30default_config_static_selectorELNS0_4arch9wavefront6targetE0EEEvSV_
	.globl	_ZN7rocprim17ROCPRIM_400000_NS6detail17trampoline_kernelINS0_14default_configENS1_27lower_bound_config_selectorIilEEZNS1_14transform_implILb0ES3_S5_N6thrust23THRUST_200600_302600_NS6detail15normal_iteratorINS8_7pointerIiNS8_11hip_rocprim3tagENS8_11use_defaultESE_EEEENSA_INSB_IlSD_SE_SE_EEEEZNS1_13binary_searchIS3_S5_NSA_INS8_10device_ptrIiEEEESG_SI_NS1_21lower_bound_search_opENS9_16wrapped_functionINS8_7greaterIiEEbEEEE10hipError_tPvRmT1_T2_T3_mmT4_T5_P12ihipStream_tbEUlRKiE_EESS_SW_SX_mSY_S11_bEUlT_E_NS1_11comp_targetILNS1_3genE2ELNS1_11target_archE906ELNS1_3gpuE6ELNS1_3repE0EEENS1_30default_config_static_selectorELNS0_4arch9wavefront6targetE0EEEvSV_
	.p2align	8
	.type	_ZN7rocprim17ROCPRIM_400000_NS6detail17trampoline_kernelINS0_14default_configENS1_27lower_bound_config_selectorIilEEZNS1_14transform_implILb0ES3_S5_N6thrust23THRUST_200600_302600_NS6detail15normal_iteratorINS8_7pointerIiNS8_11hip_rocprim3tagENS8_11use_defaultESE_EEEENSA_INSB_IlSD_SE_SE_EEEEZNS1_13binary_searchIS3_S5_NSA_INS8_10device_ptrIiEEEESG_SI_NS1_21lower_bound_search_opENS9_16wrapped_functionINS8_7greaterIiEEbEEEE10hipError_tPvRmT1_T2_T3_mmT4_T5_P12ihipStream_tbEUlRKiE_EESS_SW_SX_mSY_S11_bEUlT_E_NS1_11comp_targetILNS1_3genE2ELNS1_11target_archE906ELNS1_3gpuE6ELNS1_3repE0EEENS1_30default_config_static_selectorELNS0_4arch9wavefront6targetE0EEEvSV_,@function
_ZN7rocprim17ROCPRIM_400000_NS6detail17trampoline_kernelINS0_14default_configENS1_27lower_bound_config_selectorIilEEZNS1_14transform_implILb0ES3_S5_N6thrust23THRUST_200600_302600_NS6detail15normal_iteratorINS8_7pointerIiNS8_11hip_rocprim3tagENS8_11use_defaultESE_EEEENSA_INSB_IlSD_SE_SE_EEEEZNS1_13binary_searchIS3_S5_NSA_INS8_10device_ptrIiEEEESG_SI_NS1_21lower_bound_search_opENS9_16wrapped_functionINS8_7greaterIiEEbEEEE10hipError_tPvRmT1_T2_T3_mmT4_T5_P12ihipStream_tbEUlRKiE_EESS_SW_SX_mSY_S11_bEUlT_E_NS1_11comp_targetILNS1_3genE2ELNS1_11target_archE906ELNS1_3gpuE6ELNS1_3repE0EEENS1_30default_config_static_selectorELNS0_4arch9wavefront6targetE0EEEvSV_: ; @_ZN7rocprim17ROCPRIM_400000_NS6detail17trampoline_kernelINS0_14default_configENS1_27lower_bound_config_selectorIilEEZNS1_14transform_implILb0ES3_S5_N6thrust23THRUST_200600_302600_NS6detail15normal_iteratorINS8_7pointerIiNS8_11hip_rocprim3tagENS8_11use_defaultESE_EEEENSA_INSB_IlSD_SE_SE_EEEEZNS1_13binary_searchIS3_S5_NSA_INS8_10device_ptrIiEEEESG_SI_NS1_21lower_bound_search_opENS9_16wrapped_functionINS8_7greaterIiEEbEEEE10hipError_tPvRmT1_T2_T3_mmT4_T5_P12ihipStream_tbEUlRKiE_EESS_SW_SX_mSY_S11_bEUlT_E_NS1_11comp_targetILNS1_3genE2ELNS1_11target_archE906ELNS1_3gpuE6ELNS1_3repE0EEENS1_30default_config_static_selectorELNS0_4arch9wavefront6targetE0EEEvSV_
; %bb.0:
	.section	.rodata,"a",@progbits
	.p2align	6, 0x0
	.amdhsa_kernel _ZN7rocprim17ROCPRIM_400000_NS6detail17trampoline_kernelINS0_14default_configENS1_27lower_bound_config_selectorIilEEZNS1_14transform_implILb0ES3_S5_N6thrust23THRUST_200600_302600_NS6detail15normal_iteratorINS8_7pointerIiNS8_11hip_rocprim3tagENS8_11use_defaultESE_EEEENSA_INSB_IlSD_SE_SE_EEEEZNS1_13binary_searchIS3_S5_NSA_INS8_10device_ptrIiEEEESG_SI_NS1_21lower_bound_search_opENS9_16wrapped_functionINS8_7greaterIiEEbEEEE10hipError_tPvRmT1_T2_T3_mmT4_T5_P12ihipStream_tbEUlRKiE_EESS_SW_SX_mSY_S11_bEUlT_E_NS1_11comp_targetILNS1_3genE2ELNS1_11target_archE906ELNS1_3gpuE6ELNS1_3repE0EEENS1_30default_config_static_selectorELNS0_4arch9wavefront6targetE0EEEvSV_
		.amdhsa_group_segment_fixed_size 0
		.amdhsa_private_segment_fixed_size 0
		.amdhsa_kernarg_size 56
		.amdhsa_user_sgpr_count 2
		.amdhsa_user_sgpr_dispatch_ptr 0
		.amdhsa_user_sgpr_queue_ptr 0
		.amdhsa_user_sgpr_kernarg_segment_ptr 1
		.amdhsa_user_sgpr_dispatch_id 0
		.amdhsa_user_sgpr_kernarg_preload_length 0
		.amdhsa_user_sgpr_kernarg_preload_offset 0
		.amdhsa_user_sgpr_private_segment_size 0
		.amdhsa_wavefront_size32 1
		.amdhsa_uses_dynamic_stack 0
		.amdhsa_enable_private_segment 0
		.amdhsa_system_sgpr_workgroup_id_x 1
		.amdhsa_system_sgpr_workgroup_id_y 0
		.amdhsa_system_sgpr_workgroup_id_z 0
		.amdhsa_system_sgpr_workgroup_info 0
		.amdhsa_system_vgpr_workitem_id 0
		.amdhsa_next_free_vgpr 1
		.amdhsa_next_free_sgpr 1
		.amdhsa_named_barrier_count 0
		.amdhsa_reserve_vcc 0
		.amdhsa_float_round_mode_32 0
		.amdhsa_float_round_mode_16_64 0
		.amdhsa_float_denorm_mode_32 3
		.amdhsa_float_denorm_mode_16_64 3
		.amdhsa_fp16_overflow 0
		.amdhsa_memory_ordered 1
		.amdhsa_forward_progress 1
		.amdhsa_inst_pref_size 0
		.amdhsa_round_robin_scheduling 0
		.amdhsa_exception_fp_ieee_invalid_op 0
		.amdhsa_exception_fp_denorm_src 0
		.amdhsa_exception_fp_ieee_div_zero 0
		.amdhsa_exception_fp_ieee_overflow 0
		.amdhsa_exception_fp_ieee_underflow 0
		.amdhsa_exception_fp_ieee_inexact 0
		.amdhsa_exception_int_div_zero 0
	.end_amdhsa_kernel
	.section	.text._ZN7rocprim17ROCPRIM_400000_NS6detail17trampoline_kernelINS0_14default_configENS1_27lower_bound_config_selectorIilEEZNS1_14transform_implILb0ES3_S5_N6thrust23THRUST_200600_302600_NS6detail15normal_iteratorINS8_7pointerIiNS8_11hip_rocprim3tagENS8_11use_defaultESE_EEEENSA_INSB_IlSD_SE_SE_EEEEZNS1_13binary_searchIS3_S5_NSA_INS8_10device_ptrIiEEEESG_SI_NS1_21lower_bound_search_opENS9_16wrapped_functionINS8_7greaterIiEEbEEEE10hipError_tPvRmT1_T2_T3_mmT4_T5_P12ihipStream_tbEUlRKiE_EESS_SW_SX_mSY_S11_bEUlT_E_NS1_11comp_targetILNS1_3genE2ELNS1_11target_archE906ELNS1_3gpuE6ELNS1_3repE0EEENS1_30default_config_static_selectorELNS0_4arch9wavefront6targetE0EEEvSV_,"axG",@progbits,_ZN7rocprim17ROCPRIM_400000_NS6detail17trampoline_kernelINS0_14default_configENS1_27lower_bound_config_selectorIilEEZNS1_14transform_implILb0ES3_S5_N6thrust23THRUST_200600_302600_NS6detail15normal_iteratorINS8_7pointerIiNS8_11hip_rocprim3tagENS8_11use_defaultESE_EEEENSA_INSB_IlSD_SE_SE_EEEEZNS1_13binary_searchIS3_S5_NSA_INS8_10device_ptrIiEEEESG_SI_NS1_21lower_bound_search_opENS9_16wrapped_functionINS8_7greaterIiEEbEEEE10hipError_tPvRmT1_T2_T3_mmT4_T5_P12ihipStream_tbEUlRKiE_EESS_SW_SX_mSY_S11_bEUlT_E_NS1_11comp_targetILNS1_3genE2ELNS1_11target_archE906ELNS1_3gpuE6ELNS1_3repE0EEENS1_30default_config_static_selectorELNS0_4arch9wavefront6targetE0EEEvSV_,comdat
.Lfunc_end25:
	.size	_ZN7rocprim17ROCPRIM_400000_NS6detail17trampoline_kernelINS0_14default_configENS1_27lower_bound_config_selectorIilEEZNS1_14transform_implILb0ES3_S5_N6thrust23THRUST_200600_302600_NS6detail15normal_iteratorINS8_7pointerIiNS8_11hip_rocprim3tagENS8_11use_defaultESE_EEEENSA_INSB_IlSD_SE_SE_EEEEZNS1_13binary_searchIS3_S5_NSA_INS8_10device_ptrIiEEEESG_SI_NS1_21lower_bound_search_opENS9_16wrapped_functionINS8_7greaterIiEEbEEEE10hipError_tPvRmT1_T2_T3_mmT4_T5_P12ihipStream_tbEUlRKiE_EESS_SW_SX_mSY_S11_bEUlT_E_NS1_11comp_targetILNS1_3genE2ELNS1_11target_archE906ELNS1_3gpuE6ELNS1_3repE0EEENS1_30default_config_static_selectorELNS0_4arch9wavefront6targetE0EEEvSV_, .Lfunc_end25-_ZN7rocprim17ROCPRIM_400000_NS6detail17trampoline_kernelINS0_14default_configENS1_27lower_bound_config_selectorIilEEZNS1_14transform_implILb0ES3_S5_N6thrust23THRUST_200600_302600_NS6detail15normal_iteratorINS8_7pointerIiNS8_11hip_rocprim3tagENS8_11use_defaultESE_EEEENSA_INSB_IlSD_SE_SE_EEEEZNS1_13binary_searchIS3_S5_NSA_INS8_10device_ptrIiEEEESG_SI_NS1_21lower_bound_search_opENS9_16wrapped_functionINS8_7greaterIiEEbEEEE10hipError_tPvRmT1_T2_T3_mmT4_T5_P12ihipStream_tbEUlRKiE_EESS_SW_SX_mSY_S11_bEUlT_E_NS1_11comp_targetILNS1_3genE2ELNS1_11target_archE906ELNS1_3gpuE6ELNS1_3repE0EEENS1_30default_config_static_selectorELNS0_4arch9wavefront6targetE0EEEvSV_
                                        ; -- End function
	.set _ZN7rocprim17ROCPRIM_400000_NS6detail17trampoline_kernelINS0_14default_configENS1_27lower_bound_config_selectorIilEEZNS1_14transform_implILb0ES3_S5_N6thrust23THRUST_200600_302600_NS6detail15normal_iteratorINS8_7pointerIiNS8_11hip_rocprim3tagENS8_11use_defaultESE_EEEENSA_INSB_IlSD_SE_SE_EEEEZNS1_13binary_searchIS3_S5_NSA_INS8_10device_ptrIiEEEESG_SI_NS1_21lower_bound_search_opENS9_16wrapped_functionINS8_7greaterIiEEbEEEE10hipError_tPvRmT1_T2_T3_mmT4_T5_P12ihipStream_tbEUlRKiE_EESS_SW_SX_mSY_S11_bEUlT_E_NS1_11comp_targetILNS1_3genE2ELNS1_11target_archE906ELNS1_3gpuE6ELNS1_3repE0EEENS1_30default_config_static_selectorELNS0_4arch9wavefront6targetE0EEEvSV_.num_vgpr, 0
	.set _ZN7rocprim17ROCPRIM_400000_NS6detail17trampoline_kernelINS0_14default_configENS1_27lower_bound_config_selectorIilEEZNS1_14transform_implILb0ES3_S5_N6thrust23THRUST_200600_302600_NS6detail15normal_iteratorINS8_7pointerIiNS8_11hip_rocprim3tagENS8_11use_defaultESE_EEEENSA_INSB_IlSD_SE_SE_EEEEZNS1_13binary_searchIS3_S5_NSA_INS8_10device_ptrIiEEEESG_SI_NS1_21lower_bound_search_opENS9_16wrapped_functionINS8_7greaterIiEEbEEEE10hipError_tPvRmT1_T2_T3_mmT4_T5_P12ihipStream_tbEUlRKiE_EESS_SW_SX_mSY_S11_bEUlT_E_NS1_11comp_targetILNS1_3genE2ELNS1_11target_archE906ELNS1_3gpuE6ELNS1_3repE0EEENS1_30default_config_static_selectorELNS0_4arch9wavefront6targetE0EEEvSV_.num_agpr, 0
	.set _ZN7rocprim17ROCPRIM_400000_NS6detail17trampoline_kernelINS0_14default_configENS1_27lower_bound_config_selectorIilEEZNS1_14transform_implILb0ES3_S5_N6thrust23THRUST_200600_302600_NS6detail15normal_iteratorINS8_7pointerIiNS8_11hip_rocprim3tagENS8_11use_defaultESE_EEEENSA_INSB_IlSD_SE_SE_EEEEZNS1_13binary_searchIS3_S5_NSA_INS8_10device_ptrIiEEEESG_SI_NS1_21lower_bound_search_opENS9_16wrapped_functionINS8_7greaterIiEEbEEEE10hipError_tPvRmT1_T2_T3_mmT4_T5_P12ihipStream_tbEUlRKiE_EESS_SW_SX_mSY_S11_bEUlT_E_NS1_11comp_targetILNS1_3genE2ELNS1_11target_archE906ELNS1_3gpuE6ELNS1_3repE0EEENS1_30default_config_static_selectorELNS0_4arch9wavefront6targetE0EEEvSV_.numbered_sgpr, 0
	.set _ZN7rocprim17ROCPRIM_400000_NS6detail17trampoline_kernelINS0_14default_configENS1_27lower_bound_config_selectorIilEEZNS1_14transform_implILb0ES3_S5_N6thrust23THRUST_200600_302600_NS6detail15normal_iteratorINS8_7pointerIiNS8_11hip_rocprim3tagENS8_11use_defaultESE_EEEENSA_INSB_IlSD_SE_SE_EEEEZNS1_13binary_searchIS3_S5_NSA_INS8_10device_ptrIiEEEESG_SI_NS1_21lower_bound_search_opENS9_16wrapped_functionINS8_7greaterIiEEbEEEE10hipError_tPvRmT1_T2_T3_mmT4_T5_P12ihipStream_tbEUlRKiE_EESS_SW_SX_mSY_S11_bEUlT_E_NS1_11comp_targetILNS1_3genE2ELNS1_11target_archE906ELNS1_3gpuE6ELNS1_3repE0EEENS1_30default_config_static_selectorELNS0_4arch9wavefront6targetE0EEEvSV_.num_named_barrier, 0
	.set _ZN7rocprim17ROCPRIM_400000_NS6detail17trampoline_kernelINS0_14default_configENS1_27lower_bound_config_selectorIilEEZNS1_14transform_implILb0ES3_S5_N6thrust23THRUST_200600_302600_NS6detail15normal_iteratorINS8_7pointerIiNS8_11hip_rocprim3tagENS8_11use_defaultESE_EEEENSA_INSB_IlSD_SE_SE_EEEEZNS1_13binary_searchIS3_S5_NSA_INS8_10device_ptrIiEEEESG_SI_NS1_21lower_bound_search_opENS9_16wrapped_functionINS8_7greaterIiEEbEEEE10hipError_tPvRmT1_T2_T3_mmT4_T5_P12ihipStream_tbEUlRKiE_EESS_SW_SX_mSY_S11_bEUlT_E_NS1_11comp_targetILNS1_3genE2ELNS1_11target_archE906ELNS1_3gpuE6ELNS1_3repE0EEENS1_30default_config_static_selectorELNS0_4arch9wavefront6targetE0EEEvSV_.private_seg_size, 0
	.set _ZN7rocprim17ROCPRIM_400000_NS6detail17trampoline_kernelINS0_14default_configENS1_27lower_bound_config_selectorIilEEZNS1_14transform_implILb0ES3_S5_N6thrust23THRUST_200600_302600_NS6detail15normal_iteratorINS8_7pointerIiNS8_11hip_rocprim3tagENS8_11use_defaultESE_EEEENSA_INSB_IlSD_SE_SE_EEEEZNS1_13binary_searchIS3_S5_NSA_INS8_10device_ptrIiEEEESG_SI_NS1_21lower_bound_search_opENS9_16wrapped_functionINS8_7greaterIiEEbEEEE10hipError_tPvRmT1_T2_T3_mmT4_T5_P12ihipStream_tbEUlRKiE_EESS_SW_SX_mSY_S11_bEUlT_E_NS1_11comp_targetILNS1_3genE2ELNS1_11target_archE906ELNS1_3gpuE6ELNS1_3repE0EEENS1_30default_config_static_selectorELNS0_4arch9wavefront6targetE0EEEvSV_.uses_vcc, 0
	.set _ZN7rocprim17ROCPRIM_400000_NS6detail17trampoline_kernelINS0_14default_configENS1_27lower_bound_config_selectorIilEEZNS1_14transform_implILb0ES3_S5_N6thrust23THRUST_200600_302600_NS6detail15normal_iteratorINS8_7pointerIiNS8_11hip_rocprim3tagENS8_11use_defaultESE_EEEENSA_INSB_IlSD_SE_SE_EEEEZNS1_13binary_searchIS3_S5_NSA_INS8_10device_ptrIiEEEESG_SI_NS1_21lower_bound_search_opENS9_16wrapped_functionINS8_7greaterIiEEbEEEE10hipError_tPvRmT1_T2_T3_mmT4_T5_P12ihipStream_tbEUlRKiE_EESS_SW_SX_mSY_S11_bEUlT_E_NS1_11comp_targetILNS1_3genE2ELNS1_11target_archE906ELNS1_3gpuE6ELNS1_3repE0EEENS1_30default_config_static_selectorELNS0_4arch9wavefront6targetE0EEEvSV_.uses_flat_scratch, 0
	.set _ZN7rocprim17ROCPRIM_400000_NS6detail17trampoline_kernelINS0_14default_configENS1_27lower_bound_config_selectorIilEEZNS1_14transform_implILb0ES3_S5_N6thrust23THRUST_200600_302600_NS6detail15normal_iteratorINS8_7pointerIiNS8_11hip_rocprim3tagENS8_11use_defaultESE_EEEENSA_INSB_IlSD_SE_SE_EEEEZNS1_13binary_searchIS3_S5_NSA_INS8_10device_ptrIiEEEESG_SI_NS1_21lower_bound_search_opENS9_16wrapped_functionINS8_7greaterIiEEbEEEE10hipError_tPvRmT1_T2_T3_mmT4_T5_P12ihipStream_tbEUlRKiE_EESS_SW_SX_mSY_S11_bEUlT_E_NS1_11comp_targetILNS1_3genE2ELNS1_11target_archE906ELNS1_3gpuE6ELNS1_3repE0EEENS1_30default_config_static_selectorELNS0_4arch9wavefront6targetE0EEEvSV_.has_dyn_sized_stack, 0
	.set _ZN7rocprim17ROCPRIM_400000_NS6detail17trampoline_kernelINS0_14default_configENS1_27lower_bound_config_selectorIilEEZNS1_14transform_implILb0ES3_S5_N6thrust23THRUST_200600_302600_NS6detail15normal_iteratorINS8_7pointerIiNS8_11hip_rocprim3tagENS8_11use_defaultESE_EEEENSA_INSB_IlSD_SE_SE_EEEEZNS1_13binary_searchIS3_S5_NSA_INS8_10device_ptrIiEEEESG_SI_NS1_21lower_bound_search_opENS9_16wrapped_functionINS8_7greaterIiEEbEEEE10hipError_tPvRmT1_T2_T3_mmT4_T5_P12ihipStream_tbEUlRKiE_EESS_SW_SX_mSY_S11_bEUlT_E_NS1_11comp_targetILNS1_3genE2ELNS1_11target_archE906ELNS1_3gpuE6ELNS1_3repE0EEENS1_30default_config_static_selectorELNS0_4arch9wavefront6targetE0EEEvSV_.has_recursion, 0
	.set _ZN7rocprim17ROCPRIM_400000_NS6detail17trampoline_kernelINS0_14default_configENS1_27lower_bound_config_selectorIilEEZNS1_14transform_implILb0ES3_S5_N6thrust23THRUST_200600_302600_NS6detail15normal_iteratorINS8_7pointerIiNS8_11hip_rocprim3tagENS8_11use_defaultESE_EEEENSA_INSB_IlSD_SE_SE_EEEEZNS1_13binary_searchIS3_S5_NSA_INS8_10device_ptrIiEEEESG_SI_NS1_21lower_bound_search_opENS9_16wrapped_functionINS8_7greaterIiEEbEEEE10hipError_tPvRmT1_T2_T3_mmT4_T5_P12ihipStream_tbEUlRKiE_EESS_SW_SX_mSY_S11_bEUlT_E_NS1_11comp_targetILNS1_3genE2ELNS1_11target_archE906ELNS1_3gpuE6ELNS1_3repE0EEENS1_30default_config_static_selectorELNS0_4arch9wavefront6targetE0EEEvSV_.has_indirect_call, 0
	.section	.AMDGPU.csdata,"",@progbits
; Kernel info:
; codeLenInByte = 0
; TotalNumSgprs: 0
; NumVgprs: 0
; ScratchSize: 0
; MemoryBound: 0
; FloatMode: 240
; IeeeMode: 1
; LDSByteSize: 0 bytes/workgroup (compile time only)
; SGPRBlocks: 0
; VGPRBlocks: 0
; NumSGPRsForWavesPerEU: 1
; NumVGPRsForWavesPerEU: 1
; NamedBarCnt: 0
; Occupancy: 16
; WaveLimiterHint : 0
; COMPUTE_PGM_RSRC2:SCRATCH_EN: 0
; COMPUTE_PGM_RSRC2:USER_SGPR: 2
; COMPUTE_PGM_RSRC2:TRAP_HANDLER: 0
; COMPUTE_PGM_RSRC2:TGID_X_EN: 1
; COMPUTE_PGM_RSRC2:TGID_Y_EN: 0
; COMPUTE_PGM_RSRC2:TGID_Z_EN: 0
; COMPUTE_PGM_RSRC2:TIDIG_COMP_CNT: 0
	.section	.text._ZN7rocprim17ROCPRIM_400000_NS6detail17trampoline_kernelINS0_14default_configENS1_27lower_bound_config_selectorIilEEZNS1_14transform_implILb0ES3_S5_N6thrust23THRUST_200600_302600_NS6detail15normal_iteratorINS8_7pointerIiNS8_11hip_rocprim3tagENS8_11use_defaultESE_EEEENSA_INSB_IlSD_SE_SE_EEEEZNS1_13binary_searchIS3_S5_NSA_INS8_10device_ptrIiEEEESG_SI_NS1_21lower_bound_search_opENS9_16wrapped_functionINS8_7greaterIiEEbEEEE10hipError_tPvRmT1_T2_T3_mmT4_T5_P12ihipStream_tbEUlRKiE_EESS_SW_SX_mSY_S11_bEUlT_E_NS1_11comp_targetILNS1_3genE10ELNS1_11target_archE1201ELNS1_3gpuE5ELNS1_3repE0EEENS1_30default_config_static_selectorELNS0_4arch9wavefront6targetE0EEEvSV_,"axG",@progbits,_ZN7rocprim17ROCPRIM_400000_NS6detail17trampoline_kernelINS0_14default_configENS1_27lower_bound_config_selectorIilEEZNS1_14transform_implILb0ES3_S5_N6thrust23THRUST_200600_302600_NS6detail15normal_iteratorINS8_7pointerIiNS8_11hip_rocprim3tagENS8_11use_defaultESE_EEEENSA_INSB_IlSD_SE_SE_EEEEZNS1_13binary_searchIS3_S5_NSA_INS8_10device_ptrIiEEEESG_SI_NS1_21lower_bound_search_opENS9_16wrapped_functionINS8_7greaterIiEEbEEEE10hipError_tPvRmT1_T2_T3_mmT4_T5_P12ihipStream_tbEUlRKiE_EESS_SW_SX_mSY_S11_bEUlT_E_NS1_11comp_targetILNS1_3genE10ELNS1_11target_archE1201ELNS1_3gpuE5ELNS1_3repE0EEENS1_30default_config_static_selectorELNS0_4arch9wavefront6targetE0EEEvSV_,comdat
	.protected	_ZN7rocprim17ROCPRIM_400000_NS6detail17trampoline_kernelINS0_14default_configENS1_27lower_bound_config_selectorIilEEZNS1_14transform_implILb0ES3_S5_N6thrust23THRUST_200600_302600_NS6detail15normal_iteratorINS8_7pointerIiNS8_11hip_rocprim3tagENS8_11use_defaultESE_EEEENSA_INSB_IlSD_SE_SE_EEEEZNS1_13binary_searchIS3_S5_NSA_INS8_10device_ptrIiEEEESG_SI_NS1_21lower_bound_search_opENS9_16wrapped_functionINS8_7greaterIiEEbEEEE10hipError_tPvRmT1_T2_T3_mmT4_T5_P12ihipStream_tbEUlRKiE_EESS_SW_SX_mSY_S11_bEUlT_E_NS1_11comp_targetILNS1_3genE10ELNS1_11target_archE1201ELNS1_3gpuE5ELNS1_3repE0EEENS1_30default_config_static_selectorELNS0_4arch9wavefront6targetE0EEEvSV_ ; -- Begin function _ZN7rocprim17ROCPRIM_400000_NS6detail17trampoline_kernelINS0_14default_configENS1_27lower_bound_config_selectorIilEEZNS1_14transform_implILb0ES3_S5_N6thrust23THRUST_200600_302600_NS6detail15normal_iteratorINS8_7pointerIiNS8_11hip_rocprim3tagENS8_11use_defaultESE_EEEENSA_INSB_IlSD_SE_SE_EEEEZNS1_13binary_searchIS3_S5_NSA_INS8_10device_ptrIiEEEESG_SI_NS1_21lower_bound_search_opENS9_16wrapped_functionINS8_7greaterIiEEbEEEE10hipError_tPvRmT1_T2_T3_mmT4_T5_P12ihipStream_tbEUlRKiE_EESS_SW_SX_mSY_S11_bEUlT_E_NS1_11comp_targetILNS1_3genE10ELNS1_11target_archE1201ELNS1_3gpuE5ELNS1_3repE0EEENS1_30default_config_static_selectorELNS0_4arch9wavefront6targetE0EEEvSV_
	.globl	_ZN7rocprim17ROCPRIM_400000_NS6detail17trampoline_kernelINS0_14default_configENS1_27lower_bound_config_selectorIilEEZNS1_14transform_implILb0ES3_S5_N6thrust23THRUST_200600_302600_NS6detail15normal_iteratorINS8_7pointerIiNS8_11hip_rocprim3tagENS8_11use_defaultESE_EEEENSA_INSB_IlSD_SE_SE_EEEEZNS1_13binary_searchIS3_S5_NSA_INS8_10device_ptrIiEEEESG_SI_NS1_21lower_bound_search_opENS9_16wrapped_functionINS8_7greaterIiEEbEEEE10hipError_tPvRmT1_T2_T3_mmT4_T5_P12ihipStream_tbEUlRKiE_EESS_SW_SX_mSY_S11_bEUlT_E_NS1_11comp_targetILNS1_3genE10ELNS1_11target_archE1201ELNS1_3gpuE5ELNS1_3repE0EEENS1_30default_config_static_selectorELNS0_4arch9wavefront6targetE0EEEvSV_
	.p2align	8
	.type	_ZN7rocprim17ROCPRIM_400000_NS6detail17trampoline_kernelINS0_14default_configENS1_27lower_bound_config_selectorIilEEZNS1_14transform_implILb0ES3_S5_N6thrust23THRUST_200600_302600_NS6detail15normal_iteratorINS8_7pointerIiNS8_11hip_rocprim3tagENS8_11use_defaultESE_EEEENSA_INSB_IlSD_SE_SE_EEEEZNS1_13binary_searchIS3_S5_NSA_INS8_10device_ptrIiEEEESG_SI_NS1_21lower_bound_search_opENS9_16wrapped_functionINS8_7greaterIiEEbEEEE10hipError_tPvRmT1_T2_T3_mmT4_T5_P12ihipStream_tbEUlRKiE_EESS_SW_SX_mSY_S11_bEUlT_E_NS1_11comp_targetILNS1_3genE10ELNS1_11target_archE1201ELNS1_3gpuE5ELNS1_3repE0EEENS1_30default_config_static_selectorELNS0_4arch9wavefront6targetE0EEEvSV_,@function
_ZN7rocprim17ROCPRIM_400000_NS6detail17trampoline_kernelINS0_14default_configENS1_27lower_bound_config_selectorIilEEZNS1_14transform_implILb0ES3_S5_N6thrust23THRUST_200600_302600_NS6detail15normal_iteratorINS8_7pointerIiNS8_11hip_rocprim3tagENS8_11use_defaultESE_EEEENSA_INSB_IlSD_SE_SE_EEEEZNS1_13binary_searchIS3_S5_NSA_INS8_10device_ptrIiEEEESG_SI_NS1_21lower_bound_search_opENS9_16wrapped_functionINS8_7greaterIiEEbEEEE10hipError_tPvRmT1_T2_T3_mmT4_T5_P12ihipStream_tbEUlRKiE_EESS_SW_SX_mSY_S11_bEUlT_E_NS1_11comp_targetILNS1_3genE10ELNS1_11target_archE1201ELNS1_3gpuE5ELNS1_3repE0EEENS1_30default_config_static_selectorELNS0_4arch9wavefront6targetE0EEEvSV_: ; @_ZN7rocprim17ROCPRIM_400000_NS6detail17trampoline_kernelINS0_14default_configENS1_27lower_bound_config_selectorIilEEZNS1_14transform_implILb0ES3_S5_N6thrust23THRUST_200600_302600_NS6detail15normal_iteratorINS8_7pointerIiNS8_11hip_rocprim3tagENS8_11use_defaultESE_EEEENSA_INSB_IlSD_SE_SE_EEEEZNS1_13binary_searchIS3_S5_NSA_INS8_10device_ptrIiEEEESG_SI_NS1_21lower_bound_search_opENS9_16wrapped_functionINS8_7greaterIiEEbEEEE10hipError_tPvRmT1_T2_T3_mmT4_T5_P12ihipStream_tbEUlRKiE_EESS_SW_SX_mSY_S11_bEUlT_E_NS1_11comp_targetILNS1_3genE10ELNS1_11target_archE1201ELNS1_3gpuE5ELNS1_3repE0EEENS1_30default_config_static_selectorELNS0_4arch9wavefront6targetE0EEEvSV_
; %bb.0:
	.section	.rodata,"a",@progbits
	.p2align	6, 0x0
	.amdhsa_kernel _ZN7rocprim17ROCPRIM_400000_NS6detail17trampoline_kernelINS0_14default_configENS1_27lower_bound_config_selectorIilEEZNS1_14transform_implILb0ES3_S5_N6thrust23THRUST_200600_302600_NS6detail15normal_iteratorINS8_7pointerIiNS8_11hip_rocprim3tagENS8_11use_defaultESE_EEEENSA_INSB_IlSD_SE_SE_EEEEZNS1_13binary_searchIS3_S5_NSA_INS8_10device_ptrIiEEEESG_SI_NS1_21lower_bound_search_opENS9_16wrapped_functionINS8_7greaterIiEEbEEEE10hipError_tPvRmT1_T2_T3_mmT4_T5_P12ihipStream_tbEUlRKiE_EESS_SW_SX_mSY_S11_bEUlT_E_NS1_11comp_targetILNS1_3genE10ELNS1_11target_archE1201ELNS1_3gpuE5ELNS1_3repE0EEENS1_30default_config_static_selectorELNS0_4arch9wavefront6targetE0EEEvSV_
		.amdhsa_group_segment_fixed_size 0
		.amdhsa_private_segment_fixed_size 0
		.amdhsa_kernarg_size 56
		.amdhsa_user_sgpr_count 2
		.amdhsa_user_sgpr_dispatch_ptr 0
		.amdhsa_user_sgpr_queue_ptr 0
		.amdhsa_user_sgpr_kernarg_segment_ptr 1
		.amdhsa_user_sgpr_dispatch_id 0
		.amdhsa_user_sgpr_kernarg_preload_length 0
		.amdhsa_user_sgpr_kernarg_preload_offset 0
		.amdhsa_user_sgpr_private_segment_size 0
		.amdhsa_wavefront_size32 1
		.amdhsa_uses_dynamic_stack 0
		.amdhsa_enable_private_segment 0
		.amdhsa_system_sgpr_workgroup_id_x 1
		.amdhsa_system_sgpr_workgroup_id_y 0
		.amdhsa_system_sgpr_workgroup_id_z 0
		.amdhsa_system_sgpr_workgroup_info 0
		.amdhsa_system_vgpr_workitem_id 0
		.amdhsa_next_free_vgpr 1
		.amdhsa_next_free_sgpr 1
		.amdhsa_named_barrier_count 0
		.amdhsa_reserve_vcc 0
		.amdhsa_float_round_mode_32 0
		.amdhsa_float_round_mode_16_64 0
		.amdhsa_float_denorm_mode_32 3
		.amdhsa_float_denorm_mode_16_64 3
		.amdhsa_fp16_overflow 0
		.amdhsa_memory_ordered 1
		.amdhsa_forward_progress 1
		.amdhsa_inst_pref_size 0
		.amdhsa_round_robin_scheduling 0
		.amdhsa_exception_fp_ieee_invalid_op 0
		.amdhsa_exception_fp_denorm_src 0
		.amdhsa_exception_fp_ieee_div_zero 0
		.amdhsa_exception_fp_ieee_overflow 0
		.amdhsa_exception_fp_ieee_underflow 0
		.amdhsa_exception_fp_ieee_inexact 0
		.amdhsa_exception_int_div_zero 0
	.end_amdhsa_kernel
	.section	.text._ZN7rocprim17ROCPRIM_400000_NS6detail17trampoline_kernelINS0_14default_configENS1_27lower_bound_config_selectorIilEEZNS1_14transform_implILb0ES3_S5_N6thrust23THRUST_200600_302600_NS6detail15normal_iteratorINS8_7pointerIiNS8_11hip_rocprim3tagENS8_11use_defaultESE_EEEENSA_INSB_IlSD_SE_SE_EEEEZNS1_13binary_searchIS3_S5_NSA_INS8_10device_ptrIiEEEESG_SI_NS1_21lower_bound_search_opENS9_16wrapped_functionINS8_7greaterIiEEbEEEE10hipError_tPvRmT1_T2_T3_mmT4_T5_P12ihipStream_tbEUlRKiE_EESS_SW_SX_mSY_S11_bEUlT_E_NS1_11comp_targetILNS1_3genE10ELNS1_11target_archE1201ELNS1_3gpuE5ELNS1_3repE0EEENS1_30default_config_static_selectorELNS0_4arch9wavefront6targetE0EEEvSV_,"axG",@progbits,_ZN7rocprim17ROCPRIM_400000_NS6detail17trampoline_kernelINS0_14default_configENS1_27lower_bound_config_selectorIilEEZNS1_14transform_implILb0ES3_S5_N6thrust23THRUST_200600_302600_NS6detail15normal_iteratorINS8_7pointerIiNS8_11hip_rocprim3tagENS8_11use_defaultESE_EEEENSA_INSB_IlSD_SE_SE_EEEEZNS1_13binary_searchIS3_S5_NSA_INS8_10device_ptrIiEEEESG_SI_NS1_21lower_bound_search_opENS9_16wrapped_functionINS8_7greaterIiEEbEEEE10hipError_tPvRmT1_T2_T3_mmT4_T5_P12ihipStream_tbEUlRKiE_EESS_SW_SX_mSY_S11_bEUlT_E_NS1_11comp_targetILNS1_3genE10ELNS1_11target_archE1201ELNS1_3gpuE5ELNS1_3repE0EEENS1_30default_config_static_selectorELNS0_4arch9wavefront6targetE0EEEvSV_,comdat
.Lfunc_end26:
	.size	_ZN7rocprim17ROCPRIM_400000_NS6detail17trampoline_kernelINS0_14default_configENS1_27lower_bound_config_selectorIilEEZNS1_14transform_implILb0ES3_S5_N6thrust23THRUST_200600_302600_NS6detail15normal_iteratorINS8_7pointerIiNS8_11hip_rocprim3tagENS8_11use_defaultESE_EEEENSA_INSB_IlSD_SE_SE_EEEEZNS1_13binary_searchIS3_S5_NSA_INS8_10device_ptrIiEEEESG_SI_NS1_21lower_bound_search_opENS9_16wrapped_functionINS8_7greaterIiEEbEEEE10hipError_tPvRmT1_T2_T3_mmT4_T5_P12ihipStream_tbEUlRKiE_EESS_SW_SX_mSY_S11_bEUlT_E_NS1_11comp_targetILNS1_3genE10ELNS1_11target_archE1201ELNS1_3gpuE5ELNS1_3repE0EEENS1_30default_config_static_selectorELNS0_4arch9wavefront6targetE0EEEvSV_, .Lfunc_end26-_ZN7rocprim17ROCPRIM_400000_NS6detail17trampoline_kernelINS0_14default_configENS1_27lower_bound_config_selectorIilEEZNS1_14transform_implILb0ES3_S5_N6thrust23THRUST_200600_302600_NS6detail15normal_iteratorINS8_7pointerIiNS8_11hip_rocprim3tagENS8_11use_defaultESE_EEEENSA_INSB_IlSD_SE_SE_EEEEZNS1_13binary_searchIS3_S5_NSA_INS8_10device_ptrIiEEEESG_SI_NS1_21lower_bound_search_opENS9_16wrapped_functionINS8_7greaterIiEEbEEEE10hipError_tPvRmT1_T2_T3_mmT4_T5_P12ihipStream_tbEUlRKiE_EESS_SW_SX_mSY_S11_bEUlT_E_NS1_11comp_targetILNS1_3genE10ELNS1_11target_archE1201ELNS1_3gpuE5ELNS1_3repE0EEENS1_30default_config_static_selectorELNS0_4arch9wavefront6targetE0EEEvSV_
                                        ; -- End function
	.set _ZN7rocprim17ROCPRIM_400000_NS6detail17trampoline_kernelINS0_14default_configENS1_27lower_bound_config_selectorIilEEZNS1_14transform_implILb0ES3_S5_N6thrust23THRUST_200600_302600_NS6detail15normal_iteratorINS8_7pointerIiNS8_11hip_rocprim3tagENS8_11use_defaultESE_EEEENSA_INSB_IlSD_SE_SE_EEEEZNS1_13binary_searchIS3_S5_NSA_INS8_10device_ptrIiEEEESG_SI_NS1_21lower_bound_search_opENS9_16wrapped_functionINS8_7greaterIiEEbEEEE10hipError_tPvRmT1_T2_T3_mmT4_T5_P12ihipStream_tbEUlRKiE_EESS_SW_SX_mSY_S11_bEUlT_E_NS1_11comp_targetILNS1_3genE10ELNS1_11target_archE1201ELNS1_3gpuE5ELNS1_3repE0EEENS1_30default_config_static_selectorELNS0_4arch9wavefront6targetE0EEEvSV_.num_vgpr, 0
	.set _ZN7rocprim17ROCPRIM_400000_NS6detail17trampoline_kernelINS0_14default_configENS1_27lower_bound_config_selectorIilEEZNS1_14transform_implILb0ES3_S5_N6thrust23THRUST_200600_302600_NS6detail15normal_iteratorINS8_7pointerIiNS8_11hip_rocprim3tagENS8_11use_defaultESE_EEEENSA_INSB_IlSD_SE_SE_EEEEZNS1_13binary_searchIS3_S5_NSA_INS8_10device_ptrIiEEEESG_SI_NS1_21lower_bound_search_opENS9_16wrapped_functionINS8_7greaterIiEEbEEEE10hipError_tPvRmT1_T2_T3_mmT4_T5_P12ihipStream_tbEUlRKiE_EESS_SW_SX_mSY_S11_bEUlT_E_NS1_11comp_targetILNS1_3genE10ELNS1_11target_archE1201ELNS1_3gpuE5ELNS1_3repE0EEENS1_30default_config_static_selectorELNS0_4arch9wavefront6targetE0EEEvSV_.num_agpr, 0
	.set _ZN7rocprim17ROCPRIM_400000_NS6detail17trampoline_kernelINS0_14default_configENS1_27lower_bound_config_selectorIilEEZNS1_14transform_implILb0ES3_S5_N6thrust23THRUST_200600_302600_NS6detail15normal_iteratorINS8_7pointerIiNS8_11hip_rocprim3tagENS8_11use_defaultESE_EEEENSA_INSB_IlSD_SE_SE_EEEEZNS1_13binary_searchIS3_S5_NSA_INS8_10device_ptrIiEEEESG_SI_NS1_21lower_bound_search_opENS9_16wrapped_functionINS8_7greaterIiEEbEEEE10hipError_tPvRmT1_T2_T3_mmT4_T5_P12ihipStream_tbEUlRKiE_EESS_SW_SX_mSY_S11_bEUlT_E_NS1_11comp_targetILNS1_3genE10ELNS1_11target_archE1201ELNS1_3gpuE5ELNS1_3repE0EEENS1_30default_config_static_selectorELNS0_4arch9wavefront6targetE0EEEvSV_.numbered_sgpr, 0
	.set _ZN7rocprim17ROCPRIM_400000_NS6detail17trampoline_kernelINS0_14default_configENS1_27lower_bound_config_selectorIilEEZNS1_14transform_implILb0ES3_S5_N6thrust23THRUST_200600_302600_NS6detail15normal_iteratorINS8_7pointerIiNS8_11hip_rocprim3tagENS8_11use_defaultESE_EEEENSA_INSB_IlSD_SE_SE_EEEEZNS1_13binary_searchIS3_S5_NSA_INS8_10device_ptrIiEEEESG_SI_NS1_21lower_bound_search_opENS9_16wrapped_functionINS8_7greaterIiEEbEEEE10hipError_tPvRmT1_T2_T3_mmT4_T5_P12ihipStream_tbEUlRKiE_EESS_SW_SX_mSY_S11_bEUlT_E_NS1_11comp_targetILNS1_3genE10ELNS1_11target_archE1201ELNS1_3gpuE5ELNS1_3repE0EEENS1_30default_config_static_selectorELNS0_4arch9wavefront6targetE0EEEvSV_.num_named_barrier, 0
	.set _ZN7rocprim17ROCPRIM_400000_NS6detail17trampoline_kernelINS0_14default_configENS1_27lower_bound_config_selectorIilEEZNS1_14transform_implILb0ES3_S5_N6thrust23THRUST_200600_302600_NS6detail15normal_iteratorINS8_7pointerIiNS8_11hip_rocprim3tagENS8_11use_defaultESE_EEEENSA_INSB_IlSD_SE_SE_EEEEZNS1_13binary_searchIS3_S5_NSA_INS8_10device_ptrIiEEEESG_SI_NS1_21lower_bound_search_opENS9_16wrapped_functionINS8_7greaterIiEEbEEEE10hipError_tPvRmT1_T2_T3_mmT4_T5_P12ihipStream_tbEUlRKiE_EESS_SW_SX_mSY_S11_bEUlT_E_NS1_11comp_targetILNS1_3genE10ELNS1_11target_archE1201ELNS1_3gpuE5ELNS1_3repE0EEENS1_30default_config_static_selectorELNS0_4arch9wavefront6targetE0EEEvSV_.private_seg_size, 0
	.set _ZN7rocprim17ROCPRIM_400000_NS6detail17trampoline_kernelINS0_14default_configENS1_27lower_bound_config_selectorIilEEZNS1_14transform_implILb0ES3_S5_N6thrust23THRUST_200600_302600_NS6detail15normal_iteratorINS8_7pointerIiNS8_11hip_rocprim3tagENS8_11use_defaultESE_EEEENSA_INSB_IlSD_SE_SE_EEEEZNS1_13binary_searchIS3_S5_NSA_INS8_10device_ptrIiEEEESG_SI_NS1_21lower_bound_search_opENS9_16wrapped_functionINS8_7greaterIiEEbEEEE10hipError_tPvRmT1_T2_T3_mmT4_T5_P12ihipStream_tbEUlRKiE_EESS_SW_SX_mSY_S11_bEUlT_E_NS1_11comp_targetILNS1_3genE10ELNS1_11target_archE1201ELNS1_3gpuE5ELNS1_3repE0EEENS1_30default_config_static_selectorELNS0_4arch9wavefront6targetE0EEEvSV_.uses_vcc, 0
	.set _ZN7rocprim17ROCPRIM_400000_NS6detail17trampoline_kernelINS0_14default_configENS1_27lower_bound_config_selectorIilEEZNS1_14transform_implILb0ES3_S5_N6thrust23THRUST_200600_302600_NS6detail15normal_iteratorINS8_7pointerIiNS8_11hip_rocprim3tagENS8_11use_defaultESE_EEEENSA_INSB_IlSD_SE_SE_EEEEZNS1_13binary_searchIS3_S5_NSA_INS8_10device_ptrIiEEEESG_SI_NS1_21lower_bound_search_opENS9_16wrapped_functionINS8_7greaterIiEEbEEEE10hipError_tPvRmT1_T2_T3_mmT4_T5_P12ihipStream_tbEUlRKiE_EESS_SW_SX_mSY_S11_bEUlT_E_NS1_11comp_targetILNS1_3genE10ELNS1_11target_archE1201ELNS1_3gpuE5ELNS1_3repE0EEENS1_30default_config_static_selectorELNS0_4arch9wavefront6targetE0EEEvSV_.uses_flat_scratch, 0
	.set _ZN7rocprim17ROCPRIM_400000_NS6detail17trampoline_kernelINS0_14default_configENS1_27lower_bound_config_selectorIilEEZNS1_14transform_implILb0ES3_S5_N6thrust23THRUST_200600_302600_NS6detail15normal_iteratorINS8_7pointerIiNS8_11hip_rocprim3tagENS8_11use_defaultESE_EEEENSA_INSB_IlSD_SE_SE_EEEEZNS1_13binary_searchIS3_S5_NSA_INS8_10device_ptrIiEEEESG_SI_NS1_21lower_bound_search_opENS9_16wrapped_functionINS8_7greaterIiEEbEEEE10hipError_tPvRmT1_T2_T3_mmT4_T5_P12ihipStream_tbEUlRKiE_EESS_SW_SX_mSY_S11_bEUlT_E_NS1_11comp_targetILNS1_3genE10ELNS1_11target_archE1201ELNS1_3gpuE5ELNS1_3repE0EEENS1_30default_config_static_selectorELNS0_4arch9wavefront6targetE0EEEvSV_.has_dyn_sized_stack, 0
	.set _ZN7rocprim17ROCPRIM_400000_NS6detail17trampoline_kernelINS0_14default_configENS1_27lower_bound_config_selectorIilEEZNS1_14transform_implILb0ES3_S5_N6thrust23THRUST_200600_302600_NS6detail15normal_iteratorINS8_7pointerIiNS8_11hip_rocprim3tagENS8_11use_defaultESE_EEEENSA_INSB_IlSD_SE_SE_EEEEZNS1_13binary_searchIS3_S5_NSA_INS8_10device_ptrIiEEEESG_SI_NS1_21lower_bound_search_opENS9_16wrapped_functionINS8_7greaterIiEEbEEEE10hipError_tPvRmT1_T2_T3_mmT4_T5_P12ihipStream_tbEUlRKiE_EESS_SW_SX_mSY_S11_bEUlT_E_NS1_11comp_targetILNS1_3genE10ELNS1_11target_archE1201ELNS1_3gpuE5ELNS1_3repE0EEENS1_30default_config_static_selectorELNS0_4arch9wavefront6targetE0EEEvSV_.has_recursion, 0
	.set _ZN7rocprim17ROCPRIM_400000_NS6detail17trampoline_kernelINS0_14default_configENS1_27lower_bound_config_selectorIilEEZNS1_14transform_implILb0ES3_S5_N6thrust23THRUST_200600_302600_NS6detail15normal_iteratorINS8_7pointerIiNS8_11hip_rocprim3tagENS8_11use_defaultESE_EEEENSA_INSB_IlSD_SE_SE_EEEEZNS1_13binary_searchIS3_S5_NSA_INS8_10device_ptrIiEEEESG_SI_NS1_21lower_bound_search_opENS9_16wrapped_functionINS8_7greaterIiEEbEEEE10hipError_tPvRmT1_T2_T3_mmT4_T5_P12ihipStream_tbEUlRKiE_EESS_SW_SX_mSY_S11_bEUlT_E_NS1_11comp_targetILNS1_3genE10ELNS1_11target_archE1201ELNS1_3gpuE5ELNS1_3repE0EEENS1_30default_config_static_selectorELNS0_4arch9wavefront6targetE0EEEvSV_.has_indirect_call, 0
	.section	.AMDGPU.csdata,"",@progbits
; Kernel info:
; codeLenInByte = 0
; TotalNumSgprs: 0
; NumVgprs: 0
; ScratchSize: 0
; MemoryBound: 0
; FloatMode: 240
; IeeeMode: 1
; LDSByteSize: 0 bytes/workgroup (compile time only)
; SGPRBlocks: 0
; VGPRBlocks: 0
; NumSGPRsForWavesPerEU: 1
; NumVGPRsForWavesPerEU: 1
; NamedBarCnt: 0
; Occupancy: 16
; WaveLimiterHint : 0
; COMPUTE_PGM_RSRC2:SCRATCH_EN: 0
; COMPUTE_PGM_RSRC2:USER_SGPR: 2
; COMPUTE_PGM_RSRC2:TRAP_HANDLER: 0
; COMPUTE_PGM_RSRC2:TGID_X_EN: 1
; COMPUTE_PGM_RSRC2:TGID_Y_EN: 0
; COMPUTE_PGM_RSRC2:TGID_Z_EN: 0
; COMPUTE_PGM_RSRC2:TIDIG_COMP_CNT: 0
	.section	.text._ZN7rocprim17ROCPRIM_400000_NS6detail17trampoline_kernelINS0_14default_configENS1_27lower_bound_config_selectorIilEEZNS1_14transform_implILb0ES3_S5_N6thrust23THRUST_200600_302600_NS6detail15normal_iteratorINS8_7pointerIiNS8_11hip_rocprim3tagENS8_11use_defaultESE_EEEENSA_INSB_IlSD_SE_SE_EEEEZNS1_13binary_searchIS3_S5_NSA_INS8_10device_ptrIiEEEESG_SI_NS1_21lower_bound_search_opENS9_16wrapped_functionINS8_7greaterIiEEbEEEE10hipError_tPvRmT1_T2_T3_mmT4_T5_P12ihipStream_tbEUlRKiE_EESS_SW_SX_mSY_S11_bEUlT_E_NS1_11comp_targetILNS1_3genE10ELNS1_11target_archE1200ELNS1_3gpuE4ELNS1_3repE0EEENS1_30default_config_static_selectorELNS0_4arch9wavefront6targetE0EEEvSV_,"axG",@progbits,_ZN7rocprim17ROCPRIM_400000_NS6detail17trampoline_kernelINS0_14default_configENS1_27lower_bound_config_selectorIilEEZNS1_14transform_implILb0ES3_S5_N6thrust23THRUST_200600_302600_NS6detail15normal_iteratorINS8_7pointerIiNS8_11hip_rocprim3tagENS8_11use_defaultESE_EEEENSA_INSB_IlSD_SE_SE_EEEEZNS1_13binary_searchIS3_S5_NSA_INS8_10device_ptrIiEEEESG_SI_NS1_21lower_bound_search_opENS9_16wrapped_functionINS8_7greaterIiEEbEEEE10hipError_tPvRmT1_T2_T3_mmT4_T5_P12ihipStream_tbEUlRKiE_EESS_SW_SX_mSY_S11_bEUlT_E_NS1_11comp_targetILNS1_3genE10ELNS1_11target_archE1200ELNS1_3gpuE4ELNS1_3repE0EEENS1_30default_config_static_selectorELNS0_4arch9wavefront6targetE0EEEvSV_,comdat
	.protected	_ZN7rocprim17ROCPRIM_400000_NS6detail17trampoline_kernelINS0_14default_configENS1_27lower_bound_config_selectorIilEEZNS1_14transform_implILb0ES3_S5_N6thrust23THRUST_200600_302600_NS6detail15normal_iteratorINS8_7pointerIiNS8_11hip_rocprim3tagENS8_11use_defaultESE_EEEENSA_INSB_IlSD_SE_SE_EEEEZNS1_13binary_searchIS3_S5_NSA_INS8_10device_ptrIiEEEESG_SI_NS1_21lower_bound_search_opENS9_16wrapped_functionINS8_7greaterIiEEbEEEE10hipError_tPvRmT1_T2_T3_mmT4_T5_P12ihipStream_tbEUlRKiE_EESS_SW_SX_mSY_S11_bEUlT_E_NS1_11comp_targetILNS1_3genE10ELNS1_11target_archE1200ELNS1_3gpuE4ELNS1_3repE0EEENS1_30default_config_static_selectorELNS0_4arch9wavefront6targetE0EEEvSV_ ; -- Begin function _ZN7rocprim17ROCPRIM_400000_NS6detail17trampoline_kernelINS0_14default_configENS1_27lower_bound_config_selectorIilEEZNS1_14transform_implILb0ES3_S5_N6thrust23THRUST_200600_302600_NS6detail15normal_iteratorINS8_7pointerIiNS8_11hip_rocprim3tagENS8_11use_defaultESE_EEEENSA_INSB_IlSD_SE_SE_EEEEZNS1_13binary_searchIS3_S5_NSA_INS8_10device_ptrIiEEEESG_SI_NS1_21lower_bound_search_opENS9_16wrapped_functionINS8_7greaterIiEEbEEEE10hipError_tPvRmT1_T2_T3_mmT4_T5_P12ihipStream_tbEUlRKiE_EESS_SW_SX_mSY_S11_bEUlT_E_NS1_11comp_targetILNS1_3genE10ELNS1_11target_archE1200ELNS1_3gpuE4ELNS1_3repE0EEENS1_30default_config_static_selectorELNS0_4arch9wavefront6targetE0EEEvSV_
	.globl	_ZN7rocprim17ROCPRIM_400000_NS6detail17trampoline_kernelINS0_14default_configENS1_27lower_bound_config_selectorIilEEZNS1_14transform_implILb0ES3_S5_N6thrust23THRUST_200600_302600_NS6detail15normal_iteratorINS8_7pointerIiNS8_11hip_rocprim3tagENS8_11use_defaultESE_EEEENSA_INSB_IlSD_SE_SE_EEEEZNS1_13binary_searchIS3_S5_NSA_INS8_10device_ptrIiEEEESG_SI_NS1_21lower_bound_search_opENS9_16wrapped_functionINS8_7greaterIiEEbEEEE10hipError_tPvRmT1_T2_T3_mmT4_T5_P12ihipStream_tbEUlRKiE_EESS_SW_SX_mSY_S11_bEUlT_E_NS1_11comp_targetILNS1_3genE10ELNS1_11target_archE1200ELNS1_3gpuE4ELNS1_3repE0EEENS1_30default_config_static_selectorELNS0_4arch9wavefront6targetE0EEEvSV_
	.p2align	8
	.type	_ZN7rocprim17ROCPRIM_400000_NS6detail17trampoline_kernelINS0_14default_configENS1_27lower_bound_config_selectorIilEEZNS1_14transform_implILb0ES3_S5_N6thrust23THRUST_200600_302600_NS6detail15normal_iteratorINS8_7pointerIiNS8_11hip_rocprim3tagENS8_11use_defaultESE_EEEENSA_INSB_IlSD_SE_SE_EEEEZNS1_13binary_searchIS3_S5_NSA_INS8_10device_ptrIiEEEESG_SI_NS1_21lower_bound_search_opENS9_16wrapped_functionINS8_7greaterIiEEbEEEE10hipError_tPvRmT1_T2_T3_mmT4_T5_P12ihipStream_tbEUlRKiE_EESS_SW_SX_mSY_S11_bEUlT_E_NS1_11comp_targetILNS1_3genE10ELNS1_11target_archE1200ELNS1_3gpuE4ELNS1_3repE0EEENS1_30default_config_static_selectorELNS0_4arch9wavefront6targetE0EEEvSV_,@function
_ZN7rocprim17ROCPRIM_400000_NS6detail17trampoline_kernelINS0_14default_configENS1_27lower_bound_config_selectorIilEEZNS1_14transform_implILb0ES3_S5_N6thrust23THRUST_200600_302600_NS6detail15normal_iteratorINS8_7pointerIiNS8_11hip_rocprim3tagENS8_11use_defaultESE_EEEENSA_INSB_IlSD_SE_SE_EEEEZNS1_13binary_searchIS3_S5_NSA_INS8_10device_ptrIiEEEESG_SI_NS1_21lower_bound_search_opENS9_16wrapped_functionINS8_7greaterIiEEbEEEE10hipError_tPvRmT1_T2_T3_mmT4_T5_P12ihipStream_tbEUlRKiE_EESS_SW_SX_mSY_S11_bEUlT_E_NS1_11comp_targetILNS1_3genE10ELNS1_11target_archE1200ELNS1_3gpuE4ELNS1_3repE0EEENS1_30default_config_static_selectorELNS0_4arch9wavefront6targetE0EEEvSV_: ; @_ZN7rocprim17ROCPRIM_400000_NS6detail17trampoline_kernelINS0_14default_configENS1_27lower_bound_config_selectorIilEEZNS1_14transform_implILb0ES3_S5_N6thrust23THRUST_200600_302600_NS6detail15normal_iteratorINS8_7pointerIiNS8_11hip_rocprim3tagENS8_11use_defaultESE_EEEENSA_INSB_IlSD_SE_SE_EEEEZNS1_13binary_searchIS3_S5_NSA_INS8_10device_ptrIiEEEESG_SI_NS1_21lower_bound_search_opENS9_16wrapped_functionINS8_7greaterIiEEbEEEE10hipError_tPvRmT1_T2_T3_mmT4_T5_P12ihipStream_tbEUlRKiE_EESS_SW_SX_mSY_S11_bEUlT_E_NS1_11comp_targetILNS1_3genE10ELNS1_11target_archE1200ELNS1_3gpuE4ELNS1_3repE0EEENS1_30default_config_static_selectorELNS0_4arch9wavefront6targetE0EEEvSV_
; %bb.0:
	.section	.rodata,"a",@progbits
	.p2align	6, 0x0
	.amdhsa_kernel _ZN7rocprim17ROCPRIM_400000_NS6detail17trampoline_kernelINS0_14default_configENS1_27lower_bound_config_selectorIilEEZNS1_14transform_implILb0ES3_S5_N6thrust23THRUST_200600_302600_NS6detail15normal_iteratorINS8_7pointerIiNS8_11hip_rocprim3tagENS8_11use_defaultESE_EEEENSA_INSB_IlSD_SE_SE_EEEEZNS1_13binary_searchIS3_S5_NSA_INS8_10device_ptrIiEEEESG_SI_NS1_21lower_bound_search_opENS9_16wrapped_functionINS8_7greaterIiEEbEEEE10hipError_tPvRmT1_T2_T3_mmT4_T5_P12ihipStream_tbEUlRKiE_EESS_SW_SX_mSY_S11_bEUlT_E_NS1_11comp_targetILNS1_3genE10ELNS1_11target_archE1200ELNS1_3gpuE4ELNS1_3repE0EEENS1_30default_config_static_selectorELNS0_4arch9wavefront6targetE0EEEvSV_
		.amdhsa_group_segment_fixed_size 0
		.amdhsa_private_segment_fixed_size 0
		.amdhsa_kernarg_size 56
		.amdhsa_user_sgpr_count 2
		.amdhsa_user_sgpr_dispatch_ptr 0
		.amdhsa_user_sgpr_queue_ptr 0
		.amdhsa_user_sgpr_kernarg_segment_ptr 1
		.amdhsa_user_sgpr_dispatch_id 0
		.amdhsa_user_sgpr_kernarg_preload_length 0
		.amdhsa_user_sgpr_kernarg_preload_offset 0
		.amdhsa_user_sgpr_private_segment_size 0
		.amdhsa_wavefront_size32 1
		.amdhsa_uses_dynamic_stack 0
		.amdhsa_enable_private_segment 0
		.amdhsa_system_sgpr_workgroup_id_x 1
		.amdhsa_system_sgpr_workgroup_id_y 0
		.amdhsa_system_sgpr_workgroup_id_z 0
		.amdhsa_system_sgpr_workgroup_info 0
		.amdhsa_system_vgpr_workitem_id 0
		.amdhsa_next_free_vgpr 1
		.amdhsa_next_free_sgpr 1
		.amdhsa_named_barrier_count 0
		.amdhsa_reserve_vcc 0
		.amdhsa_float_round_mode_32 0
		.amdhsa_float_round_mode_16_64 0
		.amdhsa_float_denorm_mode_32 3
		.amdhsa_float_denorm_mode_16_64 3
		.amdhsa_fp16_overflow 0
		.amdhsa_memory_ordered 1
		.amdhsa_forward_progress 1
		.amdhsa_inst_pref_size 0
		.amdhsa_round_robin_scheduling 0
		.amdhsa_exception_fp_ieee_invalid_op 0
		.amdhsa_exception_fp_denorm_src 0
		.amdhsa_exception_fp_ieee_div_zero 0
		.amdhsa_exception_fp_ieee_overflow 0
		.amdhsa_exception_fp_ieee_underflow 0
		.amdhsa_exception_fp_ieee_inexact 0
		.amdhsa_exception_int_div_zero 0
	.end_amdhsa_kernel
	.section	.text._ZN7rocprim17ROCPRIM_400000_NS6detail17trampoline_kernelINS0_14default_configENS1_27lower_bound_config_selectorIilEEZNS1_14transform_implILb0ES3_S5_N6thrust23THRUST_200600_302600_NS6detail15normal_iteratorINS8_7pointerIiNS8_11hip_rocprim3tagENS8_11use_defaultESE_EEEENSA_INSB_IlSD_SE_SE_EEEEZNS1_13binary_searchIS3_S5_NSA_INS8_10device_ptrIiEEEESG_SI_NS1_21lower_bound_search_opENS9_16wrapped_functionINS8_7greaterIiEEbEEEE10hipError_tPvRmT1_T2_T3_mmT4_T5_P12ihipStream_tbEUlRKiE_EESS_SW_SX_mSY_S11_bEUlT_E_NS1_11comp_targetILNS1_3genE10ELNS1_11target_archE1200ELNS1_3gpuE4ELNS1_3repE0EEENS1_30default_config_static_selectorELNS0_4arch9wavefront6targetE0EEEvSV_,"axG",@progbits,_ZN7rocprim17ROCPRIM_400000_NS6detail17trampoline_kernelINS0_14default_configENS1_27lower_bound_config_selectorIilEEZNS1_14transform_implILb0ES3_S5_N6thrust23THRUST_200600_302600_NS6detail15normal_iteratorINS8_7pointerIiNS8_11hip_rocprim3tagENS8_11use_defaultESE_EEEENSA_INSB_IlSD_SE_SE_EEEEZNS1_13binary_searchIS3_S5_NSA_INS8_10device_ptrIiEEEESG_SI_NS1_21lower_bound_search_opENS9_16wrapped_functionINS8_7greaterIiEEbEEEE10hipError_tPvRmT1_T2_T3_mmT4_T5_P12ihipStream_tbEUlRKiE_EESS_SW_SX_mSY_S11_bEUlT_E_NS1_11comp_targetILNS1_3genE10ELNS1_11target_archE1200ELNS1_3gpuE4ELNS1_3repE0EEENS1_30default_config_static_selectorELNS0_4arch9wavefront6targetE0EEEvSV_,comdat
.Lfunc_end27:
	.size	_ZN7rocprim17ROCPRIM_400000_NS6detail17trampoline_kernelINS0_14default_configENS1_27lower_bound_config_selectorIilEEZNS1_14transform_implILb0ES3_S5_N6thrust23THRUST_200600_302600_NS6detail15normal_iteratorINS8_7pointerIiNS8_11hip_rocprim3tagENS8_11use_defaultESE_EEEENSA_INSB_IlSD_SE_SE_EEEEZNS1_13binary_searchIS3_S5_NSA_INS8_10device_ptrIiEEEESG_SI_NS1_21lower_bound_search_opENS9_16wrapped_functionINS8_7greaterIiEEbEEEE10hipError_tPvRmT1_T2_T3_mmT4_T5_P12ihipStream_tbEUlRKiE_EESS_SW_SX_mSY_S11_bEUlT_E_NS1_11comp_targetILNS1_3genE10ELNS1_11target_archE1200ELNS1_3gpuE4ELNS1_3repE0EEENS1_30default_config_static_selectorELNS0_4arch9wavefront6targetE0EEEvSV_, .Lfunc_end27-_ZN7rocprim17ROCPRIM_400000_NS6detail17trampoline_kernelINS0_14default_configENS1_27lower_bound_config_selectorIilEEZNS1_14transform_implILb0ES3_S5_N6thrust23THRUST_200600_302600_NS6detail15normal_iteratorINS8_7pointerIiNS8_11hip_rocprim3tagENS8_11use_defaultESE_EEEENSA_INSB_IlSD_SE_SE_EEEEZNS1_13binary_searchIS3_S5_NSA_INS8_10device_ptrIiEEEESG_SI_NS1_21lower_bound_search_opENS9_16wrapped_functionINS8_7greaterIiEEbEEEE10hipError_tPvRmT1_T2_T3_mmT4_T5_P12ihipStream_tbEUlRKiE_EESS_SW_SX_mSY_S11_bEUlT_E_NS1_11comp_targetILNS1_3genE10ELNS1_11target_archE1200ELNS1_3gpuE4ELNS1_3repE0EEENS1_30default_config_static_selectorELNS0_4arch9wavefront6targetE0EEEvSV_
                                        ; -- End function
	.set _ZN7rocprim17ROCPRIM_400000_NS6detail17trampoline_kernelINS0_14default_configENS1_27lower_bound_config_selectorIilEEZNS1_14transform_implILb0ES3_S5_N6thrust23THRUST_200600_302600_NS6detail15normal_iteratorINS8_7pointerIiNS8_11hip_rocprim3tagENS8_11use_defaultESE_EEEENSA_INSB_IlSD_SE_SE_EEEEZNS1_13binary_searchIS3_S5_NSA_INS8_10device_ptrIiEEEESG_SI_NS1_21lower_bound_search_opENS9_16wrapped_functionINS8_7greaterIiEEbEEEE10hipError_tPvRmT1_T2_T3_mmT4_T5_P12ihipStream_tbEUlRKiE_EESS_SW_SX_mSY_S11_bEUlT_E_NS1_11comp_targetILNS1_3genE10ELNS1_11target_archE1200ELNS1_3gpuE4ELNS1_3repE0EEENS1_30default_config_static_selectorELNS0_4arch9wavefront6targetE0EEEvSV_.num_vgpr, 0
	.set _ZN7rocprim17ROCPRIM_400000_NS6detail17trampoline_kernelINS0_14default_configENS1_27lower_bound_config_selectorIilEEZNS1_14transform_implILb0ES3_S5_N6thrust23THRUST_200600_302600_NS6detail15normal_iteratorINS8_7pointerIiNS8_11hip_rocprim3tagENS8_11use_defaultESE_EEEENSA_INSB_IlSD_SE_SE_EEEEZNS1_13binary_searchIS3_S5_NSA_INS8_10device_ptrIiEEEESG_SI_NS1_21lower_bound_search_opENS9_16wrapped_functionINS8_7greaterIiEEbEEEE10hipError_tPvRmT1_T2_T3_mmT4_T5_P12ihipStream_tbEUlRKiE_EESS_SW_SX_mSY_S11_bEUlT_E_NS1_11comp_targetILNS1_3genE10ELNS1_11target_archE1200ELNS1_3gpuE4ELNS1_3repE0EEENS1_30default_config_static_selectorELNS0_4arch9wavefront6targetE0EEEvSV_.num_agpr, 0
	.set _ZN7rocprim17ROCPRIM_400000_NS6detail17trampoline_kernelINS0_14default_configENS1_27lower_bound_config_selectorIilEEZNS1_14transform_implILb0ES3_S5_N6thrust23THRUST_200600_302600_NS6detail15normal_iteratorINS8_7pointerIiNS8_11hip_rocprim3tagENS8_11use_defaultESE_EEEENSA_INSB_IlSD_SE_SE_EEEEZNS1_13binary_searchIS3_S5_NSA_INS8_10device_ptrIiEEEESG_SI_NS1_21lower_bound_search_opENS9_16wrapped_functionINS8_7greaterIiEEbEEEE10hipError_tPvRmT1_T2_T3_mmT4_T5_P12ihipStream_tbEUlRKiE_EESS_SW_SX_mSY_S11_bEUlT_E_NS1_11comp_targetILNS1_3genE10ELNS1_11target_archE1200ELNS1_3gpuE4ELNS1_3repE0EEENS1_30default_config_static_selectorELNS0_4arch9wavefront6targetE0EEEvSV_.numbered_sgpr, 0
	.set _ZN7rocprim17ROCPRIM_400000_NS6detail17trampoline_kernelINS0_14default_configENS1_27lower_bound_config_selectorIilEEZNS1_14transform_implILb0ES3_S5_N6thrust23THRUST_200600_302600_NS6detail15normal_iteratorINS8_7pointerIiNS8_11hip_rocprim3tagENS8_11use_defaultESE_EEEENSA_INSB_IlSD_SE_SE_EEEEZNS1_13binary_searchIS3_S5_NSA_INS8_10device_ptrIiEEEESG_SI_NS1_21lower_bound_search_opENS9_16wrapped_functionINS8_7greaterIiEEbEEEE10hipError_tPvRmT1_T2_T3_mmT4_T5_P12ihipStream_tbEUlRKiE_EESS_SW_SX_mSY_S11_bEUlT_E_NS1_11comp_targetILNS1_3genE10ELNS1_11target_archE1200ELNS1_3gpuE4ELNS1_3repE0EEENS1_30default_config_static_selectorELNS0_4arch9wavefront6targetE0EEEvSV_.num_named_barrier, 0
	.set _ZN7rocprim17ROCPRIM_400000_NS6detail17trampoline_kernelINS0_14default_configENS1_27lower_bound_config_selectorIilEEZNS1_14transform_implILb0ES3_S5_N6thrust23THRUST_200600_302600_NS6detail15normal_iteratorINS8_7pointerIiNS8_11hip_rocprim3tagENS8_11use_defaultESE_EEEENSA_INSB_IlSD_SE_SE_EEEEZNS1_13binary_searchIS3_S5_NSA_INS8_10device_ptrIiEEEESG_SI_NS1_21lower_bound_search_opENS9_16wrapped_functionINS8_7greaterIiEEbEEEE10hipError_tPvRmT1_T2_T3_mmT4_T5_P12ihipStream_tbEUlRKiE_EESS_SW_SX_mSY_S11_bEUlT_E_NS1_11comp_targetILNS1_3genE10ELNS1_11target_archE1200ELNS1_3gpuE4ELNS1_3repE0EEENS1_30default_config_static_selectorELNS0_4arch9wavefront6targetE0EEEvSV_.private_seg_size, 0
	.set _ZN7rocprim17ROCPRIM_400000_NS6detail17trampoline_kernelINS0_14default_configENS1_27lower_bound_config_selectorIilEEZNS1_14transform_implILb0ES3_S5_N6thrust23THRUST_200600_302600_NS6detail15normal_iteratorINS8_7pointerIiNS8_11hip_rocprim3tagENS8_11use_defaultESE_EEEENSA_INSB_IlSD_SE_SE_EEEEZNS1_13binary_searchIS3_S5_NSA_INS8_10device_ptrIiEEEESG_SI_NS1_21lower_bound_search_opENS9_16wrapped_functionINS8_7greaterIiEEbEEEE10hipError_tPvRmT1_T2_T3_mmT4_T5_P12ihipStream_tbEUlRKiE_EESS_SW_SX_mSY_S11_bEUlT_E_NS1_11comp_targetILNS1_3genE10ELNS1_11target_archE1200ELNS1_3gpuE4ELNS1_3repE0EEENS1_30default_config_static_selectorELNS0_4arch9wavefront6targetE0EEEvSV_.uses_vcc, 0
	.set _ZN7rocprim17ROCPRIM_400000_NS6detail17trampoline_kernelINS0_14default_configENS1_27lower_bound_config_selectorIilEEZNS1_14transform_implILb0ES3_S5_N6thrust23THRUST_200600_302600_NS6detail15normal_iteratorINS8_7pointerIiNS8_11hip_rocprim3tagENS8_11use_defaultESE_EEEENSA_INSB_IlSD_SE_SE_EEEEZNS1_13binary_searchIS3_S5_NSA_INS8_10device_ptrIiEEEESG_SI_NS1_21lower_bound_search_opENS9_16wrapped_functionINS8_7greaterIiEEbEEEE10hipError_tPvRmT1_T2_T3_mmT4_T5_P12ihipStream_tbEUlRKiE_EESS_SW_SX_mSY_S11_bEUlT_E_NS1_11comp_targetILNS1_3genE10ELNS1_11target_archE1200ELNS1_3gpuE4ELNS1_3repE0EEENS1_30default_config_static_selectorELNS0_4arch9wavefront6targetE0EEEvSV_.uses_flat_scratch, 0
	.set _ZN7rocprim17ROCPRIM_400000_NS6detail17trampoline_kernelINS0_14default_configENS1_27lower_bound_config_selectorIilEEZNS1_14transform_implILb0ES3_S5_N6thrust23THRUST_200600_302600_NS6detail15normal_iteratorINS8_7pointerIiNS8_11hip_rocprim3tagENS8_11use_defaultESE_EEEENSA_INSB_IlSD_SE_SE_EEEEZNS1_13binary_searchIS3_S5_NSA_INS8_10device_ptrIiEEEESG_SI_NS1_21lower_bound_search_opENS9_16wrapped_functionINS8_7greaterIiEEbEEEE10hipError_tPvRmT1_T2_T3_mmT4_T5_P12ihipStream_tbEUlRKiE_EESS_SW_SX_mSY_S11_bEUlT_E_NS1_11comp_targetILNS1_3genE10ELNS1_11target_archE1200ELNS1_3gpuE4ELNS1_3repE0EEENS1_30default_config_static_selectorELNS0_4arch9wavefront6targetE0EEEvSV_.has_dyn_sized_stack, 0
	.set _ZN7rocprim17ROCPRIM_400000_NS6detail17trampoline_kernelINS0_14default_configENS1_27lower_bound_config_selectorIilEEZNS1_14transform_implILb0ES3_S5_N6thrust23THRUST_200600_302600_NS6detail15normal_iteratorINS8_7pointerIiNS8_11hip_rocprim3tagENS8_11use_defaultESE_EEEENSA_INSB_IlSD_SE_SE_EEEEZNS1_13binary_searchIS3_S5_NSA_INS8_10device_ptrIiEEEESG_SI_NS1_21lower_bound_search_opENS9_16wrapped_functionINS8_7greaterIiEEbEEEE10hipError_tPvRmT1_T2_T3_mmT4_T5_P12ihipStream_tbEUlRKiE_EESS_SW_SX_mSY_S11_bEUlT_E_NS1_11comp_targetILNS1_3genE10ELNS1_11target_archE1200ELNS1_3gpuE4ELNS1_3repE0EEENS1_30default_config_static_selectorELNS0_4arch9wavefront6targetE0EEEvSV_.has_recursion, 0
	.set _ZN7rocprim17ROCPRIM_400000_NS6detail17trampoline_kernelINS0_14default_configENS1_27lower_bound_config_selectorIilEEZNS1_14transform_implILb0ES3_S5_N6thrust23THRUST_200600_302600_NS6detail15normal_iteratorINS8_7pointerIiNS8_11hip_rocprim3tagENS8_11use_defaultESE_EEEENSA_INSB_IlSD_SE_SE_EEEEZNS1_13binary_searchIS3_S5_NSA_INS8_10device_ptrIiEEEESG_SI_NS1_21lower_bound_search_opENS9_16wrapped_functionINS8_7greaterIiEEbEEEE10hipError_tPvRmT1_T2_T3_mmT4_T5_P12ihipStream_tbEUlRKiE_EESS_SW_SX_mSY_S11_bEUlT_E_NS1_11comp_targetILNS1_3genE10ELNS1_11target_archE1200ELNS1_3gpuE4ELNS1_3repE0EEENS1_30default_config_static_selectorELNS0_4arch9wavefront6targetE0EEEvSV_.has_indirect_call, 0
	.section	.AMDGPU.csdata,"",@progbits
; Kernel info:
; codeLenInByte = 0
; TotalNumSgprs: 0
; NumVgprs: 0
; ScratchSize: 0
; MemoryBound: 0
; FloatMode: 240
; IeeeMode: 1
; LDSByteSize: 0 bytes/workgroup (compile time only)
; SGPRBlocks: 0
; VGPRBlocks: 0
; NumSGPRsForWavesPerEU: 1
; NumVGPRsForWavesPerEU: 1
; NamedBarCnt: 0
; Occupancy: 16
; WaveLimiterHint : 0
; COMPUTE_PGM_RSRC2:SCRATCH_EN: 0
; COMPUTE_PGM_RSRC2:USER_SGPR: 2
; COMPUTE_PGM_RSRC2:TRAP_HANDLER: 0
; COMPUTE_PGM_RSRC2:TGID_X_EN: 1
; COMPUTE_PGM_RSRC2:TGID_Y_EN: 0
; COMPUTE_PGM_RSRC2:TGID_Z_EN: 0
; COMPUTE_PGM_RSRC2:TIDIG_COMP_CNT: 0
	.section	.text._ZN7rocprim17ROCPRIM_400000_NS6detail17trampoline_kernelINS0_14default_configENS1_27lower_bound_config_selectorIilEEZNS1_14transform_implILb0ES3_S5_N6thrust23THRUST_200600_302600_NS6detail15normal_iteratorINS8_7pointerIiNS8_11hip_rocprim3tagENS8_11use_defaultESE_EEEENSA_INSB_IlSD_SE_SE_EEEEZNS1_13binary_searchIS3_S5_NSA_INS8_10device_ptrIiEEEESG_SI_NS1_21lower_bound_search_opENS9_16wrapped_functionINS8_7greaterIiEEbEEEE10hipError_tPvRmT1_T2_T3_mmT4_T5_P12ihipStream_tbEUlRKiE_EESS_SW_SX_mSY_S11_bEUlT_E_NS1_11comp_targetILNS1_3genE9ELNS1_11target_archE1100ELNS1_3gpuE3ELNS1_3repE0EEENS1_30default_config_static_selectorELNS0_4arch9wavefront6targetE0EEEvSV_,"axG",@progbits,_ZN7rocprim17ROCPRIM_400000_NS6detail17trampoline_kernelINS0_14default_configENS1_27lower_bound_config_selectorIilEEZNS1_14transform_implILb0ES3_S5_N6thrust23THRUST_200600_302600_NS6detail15normal_iteratorINS8_7pointerIiNS8_11hip_rocprim3tagENS8_11use_defaultESE_EEEENSA_INSB_IlSD_SE_SE_EEEEZNS1_13binary_searchIS3_S5_NSA_INS8_10device_ptrIiEEEESG_SI_NS1_21lower_bound_search_opENS9_16wrapped_functionINS8_7greaterIiEEbEEEE10hipError_tPvRmT1_T2_T3_mmT4_T5_P12ihipStream_tbEUlRKiE_EESS_SW_SX_mSY_S11_bEUlT_E_NS1_11comp_targetILNS1_3genE9ELNS1_11target_archE1100ELNS1_3gpuE3ELNS1_3repE0EEENS1_30default_config_static_selectorELNS0_4arch9wavefront6targetE0EEEvSV_,comdat
	.protected	_ZN7rocprim17ROCPRIM_400000_NS6detail17trampoline_kernelINS0_14default_configENS1_27lower_bound_config_selectorIilEEZNS1_14transform_implILb0ES3_S5_N6thrust23THRUST_200600_302600_NS6detail15normal_iteratorINS8_7pointerIiNS8_11hip_rocprim3tagENS8_11use_defaultESE_EEEENSA_INSB_IlSD_SE_SE_EEEEZNS1_13binary_searchIS3_S5_NSA_INS8_10device_ptrIiEEEESG_SI_NS1_21lower_bound_search_opENS9_16wrapped_functionINS8_7greaterIiEEbEEEE10hipError_tPvRmT1_T2_T3_mmT4_T5_P12ihipStream_tbEUlRKiE_EESS_SW_SX_mSY_S11_bEUlT_E_NS1_11comp_targetILNS1_3genE9ELNS1_11target_archE1100ELNS1_3gpuE3ELNS1_3repE0EEENS1_30default_config_static_selectorELNS0_4arch9wavefront6targetE0EEEvSV_ ; -- Begin function _ZN7rocprim17ROCPRIM_400000_NS6detail17trampoline_kernelINS0_14default_configENS1_27lower_bound_config_selectorIilEEZNS1_14transform_implILb0ES3_S5_N6thrust23THRUST_200600_302600_NS6detail15normal_iteratorINS8_7pointerIiNS8_11hip_rocprim3tagENS8_11use_defaultESE_EEEENSA_INSB_IlSD_SE_SE_EEEEZNS1_13binary_searchIS3_S5_NSA_INS8_10device_ptrIiEEEESG_SI_NS1_21lower_bound_search_opENS9_16wrapped_functionINS8_7greaterIiEEbEEEE10hipError_tPvRmT1_T2_T3_mmT4_T5_P12ihipStream_tbEUlRKiE_EESS_SW_SX_mSY_S11_bEUlT_E_NS1_11comp_targetILNS1_3genE9ELNS1_11target_archE1100ELNS1_3gpuE3ELNS1_3repE0EEENS1_30default_config_static_selectorELNS0_4arch9wavefront6targetE0EEEvSV_
	.globl	_ZN7rocprim17ROCPRIM_400000_NS6detail17trampoline_kernelINS0_14default_configENS1_27lower_bound_config_selectorIilEEZNS1_14transform_implILb0ES3_S5_N6thrust23THRUST_200600_302600_NS6detail15normal_iteratorINS8_7pointerIiNS8_11hip_rocprim3tagENS8_11use_defaultESE_EEEENSA_INSB_IlSD_SE_SE_EEEEZNS1_13binary_searchIS3_S5_NSA_INS8_10device_ptrIiEEEESG_SI_NS1_21lower_bound_search_opENS9_16wrapped_functionINS8_7greaterIiEEbEEEE10hipError_tPvRmT1_T2_T3_mmT4_T5_P12ihipStream_tbEUlRKiE_EESS_SW_SX_mSY_S11_bEUlT_E_NS1_11comp_targetILNS1_3genE9ELNS1_11target_archE1100ELNS1_3gpuE3ELNS1_3repE0EEENS1_30default_config_static_selectorELNS0_4arch9wavefront6targetE0EEEvSV_
	.p2align	8
	.type	_ZN7rocprim17ROCPRIM_400000_NS6detail17trampoline_kernelINS0_14default_configENS1_27lower_bound_config_selectorIilEEZNS1_14transform_implILb0ES3_S5_N6thrust23THRUST_200600_302600_NS6detail15normal_iteratorINS8_7pointerIiNS8_11hip_rocprim3tagENS8_11use_defaultESE_EEEENSA_INSB_IlSD_SE_SE_EEEEZNS1_13binary_searchIS3_S5_NSA_INS8_10device_ptrIiEEEESG_SI_NS1_21lower_bound_search_opENS9_16wrapped_functionINS8_7greaterIiEEbEEEE10hipError_tPvRmT1_T2_T3_mmT4_T5_P12ihipStream_tbEUlRKiE_EESS_SW_SX_mSY_S11_bEUlT_E_NS1_11comp_targetILNS1_3genE9ELNS1_11target_archE1100ELNS1_3gpuE3ELNS1_3repE0EEENS1_30default_config_static_selectorELNS0_4arch9wavefront6targetE0EEEvSV_,@function
_ZN7rocprim17ROCPRIM_400000_NS6detail17trampoline_kernelINS0_14default_configENS1_27lower_bound_config_selectorIilEEZNS1_14transform_implILb0ES3_S5_N6thrust23THRUST_200600_302600_NS6detail15normal_iteratorINS8_7pointerIiNS8_11hip_rocprim3tagENS8_11use_defaultESE_EEEENSA_INSB_IlSD_SE_SE_EEEEZNS1_13binary_searchIS3_S5_NSA_INS8_10device_ptrIiEEEESG_SI_NS1_21lower_bound_search_opENS9_16wrapped_functionINS8_7greaterIiEEbEEEE10hipError_tPvRmT1_T2_T3_mmT4_T5_P12ihipStream_tbEUlRKiE_EESS_SW_SX_mSY_S11_bEUlT_E_NS1_11comp_targetILNS1_3genE9ELNS1_11target_archE1100ELNS1_3gpuE3ELNS1_3repE0EEENS1_30default_config_static_selectorELNS0_4arch9wavefront6targetE0EEEvSV_: ; @_ZN7rocprim17ROCPRIM_400000_NS6detail17trampoline_kernelINS0_14default_configENS1_27lower_bound_config_selectorIilEEZNS1_14transform_implILb0ES3_S5_N6thrust23THRUST_200600_302600_NS6detail15normal_iteratorINS8_7pointerIiNS8_11hip_rocprim3tagENS8_11use_defaultESE_EEEENSA_INSB_IlSD_SE_SE_EEEEZNS1_13binary_searchIS3_S5_NSA_INS8_10device_ptrIiEEEESG_SI_NS1_21lower_bound_search_opENS9_16wrapped_functionINS8_7greaterIiEEbEEEE10hipError_tPvRmT1_T2_T3_mmT4_T5_P12ihipStream_tbEUlRKiE_EESS_SW_SX_mSY_S11_bEUlT_E_NS1_11comp_targetILNS1_3genE9ELNS1_11target_archE1100ELNS1_3gpuE3ELNS1_3repE0EEENS1_30default_config_static_selectorELNS0_4arch9wavefront6targetE0EEEvSV_
; %bb.0:
	.section	.rodata,"a",@progbits
	.p2align	6, 0x0
	.amdhsa_kernel _ZN7rocprim17ROCPRIM_400000_NS6detail17trampoline_kernelINS0_14default_configENS1_27lower_bound_config_selectorIilEEZNS1_14transform_implILb0ES3_S5_N6thrust23THRUST_200600_302600_NS6detail15normal_iteratorINS8_7pointerIiNS8_11hip_rocprim3tagENS8_11use_defaultESE_EEEENSA_INSB_IlSD_SE_SE_EEEEZNS1_13binary_searchIS3_S5_NSA_INS8_10device_ptrIiEEEESG_SI_NS1_21lower_bound_search_opENS9_16wrapped_functionINS8_7greaterIiEEbEEEE10hipError_tPvRmT1_T2_T3_mmT4_T5_P12ihipStream_tbEUlRKiE_EESS_SW_SX_mSY_S11_bEUlT_E_NS1_11comp_targetILNS1_3genE9ELNS1_11target_archE1100ELNS1_3gpuE3ELNS1_3repE0EEENS1_30default_config_static_selectorELNS0_4arch9wavefront6targetE0EEEvSV_
		.amdhsa_group_segment_fixed_size 0
		.amdhsa_private_segment_fixed_size 0
		.amdhsa_kernarg_size 56
		.amdhsa_user_sgpr_count 2
		.amdhsa_user_sgpr_dispatch_ptr 0
		.amdhsa_user_sgpr_queue_ptr 0
		.amdhsa_user_sgpr_kernarg_segment_ptr 1
		.amdhsa_user_sgpr_dispatch_id 0
		.amdhsa_user_sgpr_kernarg_preload_length 0
		.amdhsa_user_sgpr_kernarg_preload_offset 0
		.amdhsa_user_sgpr_private_segment_size 0
		.amdhsa_wavefront_size32 1
		.amdhsa_uses_dynamic_stack 0
		.amdhsa_enable_private_segment 0
		.amdhsa_system_sgpr_workgroup_id_x 1
		.amdhsa_system_sgpr_workgroup_id_y 0
		.amdhsa_system_sgpr_workgroup_id_z 0
		.amdhsa_system_sgpr_workgroup_info 0
		.amdhsa_system_vgpr_workitem_id 0
		.amdhsa_next_free_vgpr 1
		.amdhsa_next_free_sgpr 1
		.amdhsa_named_barrier_count 0
		.amdhsa_reserve_vcc 0
		.amdhsa_float_round_mode_32 0
		.amdhsa_float_round_mode_16_64 0
		.amdhsa_float_denorm_mode_32 3
		.amdhsa_float_denorm_mode_16_64 3
		.amdhsa_fp16_overflow 0
		.amdhsa_memory_ordered 1
		.amdhsa_forward_progress 1
		.amdhsa_inst_pref_size 0
		.amdhsa_round_robin_scheduling 0
		.amdhsa_exception_fp_ieee_invalid_op 0
		.amdhsa_exception_fp_denorm_src 0
		.amdhsa_exception_fp_ieee_div_zero 0
		.amdhsa_exception_fp_ieee_overflow 0
		.amdhsa_exception_fp_ieee_underflow 0
		.amdhsa_exception_fp_ieee_inexact 0
		.amdhsa_exception_int_div_zero 0
	.end_amdhsa_kernel
	.section	.text._ZN7rocprim17ROCPRIM_400000_NS6detail17trampoline_kernelINS0_14default_configENS1_27lower_bound_config_selectorIilEEZNS1_14transform_implILb0ES3_S5_N6thrust23THRUST_200600_302600_NS6detail15normal_iteratorINS8_7pointerIiNS8_11hip_rocprim3tagENS8_11use_defaultESE_EEEENSA_INSB_IlSD_SE_SE_EEEEZNS1_13binary_searchIS3_S5_NSA_INS8_10device_ptrIiEEEESG_SI_NS1_21lower_bound_search_opENS9_16wrapped_functionINS8_7greaterIiEEbEEEE10hipError_tPvRmT1_T2_T3_mmT4_T5_P12ihipStream_tbEUlRKiE_EESS_SW_SX_mSY_S11_bEUlT_E_NS1_11comp_targetILNS1_3genE9ELNS1_11target_archE1100ELNS1_3gpuE3ELNS1_3repE0EEENS1_30default_config_static_selectorELNS0_4arch9wavefront6targetE0EEEvSV_,"axG",@progbits,_ZN7rocprim17ROCPRIM_400000_NS6detail17trampoline_kernelINS0_14default_configENS1_27lower_bound_config_selectorIilEEZNS1_14transform_implILb0ES3_S5_N6thrust23THRUST_200600_302600_NS6detail15normal_iteratorINS8_7pointerIiNS8_11hip_rocprim3tagENS8_11use_defaultESE_EEEENSA_INSB_IlSD_SE_SE_EEEEZNS1_13binary_searchIS3_S5_NSA_INS8_10device_ptrIiEEEESG_SI_NS1_21lower_bound_search_opENS9_16wrapped_functionINS8_7greaterIiEEbEEEE10hipError_tPvRmT1_T2_T3_mmT4_T5_P12ihipStream_tbEUlRKiE_EESS_SW_SX_mSY_S11_bEUlT_E_NS1_11comp_targetILNS1_3genE9ELNS1_11target_archE1100ELNS1_3gpuE3ELNS1_3repE0EEENS1_30default_config_static_selectorELNS0_4arch9wavefront6targetE0EEEvSV_,comdat
.Lfunc_end28:
	.size	_ZN7rocprim17ROCPRIM_400000_NS6detail17trampoline_kernelINS0_14default_configENS1_27lower_bound_config_selectorIilEEZNS1_14transform_implILb0ES3_S5_N6thrust23THRUST_200600_302600_NS6detail15normal_iteratorINS8_7pointerIiNS8_11hip_rocprim3tagENS8_11use_defaultESE_EEEENSA_INSB_IlSD_SE_SE_EEEEZNS1_13binary_searchIS3_S5_NSA_INS8_10device_ptrIiEEEESG_SI_NS1_21lower_bound_search_opENS9_16wrapped_functionINS8_7greaterIiEEbEEEE10hipError_tPvRmT1_T2_T3_mmT4_T5_P12ihipStream_tbEUlRKiE_EESS_SW_SX_mSY_S11_bEUlT_E_NS1_11comp_targetILNS1_3genE9ELNS1_11target_archE1100ELNS1_3gpuE3ELNS1_3repE0EEENS1_30default_config_static_selectorELNS0_4arch9wavefront6targetE0EEEvSV_, .Lfunc_end28-_ZN7rocprim17ROCPRIM_400000_NS6detail17trampoline_kernelINS0_14default_configENS1_27lower_bound_config_selectorIilEEZNS1_14transform_implILb0ES3_S5_N6thrust23THRUST_200600_302600_NS6detail15normal_iteratorINS8_7pointerIiNS8_11hip_rocprim3tagENS8_11use_defaultESE_EEEENSA_INSB_IlSD_SE_SE_EEEEZNS1_13binary_searchIS3_S5_NSA_INS8_10device_ptrIiEEEESG_SI_NS1_21lower_bound_search_opENS9_16wrapped_functionINS8_7greaterIiEEbEEEE10hipError_tPvRmT1_T2_T3_mmT4_T5_P12ihipStream_tbEUlRKiE_EESS_SW_SX_mSY_S11_bEUlT_E_NS1_11comp_targetILNS1_3genE9ELNS1_11target_archE1100ELNS1_3gpuE3ELNS1_3repE0EEENS1_30default_config_static_selectorELNS0_4arch9wavefront6targetE0EEEvSV_
                                        ; -- End function
	.set _ZN7rocprim17ROCPRIM_400000_NS6detail17trampoline_kernelINS0_14default_configENS1_27lower_bound_config_selectorIilEEZNS1_14transform_implILb0ES3_S5_N6thrust23THRUST_200600_302600_NS6detail15normal_iteratorINS8_7pointerIiNS8_11hip_rocprim3tagENS8_11use_defaultESE_EEEENSA_INSB_IlSD_SE_SE_EEEEZNS1_13binary_searchIS3_S5_NSA_INS8_10device_ptrIiEEEESG_SI_NS1_21lower_bound_search_opENS9_16wrapped_functionINS8_7greaterIiEEbEEEE10hipError_tPvRmT1_T2_T3_mmT4_T5_P12ihipStream_tbEUlRKiE_EESS_SW_SX_mSY_S11_bEUlT_E_NS1_11comp_targetILNS1_3genE9ELNS1_11target_archE1100ELNS1_3gpuE3ELNS1_3repE0EEENS1_30default_config_static_selectorELNS0_4arch9wavefront6targetE0EEEvSV_.num_vgpr, 0
	.set _ZN7rocprim17ROCPRIM_400000_NS6detail17trampoline_kernelINS0_14default_configENS1_27lower_bound_config_selectorIilEEZNS1_14transform_implILb0ES3_S5_N6thrust23THRUST_200600_302600_NS6detail15normal_iteratorINS8_7pointerIiNS8_11hip_rocprim3tagENS8_11use_defaultESE_EEEENSA_INSB_IlSD_SE_SE_EEEEZNS1_13binary_searchIS3_S5_NSA_INS8_10device_ptrIiEEEESG_SI_NS1_21lower_bound_search_opENS9_16wrapped_functionINS8_7greaterIiEEbEEEE10hipError_tPvRmT1_T2_T3_mmT4_T5_P12ihipStream_tbEUlRKiE_EESS_SW_SX_mSY_S11_bEUlT_E_NS1_11comp_targetILNS1_3genE9ELNS1_11target_archE1100ELNS1_3gpuE3ELNS1_3repE0EEENS1_30default_config_static_selectorELNS0_4arch9wavefront6targetE0EEEvSV_.num_agpr, 0
	.set _ZN7rocprim17ROCPRIM_400000_NS6detail17trampoline_kernelINS0_14default_configENS1_27lower_bound_config_selectorIilEEZNS1_14transform_implILb0ES3_S5_N6thrust23THRUST_200600_302600_NS6detail15normal_iteratorINS8_7pointerIiNS8_11hip_rocprim3tagENS8_11use_defaultESE_EEEENSA_INSB_IlSD_SE_SE_EEEEZNS1_13binary_searchIS3_S5_NSA_INS8_10device_ptrIiEEEESG_SI_NS1_21lower_bound_search_opENS9_16wrapped_functionINS8_7greaterIiEEbEEEE10hipError_tPvRmT1_T2_T3_mmT4_T5_P12ihipStream_tbEUlRKiE_EESS_SW_SX_mSY_S11_bEUlT_E_NS1_11comp_targetILNS1_3genE9ELNS1_11target_archE1100ELNS1_3gpuE3ELNS1_3repE0EEENS1_30default_config_static_selectorELNS0_4arch9wavefront6targetE0EEEvSV_.numbered_sgpr, 0
	.set _ZN7rocprim17ROCPRIM_400000_NS6detail17trampoline_kernelINS0_14default_configENS1_27lower_bound_config_selectorIilEEZNS1_14transform_implILb0ES3_S5_N6thrust23THRUST_200600_302600_NS6detail15normal_iteratorINS8_7pointerIiNS8_11hip_rocprim3tagENS8_11use_defaultESE_EEEENSA_INSB_IlSD_SE_SE_EEEEZNS1_13binary_searchIS3_S5_NSA_INS8_10device_ptrIiEEEESG_SI_NS1_21lower_bound_search_opENS9_16wrapped_functionINS8_7greaterIiEEbEEEE10hipError_tPvRmT1_T2_T3_mmT4_T5_P12ihipStream_tbEUlRKiE_EESS_SW_SX_mSY_S11_bEUlT_E_NS1_11comp_targetILNS1_3genE9ELNS1_11target_archE1100ELNS1_3gpuE3ELNS1_3repE0EEENS1_30default_config_static_selectorELNS0_4arch9wavefront6targetE0EEEvSV_.num_named_barrier, 0
	.set _ZN7rocprim17ROCPRIM_400000_NS6detail17trampoline_kernelINS0_14default_configENS1_27lower_bound_config_selectorIilEEZNS1_14transform_implILb0ES3_S5_N6thrust23THRUST_200600_302600_NS6detail15normal_iteratorINS8_7pointerIiNS8_11hip_rocprim3tagENS8_11use_defaultESE_EEEENSA_INSB_IlSD_SE_SE_EEEEZNS1_13binary_searchIS3_S5_NSA_INS8_10device_ptrIiEEEESG_SI_NS1_21lower_bound_search_opENS9_16wrapped_functionINS8_7greaterIiEEbEEEE10hipError_tPvRmT1_T2_T3_mmT4_T5_P12ihipStream_tbEUlRKiE_EESS_SW_SX_mSY_S11_bEUlT_E_NS1_11comp_targetILNS1_3genE9ELNS1_11target_archE1100ELNS1_3gpuE3ELNS1_3repE0EEENS1_30default_config_static_selectorELNS0_4arch9wavefront6targetE0EEEvSV_.private_seg_size, 0
	.set _ZN7rocprim17ROCPRIM_400000_NS6detail17trampoline_kernelINS0_14default_configENS1_27lower_bound_config_selectorIilEEZNS1_14transform_implILb0ES3_S5_N6thrust23THRUST_200600_302600_NS6detail15normal_iteratorINS8_7pointerIiNS8_11hip_rocprim3tagENS8_11use_defaultESE_EEEENSA_INSB_IlSD_SE_SE_EEEEZNS1_13binary_searchIS3_S5_NSA_INS8_10device_ptrIiEEEESG_SI_NS1_21lower_bound_search_opENS9_16wrapped_functionINS8_7greaterIiEEbEEEE10hipError_tPvRmT1_T2_T3_mmT4_T5_P12ihipStream_tbEUlRKiE_EESS_SW_SX_mSY_S11_bEUlT_E_NS1_11comp_targetILNS1_3genE9ELNS1_11target_archE1100ELNS1_3gpuE3ELNS1_3repE0EEENS1_30default_config_static_selectorELNS0_4arch9wavefront6targetE0EEEvSV_.uses_vcc, 0
	.set _ZN7rocprim17ROCPRIM_400000_NS6detail17trampoline_kernelINS0_14default_configENS1_27lower_bound_config_selectorIilEEZNS1_14transform_implILb0ES3_S5_N6thrust23THRUST_200600_302600_NS6detail15normal_iteratorINS8_7pointerIiNS8_11hip_rocprim3tagENS8_11use_defaultESE_EEEENSA_INSB_IlSD_SE_SE_EEEEZNS1_13binary_searchIS3_S5_NSA_INS8_10device_ptrIiEEEESG_SI_NS1_21lower_bound_search_opENS9_16wrapped_functionINS8_7greaterIiEEbEEEE10hipError_tPvRmT1_T2_T3_mmT4_T5_P12ihipStream_tbEUlRKiE_EESS_SW_SX_mSY_S11_bEUlT_E_NS1_11comp_targetILNS1_3genE9ELNS1_11target_archE1100ELNS1_3gpuE3ELNS1_3repE0EEENS1_30default_config_static_selectorELNS0_4arch9wavefront6targetE0EEEvSV_.uses_flat_scratch, 0
	.set _ZN7rocprim17ROCPRIM_400000_NS6detail17trampoline_kernelINS0_14default_configENS1_27lower_bound_config_selectorIilEEZNS1_14transform_implILb0ES3_S5_N6thrust23THRUST_200600_302600_NS6detail15normal_iteratorINS8_7pointerIiNS8_11hip_rocprim3tagENS8_11use_defaultESE_EEEENSA_INSB_IlSD_SE_SE_EEEEZNS1_13binary_searchIS3_S5_NSA_INS8_10device_ptrIiEEEESG_SI_NS1_21lower_bound_search_opENS9_16wrapped_functionINS8_7greaterIiEEbEEEE10hipError_tPvRmT1_T2_T3_mmT4_T5_P12ihipStream_tbEUlRKiE_EESS_SW_SX_mSY_S11_bEUlT_E_NS1_11comp_targetILNS1_3genE9ELNS1_11target_archE1100ELNS1_3gpuE3ELNS1_3repE0EEENS1_30default_config_static_selectorELNS0_4arch9wavefront6targetE0EEEvSV_.has_dyn_sized_stack, 0
	.set _ZN7rocprim17ROCPRIM_400000_NS6detail17trampoline_kernelINS0_14default_configENS1_27lower_bound_config_selectorIilEEZNS1_14transform_implILb0ES3_S5_N6thrust23THRUST_200600_302600_NS6detail15normal_iteratorINS8_7pointerIiNS8_11hip_rocprim3tagENS8_11use_defaultESE_EEEENSA_INSB_IlSD_SE_SE_EEEEZNS1_13binary_searchIS3_S5_NSA_INS8_10device_ptrIiEEEESG_SI_NS1_21lower_bound_search_opENS9_16wrapped_functionINS8_7greaterIiEEbEEEE10hipError_tPvRmT1_T2_T3_mmT4_T5_P12ihipStream_tbEUlRKiE_EESS_SW_SX_mSY_S11_bEUlT_E_NS1_11comp_targetILNS1_3genE9ELNS1_11target_archE1100ELNS1_3gpuE3ELNS1_3repE0EEENS1_30default_config_static_selectorELNS0_4arch9wavefront6targetE0EEEvSV_.has_recursion, 0
	.set _ZN7rocprim17ROCPRIM_400000_NS6detail17trampoline_kernelINS0_14default_configENS1_27lower_bound_config_selectorIilEEZNS1_14transform_implILb0ES3_S5_N6thrust23THRUST_200600_302600_NS6detail15normal_iteratorINS8_7pointerIiNS8_11hip_rocprim3tagENS8_11use_defaultESE_EEEENSA_INSB_IlSD_SE_SE_EEEEZNS1_13binary_searchIS3_S5_NSA_INS8_10device_ptrIiEEEESG_SI_NS1_21lower_bound_search_opENS9_16wrapped_functionINS8_7greaterIiEEbEEEE10hipError_tPvRmT1_T2_T3_mmT4_T5_P12ihipStream_tbEUlRKiE_EESS_SW_SX_mSY_S11_bEUlT_E_NS1_11comp_targetILNS1_3genE9ELNS1_11target_archE1100ELNS1_3gpuE3ELNS1_3repE0EEENS1_30default_config_static_selectorELNS0_4arch9wavefront6targetE0EEEvSV_.has_indirect_call, 0
	.section	.AMDGPU.csdata,"",@progbits
; Kernel info:
; codeLenInByte = 0
; TotalNumSgprs: 0
; NumVgprs: 0
; ScratchSize: 0
; MemoryBound: 0
; FloatMode: 240
; IeeeMode: 1
; LDSByteSize: 0 bytes/workgroup (compile time only)
; SGPRBlocks: 0
; VGPRBlocks: 0
; NumSGPRsForWavesPerEU: 1
; NumVGPRsForWavesPerEU: 1
; NamedBarCnt: 0
; Occupancy: 16
; WaveLimiterHint : 0
; COMPUTE_PGM_RSRC2:SCRATCH_EN: 0
; COMPUTE_PGM_RSRC2:USER_SGPR: 2
; COMPUTE_PGM_RSRC2:TRAP_HANDLER: 0
; COMPUTE_PGM_RSRC2:TGID_X_EN: 1
; COMPUTE_PGM_RSRC2:TGID_Y_EN: 0
; COMPUTE_PGM_RSRC2:TGID_Z_EN: 0
; COMPUTE_PGM_RSRC2:TIDIG_COMP_CNT: 0
	.section	.text._ZN7rocprim17ROCPRIM_400000_NS6detail17trampoline_kernelINS0_14default_configENS1_27lower_bound_config_selectorIilEEZNS1_14transform_implILb0ES3_S5_N6thrust23THRUST_200600_302600_NS6detail15normal_iteratorINS8_7pointerIiNS8_11hip_rocprim3tagENS8_11use_defaultESE_EEEENSA_INSB_IlSD_SE_SE_EEEEZNS1_13binary_searchIS3_S5_NSA_INS8_10device_ptrIiEEEESG_SI_NS1_21lower_bound_search_opENS9_16wrapped_functionINS8_7greaterIiEEbEEEE10hipError_tPvRmT1_T2_T3_mmT4_T5_P12ihipStream_tbEUlRKiE_EESS_SW_SX_mSY_S11_bEUlT_E_NS1_11comp_targetILNS1_3genE8ELNS1_11target_archE1030ELNS1_3gpuE2ELNS1_3repE0EEENS1_30default_config_static_selectorELNS0_4arch9wavefront6targetE0EEEvSV_,"axG",@progbits,_ZN7rocprim17ROCPRIM_400000_NS6detail17trampoline_kernelINS0_14default_configENS1_27lower_bound_config_selectorIilEEZNS1_14transform_implILb0ES3_S5_N6thrust23THRUST_200600_302600_NS6detail15normal_iteratorINS8_7pointerIiNS8_11hip_rocprim3tagENS8_11use_defaultESE_EEEENSA_INSB_IlSD_SE_SE_EEEEZNS1_13binary_searchIS3_S5_NSA_INS8_10device_ptrIiEEEESG_SI_NS1_21lower_bound_search_opENS9_16wrapped_functionINS8_7greaterIiEEbEEEE10hipError_tPvRmT1_T2_T3_mmT4_T5_P12ihipStream_tbEUlRKiE_EESS_SW_SX_mSY_S11_bEUlT_E_NS1_11comp_targetILNS1_3genE8ELNS1_11target_archE1030ELNS1_3gpuE2ELNS1_3repE0EEENS1_30default_config_static_selectorELNS0_4arch9wavefront6targetE0EEEvSV_,comdat
	.protected	_ZN7rocprim17ROCPRIM_400000_NS6detail17trampoline_kernelINS0_14default_configENS1_27lower_bound_config_selectorIilEEZNS1_14transform_implILb0ES3_S5_N6thrust23THRUST_200600_302600_NS6detail15normal_iteratorINS8_7pointerIiNS8_11hip_rocprim3tagENS8_11use_defaultESE_EEEENSA_INSB_IlSD_SE_SE_EEEEZNS1_13binary_searchIS3_S5_NSA_INS8_10device_ptrIiEEEESG_SI_NS1_21lower_bound_search_opENS9_16wrapped_functionINS8_7greaterIiEEbEEEE10hipError_tPvRmT1_T2_T3_mmT4_T5_P12ihipStream_tbEUlRKiE_EESS_SW_SX_mSY_S11_bEUlT_E_NS1_11comp_targetILNS1_3genE8ELNS1_11target_archE1030ELNS1_3gpuE2ELNS1_3repE0EEENS1_30default_config_static_selectorELNS0_4arch9wavefront6targetE0EEEvSV_ ; -- Begin function _ZN7rocprim17ROCPRIM_400000_NS6detail17trampoline_kernelINS0_14default_configENS1_27lower_bound_config_selectorIilEEZNS1_14transform_implILb0ES3_S5_N6thrust23THRUST_200600_302600_NS6detail15normal_iteratorINS8_7pointerIiNS8_11hip_rocprim3tagENS8_11use_defaultESE_EEEENSA_INSB_IlSD_SE_SE_EEEEZNS1_13binary_searchIS3_S5_NSA_INS8_10device_ptrIiEEEESG_SI_NS1_21lower_bound_search_opENS9_16wrapped_functionINS8_7greaterIiEEbEEEE10hipError_tPvRmT1_T2_T3_mmT4_T5_P12ihipStream_tbEUlRKiE_EESS_SW_SX_mSY_S11_bEUlT_E_NS1_11comp_targetILNS1_3genE8ELNS1_11target_archE1030ELNS1_3gpuE2ELNS1_3repE0EEENS1_30default_config_static_selectorELNS0_4arch9wavefront6targetE0EEEvSV_
	.globl	_ZN7rocprim17ROCPRIM_400000_NS6detail17trampoline_kernelINS0_14default_configENS1_27lower_bound_config_selectorIilEEZNS1_14transform_implILb0ES3_S5_N6thrust23THRUST_200600_302600_NS6detail15normal_iteratorINS8_7pointerIiNS8_11hip_rocprim3tagENS8_11use_defaultESE_EEEENSA_INSB_IlSD_SE_SE_EEEEZNS1_13binary_searchIS3_S5_NSA_INS8_10device_ptrIiEEEESG_SI_NS1_21lower_bound_search_opENS9_16wrapped_functionINS8_7greaterIiEEbEEEE10hipError_tPvRmT1_T2_T3_mmT4_T5_P12ihipStream_tbEUlRKiE_EESS_SW_SX_mSY_S11_bEUlT_E_NS1_11comp_targetILNS1_3genE8ELNS1_11target_archE1030ELNS1_3gpuE2ELNS1_3repE0EEENS1_30default_config_static_selectorELNS0_4arch9wavefront6targetE0EEEvSV_
	.p2align	8
	.type	_ZN7rocprim17ROCPRIM_400000_NS6detail17trampoline_kernelINS0_14default_configENS1_27lower_bound_config_selectorIilEEZNS1_14transform_implILb0ES3_S5_N6thrust23THRUST_200600_302600_NS6detail15normal_iteratorINS8_7pointerIiNS8_11hip_rocprim3tagENS8_11use_defaultESE_EEEENSA_INSB_IlSD_SE_SE_EEEEZNS1_13binary_searchIS3_S5_NSA_INS8_10device_ptrIiEEEESG_SI_NS1_21lower_bound_search_opENS9_16wrapped_functionINS8_7greaterIiEEbEEEE10hipError_tPvRmT1_T2_T3_mmT4_T5_P12ihipStream_tbEUlRKiE_EESS_SW_SX_mSY_S11_bEUlT_E_NS1_11comp_targetILNS1_3genE8ELNS1_11target_archE1030ELNS1_3gpuE2ELNS1_3repE0EEENS1_30default_config_static_selectorELNS0_4arch9wavefront6targetE0EEEvSV_,@function
_ZN7rocprim17ROCPRIM_400000_NS6detail17trampoline_kernelINS0_14default_configENS1_27lower_bound_config_selectorIilEEZNS1_14transform_implILb0ES3_S5_N6thrust23THRUST_200600_302600_NS6detail15normal_iteratorINS8_7pointerIiNS8_11hip_rocprim3tagENS8_11use_defaultESE_EEEENSA_INSB_IlSD_SE_SE_EEEEZNS1_13binary_searchIS3_S5_NSA_INS8_10device_ptrIiEEEESG_SI_NS1_21lower_bound_search_opENS9_16wrapped_functionINS8_7greaterIiEEbEEEE10hipError_tPvRmT1_T2_T3_mmT4_T5_P12ihipStream_tbEUlRKiE_EESS_SW_SX_mSY_S11_bEUlT_E_NS1_11comp_targetILNS1_3genE8ELNS1_11target_archE1030ELNS1_3gpuE2ELNS1_3repE0EEENS1_30default_config_static_selectorELNS0_4arch9wavefront6targetE0EEEvSV_: ; @_ZN7rocprim17ROCPRIM_400000_NS6detail17trampoline_kernelINS0_14default_configENS1_27lower_bound_config_selectorIilEEZNS1_14transform_implILb0ES3_S5_N6thrust23THRUST_200600_302600_NS6detail15normal_iteratorINS8_7pointerIiNS8_11hip_rocprim3tagENS8_11use_defaultESE_EEEENSA_INSB_IlSD_SE_SE_EEEEZNS1_13binary_searchIS3_S5_NSA_INS8_10device_ptrIiEEEESG_SI_NS1_21lower_bound_search_opENS9_16wrapped_functionINS8_7greaterIiEEbEEEE10hipError_tPvRmT1_T2_T3_mmT4_T5_P12ihipStream_tbEUlRKiE_EESS_SW_SX_mSY_S11_bEUlT_E_NS1_11comp_targetILNS1_3genE8ELNS1_11target_archE1030ELNS1_3gpuE2ELNS1_3repE0EEENS1_30default_config_static_selectorELNS0_4arch9wavefront6targetE0EEEvSV_
; %bb.0:
	.section	.rodata,"a",@progbits
	.p2align	6, 0x0
	.amdhsa_kernel _ZN7rocprim17ROCPRIM_400000_NS6detail17trampoline_kernelINS0_14default_configENS1_27lower_bound_config_selectorIilEEZNS1_14transform_implILb0ES3_S5_N6thrust23THRUST_200600_302600_NS6detail15normal_iteratorINS8_7pointerIiNS8_11hip_rocprim3tagENS8_11use_defaultESE_EEEENSA_INSB_IlSD_SE_SE_EEEEZNS1_13binary_searchIS3_S5_NSA_INS8_10device_ptrIiEEEESG_SI_NS1_21lower_bound_search_opENS9_16wrapped_functionINS8_7greaterIiEEbEEEE10hipError_tPvRmT1_T2_T3_mmT4_T5_P12ihipStream_tbEUlRKiE_EESS_SW_SX_mSY_S11_bEUlT_E_NS1_11comp_targetILNS1_3genE8ELNS1_11target_archE1030ELNS1_3gpuE2ELNS1_3repE0EEENS1_30default_config_static_selectorELNS0_4arch9wavefront6targetE0EEEvSV_
		.amdhsa_group_segment_fixed_size 0
		.amdhsa_private_segment_fixed_size 0
		.amdhsa_kernarg_size 56
		.amdhsa_user_sgpr_count 2
		.amdhsa_user_sgpr_dispatch_ptr 0
		.amdhsa_user_sgpr_queue_ptr 0
		.amdhsa_user_sgpr_kernarg_segment_ptr 1
		.amdhsa_user_sgpr_dispatch_id 0
		.amdhsa_user_sgpr_kernarg_preload_length 0
		.amdhsa_user_sgpr_kernarg_preload_offset 0
		.amdhsa_user_sgpr_private_segment_size 0
		.amdhsa_wavefront_size32 1
		.amdhsa_uses_dynamic_stack 0
		.amdhsa_enable_private_segment 0
		.amdhsa_system_sgpr_workgroup_id_x 1
		.amdhsa_system_sgpr_workgroup_id_y 0
		.amdhsa_system_sgpr_workgroup_id_z 0
		.amdhsa_system_sgpr_workgroup_info 0
		.amdhsa_system_vgpr_workitem_id 0
		.amdhsa_next_free_vgpr 1
		.amdhsa_next_free_sgpr 1
		.amdhsa_named_barrier_count 0
		.amdhsa_reserve_vcc 0
		.amdhsa_float_round_mode_32 0
		.amdhsa_float_round_mode_16_64 0
		.amdhsa_float_denorm_mode_32 3
		.amdhsa_float_denorm_mode_16_64 3
		.amdhsa_fp16_overflow 0
		.amdhsa_memory_ordered 1
		.amdhsa_forward_progress 1
		.amdhsa_inst_pref_size 0
		.amdhsa_round_robin_scheduling 0
		.amdhsa_exception_fp_ieee_invalid_op 0
		.amdhsa_exception_fp_denorm_src 0
		.amdhsa_exception_fp_ieee_div_zero 0
		.amdhsa_exception_fp_ieee_overflow 0
		.amdhsa_exception_fp_ieee_underflow 0
		.amdhsa_exception_fp_ieee_inexact 0
		.amdhsa_exception_int_div_zero 0
	.end_amdhsa_kernel
	.section	.text._ZN7rocprim17ROCPRIM_400000_NS6detail17trampoline_kernelINS0_14default_configENS1_27lower_bound_config_selectorIilEEZNS1_14transform_implILb0ES3_S5_N6thrust23THRUST_200600_302600_NS6detail15normal_iteratorINS8_7pointerIiNS8_11hip_rocprim3tagENS8_11use_defaultESE_EEEENSA_INSB_IlSD_SE_SE_EEEEZNS1_13binary_searchIS3_S5_NSA_INS8_10device_ptrIiEEEESG_SI_NS1_21lower_bound_search_opENS9_16wrapped_functionINS8_7greaterIiEEbEEEE10hipError_tPvRmT1_T2_T3_mmT4_T5_P12ihipStream_tbEUlRKiE_EESS_SW_SX_mSY_S11_bEUlT_E_NS1_11comp_targetILNS1_3genE8ELNS1_11target_archE1030ELNS1_3gpuE2ELNS1_3repE0EEENS1_30default_config_static_selectorELNS0_4arch9wavefront6targetE0EEEvSV_,"axG",@progbits,_ZN7rocprim17ROCPRIM_400000_NS6detail17trampoline_kernelINS0_14default_configENS1_27lower_bound_config_selectorIilEEZNS1_14transform_implILb0ES3_S5_N6thrust23THRUST_200600_302600_NS6detail15normal_iteratorINS8_7pointerIiNS8_11hip_rocprim3tagENS8_11use_defaultESE_EEEENSA_INSB_IlSD_SE_SE_EEEEZNS1_13binary_searchIS3_S5_NSA_INS8_10device_ptrIiEEEESG_SI_NS1_21lower_bound_search_opENS9_16wrapped_functionINS8_7greaterIiEEbEEEE10hipError_tPvRmT1_T2_T3_mmT4_T5_P12ihipStream_tbEUlRKiE_EESS_SW_SX_mSY_S11_bEUlT_E_NS1_11comp_targetILNS1_3genE8ELNS1_11target_archE1030ELNS1_3gpuE2ELNS1_3repE0EEENS1_30default_config_static_selectorELNS0_4arch9wavefront6targetE0EEEvSV_,comdat
.Lfunc_end29:
	.size	_ZN7rocprim17ROCPRIM_400000_NS6detail17trampoline_kernelINS0_14default_configENS1_27lower_bound_config_selectorIilEEZNS1_14transform_implILb0ES3_S5_N6thrust23THRUST_200600_302600_NS6detail15normal_iteratorINS8_7pointerIiNS8_11hip_rocprim3tagENS8_11use_defaultESE_EEEENSA_INSB_IlSD_SE_SE_EEEEZNS1_13binary_searchIS3_S5_NSA_INS8_10device_ptrIiEEEESG_SI_NS1_21lower_bound_search_opENS9_16wrapped_functionINS8_7greaterIiEEbEEEE10hipError_tPvRmT1_T2_T3_mmT4_T5_P12ihipStream_tbEUlRKiE_EESS_SW_SX_mSY_S11_bEUlT_E_NS1_11comp_targetILNS1_3genE8ELNS1_11target_archE1030ELNS1_3gpuE2ELNS1_3repE0EEENS1_30default_config_static_selectorELNS0_4arch9wavefront6targetE0EEEvSV_, .Lfunc_end29-_ZN7rocprim17ROCPRIM_400000_NS6detail17trampoline_kernelINS0_14default_configENS1_27lower_bound_config_selectorIilEEZNS1_14transform_implILb0ES3_S5_N6thrust23THRUST_200600_302600_NS6detail15normal_iteratorINS8_7pointerIiNS8_11hip_rocprim3tagENS8_11use_defaultESE_EEEENSA_INSB_IlSD_SE_SE_EEEEZNS1_13binary_searchIS3_S5_NSA_INS8_10device_ptrIiEEEESG_SI_NS1_21lower_bound_search_opENS9_16wrapped_functionINS8_7greaterIiEEbEEEE10hipError_tPvRmT1_T2_T3_mmT4_T5_P12ihipStream_tbEUlRKiE_EESS_SW_SX_mSY_S11_bEUlT_E_NS1_11comp_targetILNS1_3genE8ELNS1_11target_archE1030ELNS1_3gpuE2ELNS1_3repE0EEENS1_30default_config_static_selectorELNS0_4arch9wavefront6targetE0EEEvSV_
                                        ; -- End function
	.set _ZN7rocprim17ROCPRIM_400000_NS6detail17trampoline_kernelINS0_14default_configENS1_27lower_bound_config_selectorIilEEZNS1_14transform_implILb0ES3_S5_N6thrust23THRUST_200600_302600_NS6detail15normal_iteratorINS8_7pointerIiNS8_11hip_rocprim3tagENS8_11use_defaultESE_EEEENSA_INSB_IlSD_SE_SE_EEEEZNS1_13binary_searchIS3_S5_NSA_INS8_10device_ptrIiEEEESG_SI_NS1_21lower_bound_search_opENS9_16wrapped_functionINS8_7greaterIiEEbEEEE10hipError_tPvRmT1_T2_T3_mmT4_T5_P12ihipStream_tbEUlRKiE_EESS_SW_SX_mSY_S11_bEUlT_E_NS1_11comp_targetILNS1_3genE8ELNS1_11target_archE1030ELNS1_3gpuE2ELNS1_3repE0EEENS1_30default_config_static_selectorELNS0_4arch9wavefront6targetE0EEEvSV_.num_vgpr, 0
	.set _ZN7rocprim17ROCPRIM_400000_NS6detail17trampoline_kernelINS0_14default_configENS1_27lower_bound_config_selectorIilEEZNS1_14transform_implILb0ES3_S5_N6thrust23THRUST_200600_302600_NS6detail15normal_iteratorINS8_7pointerIiNS8_11hip_rocprim3tagENS8_11use_defaultESE_EEEENSA_INSB_IlSD_SE_SE_EEEEZNS1_13binary_searchIS3_S5_NSA_INS8_10device_ptrIiEEEESG_SI_NS1_21lower_bound_search_opENS9_16wrapped_functionINS8_7greaterIiEEbEEEE10hipError_tPvRmT1_T2_T3_mmT4_T5_P12ihipStream_tbEUlRKiE_EESS_SW_SX_mSY_S11_bEUlT_E_NS1_11comp_targetILNS1_3genE8ELNS1_11target_archE1030ELNS1_3gpuE2ELNS1_3repE0EEENS1_30default_config_static_selectorELNS0_4arch9wavefront6targetE0EEEvSV_.num_agpr, 0
	.set _ZN7rocprim17ROCPRIM_400000_NS6detail17trampoline_kernelINS0_14default_configENS1_27lower_bound_config_selectorIilEEZNS1_14transform_implILb0ES3_S5_N6thrust23THRUST_200600_302600_NS6detail15normal_iteratorINS8_7pointerIiNS8_11hip_rocprim3tagENS8_11use_defaultESE_EEEENSA_INSB_IlSD_SE_SE_EEEEZNS1_13binary_searchIS3_S5_NSA_INS8_10device_ptrIiEEEESG_SI_NS1_21lower_bound_search_opENS9_16wrapped_functionINS8_7greaterIiEEbEEEE10hipError_tPvRmT1_T2_T3_mmT4_T5_P12ihipStream_tbEUlRKiE_EESS_SW_SX_mSY_S11_bEUlT_E_NS1_11comp_targetILNS1_3genE8ELNS1_11target_archE1030ELNS1_3gpuE2ELNS1_3repE0EEENS1_30default_config_static_selectorELNS0_4arch9wavefront6targetE0EEEvSV_.numbered_sgpr, 0
	.set _ZN7rocprim17ROCPRIM_400000_NS6detail17trampoline_kernelINS0_14default_configENS1_27lower_bound_config_selectorIilEEZNS1_14transform_implILb0ES3_S5_N6thrust23THRUST_200600_302600_NS6detail15normal_iteratorINS8_7pointerIiNS8_11hip_rocprim3tagENS8_11use_defaultESE_EEEENSA_INSB_IlSD_SE_SE_EEEEZNS1_13binary_searchIS3_S5_NSA_INS8_10device_ptrIiEEEESG_SI_NS1_21lower_bound_search_opENS9_16wrapped_functionINS8_7greaterIiEEbEEEE10hipError_tPvRmT1_T2_T3_mmT4_T5_P12ihipStream_tbEUlRKiE_EESS_SW_SX_mSY_S11_bEUlT_E_NS1_11comp_targetILNS1_3genE8ELNS1_11target_archE1030ELNS1_3gpuE2ELNS1_3repE0EEENS1_30default_config_static_selectorELNS0_4arch9wavefront6targetE0EEEvSV_.num_named_barrier, 0
	.set _ZN7rocprim17ROCPRIM_400000_NS6detail17trampoline_kernelINS0_14default_configENS1_27lower_bound_config_selectorIilEEZNS1_14transform_implILb0ES3_S5_N6thrust23THRUST_200600_302600_NS6detail15normal_iteratorINS8_7pointerIiNS8_11hip_rocprim3tagENS8_11use_defaultESE_EEEENSA_INSB_IlSD_SE_SE_EEEEZNS1_13binary_searchIS3_S5_NSA_INS8_10device_ptrIiEEEESG_SI_NS1_21lower_bound_search_opENS9_16wrapped_functionINS8_7greaterIiEEbEEEE10hipError_tPvRmT1_T2_T3_mmT4_T5_P12ihipStream_tbEUlRKiE_EESS_SW_SX_mSY_S11_bEUlT_E_NS1_11comp_targetILNS1_3genE8ELNS1_11target_archE1030ELNS1_3gpuE2ELNS1_3repE0EEENS1_30default_config_static_selectorELNS0_4arch9wavefront6targetE0EEEvSV_.private_seg_size, 0
	.set _ZN7rocprim17ROCPRIM_400000_NS6detail17trampoline_kernelINS0_14default_configENS1_27lower_bound_config_selectorIilEEZNS1_14transform_implILb0ES3_S5_N6thrust23THRUST_200600_302600_NS6detail15normal_iteratorINS8_7pointerIiNS8_11hip_rocprim3tagENS8_11use_defaultESE_EEEENSA_INSB_IlSD_SE_SE_EEEEZNS1_13binary_searchIS3_S5_NSA_INS8_10device_ptrIiEEEESG_SI_NS1_21lower_bound_search_opENS9_16wrapped_functionINS8_7greaterIiEEbEEEE10hipError_tPvRmT1_T2_T3_mmT4_T5_P12ihipStream_tbEUlRKiE_EESS_SW_SX_mSY_S11_bEUlT_E_NS1_11comp_targetILNS1_3genE8ELNS1_11target_archE1030ELNS1_3gpuE2ELNS1_3repE0EEENS1_30default_config_static_selectorELNS0_4arch9wavefront6targetE0EEEvSV_.uses_vcc, 0
	.set _ZN7rocprim17ROCPRIM_400000_NS6detail17trampoline_kernelINS0_14default_configENS1_27lower_bound_config_selectorIilEEZNS1_14transform_implILb0ES3_S5_N6thrust23THRUST_200600_302600_NS6detail15normal_iteratorINS8_7pointerIiNS8_11hip_rocprim3tagENS8_11use_defaultESE_EEEENSA_INSB_IlSD_SE_SE_EEEEZNS1_13binary_searchIS3_S5_NSA_INS8_10device_ptrIiEEEESG_SI_NS1_21lower_bound_search_opENS9_16wrapped_functionINS8_7greaterIiEEbEEEE10hipError_tPvRmT1_T2_T3_mmT4_T5_P12ihipStream_tbEUlRKiE_EESS_SW_SX_mSY_S11_bEUlT_E_NS1_11comp_targetILNS1_3genE8ELNS1_11target_archE1030ELNS1_3gpuE2ELNS1_3repE0EEENS1_30default_config_static_selectorELNS0_4arch9wavefront6targetE0EEEvSV_.uses_flat_scratch, 0
	.set _ZN7rocprim17ROCPRIM_400000_NS6detail17trampoline_kernelINS0_14default_configENS1_27lower_bound_config_selectorIilEEZNS1_14transform_implILb0ES3_S5_N6thrust23THRUST_200600_302600_NS6detail15normal_iteratorINS8_7pointerIiNS8_11hip_rocprim3tagENS8_11use_defaultESE_EEEENSA_INSB_IlSD_SE_SE_EEEEZNS1_13binary_searchIS3_S5_NSA_INS8_10device_ptrIiEEEESG_SI_NS1_21lower_bound_search_opENS9_16wrapped_functionINS8_7greaterIiEEbEEEE10hipError_tPvRmT1_T2_T3_mmT4_T5_P12ihipStream_tbEUlRKiE_EESS_SW_SX_mSY_S11_bEUlT_E_NS1_11comp_targetILNS1_3genE8ELNS1_11target_archE1030ELNS1_3gpuE2ELNS1_3repE0EEENS1_30default_config_static_selectorELNS0_4arch9wavefront6targetE0EEEvSV_.has_dyn_sized_stack, 0
	.set _ZN7rocprim17ROCPRIM_400000_NS6detail17trampoline_kernelINS0_14default_configENS1_27lower_bound_config_selectorIilEEZNS1_14transform_implILb0ES3_S5_N6thrust23THRUST_200600_302600_NS6detail15normal_iteratorINS8_7pointerIiNS8_11hip_rocprim3tagENS8_11use_defaultESE_EEEENSA_INSB_IlSD_SE_SE_EEEEZNS1_13binary_searchIS3_S5_NSA_INS8_10device_ptrIiEEEESG_SI_NS1_21lower_bound_search_opENS9_16wrapped_functionINS8_7greaterIiEEbEEEE10hipError_tPvRmT1_T2_T3_mmT4_T5_P12ihipStream_tbEUlRKiE_EESS_SW_SX_mSY_S11_bEUlT_E_NS1_11comp_targetILNS1_3genE8ELNS1_11target_archE1030ELNS1_3gpuE2ELNS1_3repE0EEENS1_30default_config_static_selectorELNS0_4arch9wavefront6targetE0EEEvSV_.has_recursion, 0
	.set _ZN7rocprim17ROCPRIM_400000_NS6detail17trampoline_kernelINS0_14default_configENS1_27lower_bound_config_selectorIilEEZNS1_14transform_implILb0ES3_S5_N6thrust23THRUST_200600_302600_NS6detail15normal_iteratorINS8_7pointerIiNS8_11hip_rocprim3tagENS8_11use_defaultESE_EEEENSA_INSB_IlSD_SE_SE_EEEEZNS1_13binary_searchIS3_S5_NSA_INS8_10device_ptrIiEEEESG_SI_NS1_21lower_bound_search_opENS9_16wrapped_functionINS8_7greaterIiEEbEEEE10hipError_tPvRmT1_T2_T3_mmT4_T5_P12ihipStream_tbEUlRKiE_EESS_SW_SX_mSY_S11_bEUlT_E_NS1_11comp_targetILNS1_3genE8ELNS1_11target_archE1030ELNS1_3gpuE2ELNS1_3repE0EEENS1_30default_config_static_selectorELNS0_4arch9wavefront6targetE0EEEvSV_.has_indirect_call, 0
	.section	.AMDGPU.csdata,"",@progbits
; Kernel info:
; codeLenInByte = 0
; TotalNumSgprs: 0
; NumVgprs: 0
; ScratchSize: 0
; MemoryBound: 0
; FloatMode: 240
; IeeeMode: 1
; LDSByteSize: 0 bytes/workgroup (compile time only)
; SGPRBlocks: 0
; VGPRBlocks: 0
; NumSGPRsForWavesPerEU: 1
; NumVGPRsForWavesPerEU: 1
; NamedBarCnt: 0
; Occupancy: 16
; WaveLimiterHint : 0
; COMPUTE_PGM_RSRC2:SCRATCH_EN: 0
; COMPUTE_PGM_RSRC2:USER_SGPR: 2
; COMPUTE_PGM_RSRC2:TRAP_HANDLER: 0
; COMPUTE_PGM_RSRC2:TGID_X_EN: 1
; COMPUTE_PGM_RSRC2:TGID_Y_EN: 0
; COMPUTE_PGM_RSRC2:TGID_Z_EN: 0
; COMPUTE_PGM_RSRC2:TIDIG_COMP_CNT: 0
	.section	.text._ZN6thrust23THRUST_200600_302600_NS11hip_rocprim14__parallel_for6kernelILj256ENS1_20__uninitialized_fill7functorINS0_10device_ptrIfEEfEEmLj1EEEvT0_T1_SA_,"axG",@progbits,_ZN6thrust23THRUST_200600_302600_NS11hip_rocprim14__parallel_for6kernelILj256ENS1_20__uninitialized_fill7functorINS0_10device_ptrIfEEfEEmLj1EEEvT0_T1_SA_,comdat
	.protected	_ZN6thrust23THRUST_200600_302600_NS11hip_rocprim14__parallel_for6kernelILj256ENS1_20__uninitialized_fill7functorINS0_10device_ptrIfEEfEEmLj1EEEvT0_T1_SA_ ; -- Begin function _ZN6thrust23THRUST_200600_302600_NS11hip_rocprim14__parallel_for6kernelILj256ENS1_20__uninitialized_fill7functorINS0_10device_ptrIfEEfEEmLj1EEEvT0_T1_SA_
	.globl	_ZN6thrust23THRUST_200600_302600_NS11hip_rocprim14__parallel_for6kernelILj256ENS1_20__uninitialized_fill7functorINS0_10device_ptrIfEEfEEmLj1EEEvT0_T1_SA_
	.p2align	8
	.type	_ZN6thrust23THRUST_200600_302600_NS11hip_rocprim14__parallel_for6kernelILj256ENS1_20__uninitialized_fill7functorINS0_10device_ptrIfEEfEEmLj1EEEvT0_T1_SA_,@function
_ZN6thrust23THRUST_200600_302600_NS11hip_rocprim14__parallel_for6kernelILj256ENS1_20__uninitialized_fill7functorINS0_10device_ptrIfEEfEEmLj1EEEvT0_T1_SA_: ; @_ZN6thrust23THRUST_200600_302600_NS11hip_rocprim14__parallel_for6kernelILj256ENS1_20__uninitialized_fill7functorINS0_10device_ptrIfEEfEEmLj1EEEvT0_T1_SA_
; %bb.0:
	s_load_b128 s[8:11], s[0:1], 0x10
	s_bfe_u32 s2, ttmp6, 0x4000c
	s_and_b32 s3, ttmp6, 15
	s_add_co_i32 s2, s2, 1
	s_getreg_b32 s4, hwreg(HW_REG_IB_STS2, 6, 4)
	s_mul_i32 s2, ttmp9, s2
	s_delay_alu instid0(SALU_CYCLE_1)
	s_add_co_i32 s3, s3, s2
	s_cmp_eq_u32 s4, 0
	s_load_b96 s[4:6], s[0:1], 0x0
	s_wait_xcnt 0x0
	s_cselect_b32 s0, ttmp9, s3
	s_mov_b32 s1, 0
	s_lshl_b32 s0, s0, 8
	s_wait_kmcnt 0x0
	s_add_nc_u64 s[0:1], s[10:11], s[0:1]
	s_delay_alu instid0(SALU_CYCLE_1) | instskip(NEXT) | instid1(SALU_CYCLE_1)
	s_sub_nc_u64 s[2:3], s[8:9], s[0:1]
	v_cmp_lt_u64_e64 s3, 0xff, s[2:3]
	s_and_b32 vcc_lo, exec_lo, s3
	s_mov_b32 s3, -1
	s_cbranch_vccz .LBB30_3
; %bb.1:
	s_and_not1_b32 vcc_lo, exec_lo, s3
	s_cbranch_vccz .LBB30_6
.LBB30_2:
	s_endpgm
.LBB30_3:
	v_cmp_gt_u32_e32 vcc_lo, s2, v0
	s_and_saveexec_b32 s2, vcc_lo
	s_cbranch_execz .LBB30_5
; %bb.4:
	v_mov_b32_e32 v1, s6
	s_lshl_b64 s[8:9], s[0:1], 2
	s_delay_alu instid0(SALU_CYCLE_1)
	s_add_nc_u64 s[8:9], s[4:5], s[8:9]
	flat_store_b32 v0, v1, s[8:9] scale_offset
.LBB30_5:
	s_wait_xcnt 0x0
	s_or_b32 exec_lo, exec_lo, s2
	s_cbranch_execnz .LBB30_2
.LBB30_6:
	v_mov_b32_e32 v1, s6
	s_lshl_b64 s[0:1], s[0:1], 2
	s_delay_alu instid0(SALU_CYCLE_1)
	s_add_nc_u64 s[0:1], s[4:5], s[0:1]
	flat_store_b32 v0, v1, s[0:1] scale_offset
	s_endpgm
	.section	.rodata,"a",@progbits
	.p2align	6, 0x0
	.amdhsa_kernel _ZN6thrust23THRUST_200600_302600_NS11hip_rocprim14__parallel_for6kernelILj256ENS1_20__uninitialized_fill7functorINS0_10device_ptrIfEEfEEmLj1EEEvT0_T1_SA_
		.amdhsa_group_segment_fixed_size 0
		.amdhsa_private_segment_fixed_size 0
		.amdhsa_kernarg_size 32
		.amdhsa_user_sgpr_count 2
		.amdhsa_user_sgpr_dispatch_ptr 0
		.amdhsa_user_sgpr_queue_ptr 0
		.amdhsa_user_sgpr_kernarg_segment_ptr 1
		.amdhsa_user_sgpr_dispatch_id 0
		.amdhsa_user_sgpr_kernarg_preload_length 0
		.amdhsa_user_sgpr_kernarg_preload_offset 0
		.amdhsa_user_sgpr_private_segment_size 0
		.amdhsa_wavefront_size32 1
		.amdhsa_uses_dynamic_stack 0
		.amdhsa_enable_private_segment 0
		.amdhsa_system_sgpr_workgroup_id_x 1
		.amdhsa_system_sgpr_workgroup_id_y 0
		.amdhsa_system_sgpr_workgroup_id_z 0
		.amdhsa_system_sgpr_workgroup_info 0
		.amdhsa_system_vgpr_workitem_id 0
		.amdhsa_next_free_vgpr 2
		.amdhsa_next_free_sgpr 12
		.amdhsa_named_barrier_count 0
		.amdhsa_reserve_vcc 1
		.amdhsa_float_round_mode_32 0
		.amdhsa_float_round_mode_16_64 0
		.amdhsa_float_denorm_mode_32 3
		.amdhsa_float_denorm_mode_16_64 3
		.amdhsa_fp16_overflow 0
		.amdhsa_memory_ordered 1
		.amdhsa_forward_progress 1
		.amdhsa_inst_pref_size 2
		.amdhsa_round_robin_scheduling 0
		.amdhsa_exception_fp_ieee_invalid_op 0
		.amdhsa_exception_fp_denorm_src 0
		.amdhsa_exception_fp_ieee_div_zero 0
		.amdhsa_exception_fp_ieee_overflow 0
		.amdhsa_exception_fp_ieee_underflow 0
		.amdhsa_exception_fp_ieee_inexact 0
		.amdhsa_exception_int_div_zero 0
	.end_amdhsa_kernel
	.section	.text._ZN6thrust23THRUST_200600_302600_NS11hip_rocprim14__parallel_for6kernelILj256ENS1_20__uninitialized_fill7functorINS0_10device_ptrIfEEfEEmLj1EEEvT0_T1_SA_,"axG",@progbits,_ZN6thrust23THRUST_200600_302600_NS11hip_rocprim14__parallel_for6kernelILj256ENS1_20__uninitialized_fill7functorINS0_10device_ptrIfEEfEEmLj1EEEvT0_T1_SA_,comdat
.Lfunc_end30:
	.size	_ZN6thrust23THRUST_200600_302600_NS11hip_rocprim14__parallel_for6kernelILj256ENS1_20__uninitialized_fill7functorINS0_10device_ptrIfEEfEEmLj1EEEvT0_T1_SA_, .Lfunc_end30-_ZN6thrust23THRUST_200600_302600_NS11hip_rocprim14__parallel_for6kernelILj256ENS1_20__uninitialized_fill7functorINS0_10device_ptrIfEEfEEmLj1EEEvT0_T1_SA_
                                        ; -- End function
	.set _ZN6thrust23THRUST_200600_302600_NS11hip_rocprim14__parallel_for6kernelILj256ENS1_20__uninitialized_fill7functorINS0_10device_ptrIfEEfEEmLj1EEEvT0_T1_SA_.num_vgpr, 2
	.set _ZN6thrust23THRUST_200600_302600_NS11hip_rocprim14__parallel_for6kernelILj256ENS1_20__uninitialized_fill7functorINS0_10device_ptrIfEEfEEmLj1EEEvT0_T1_SA_.num_agpr, 0
	.set _ZN6thrust23THRUST_200600_302600_NS11hip_rocprim14__parallel_for6kernelILj256ENS1_20__uninitialized_fill7functorINS0_10device_ptrIfEEfEEmLj1EEEvT0_T1_SA_.numbered_sgpr, 12
	.set _ZN6thrust23THRUST_200600_302600_NS11hip_rocprim14__parallel_for6kernelILj256ENS1_20__uninitialized_fill7functorINS0_10device_ptrIfEEfEEmLj1EEEvT0_T1_SA_.num_named_barrier, 0
	.set _ZN6thrust23THRUST_200600_302600_NS11hip_rocprim14__parallel_for6kernelILj256ENS1_20__uninitialized_fill7functorINS0_10device_ptrIfEEfEEmLj1EEEvT0_T1_SA_.private_seg_size, 0
	.set _ZN6thrust23THRUST_200600_302600_NS11hip_rocprim14__parallel_for6kernelILj256ENS1_20__uninitialized_fill7functorINS0_10device_ptrIfEEfEEmLj1EEEvT0_T1_SA_.uses_vcc, 1
	.set _ZN6thrust23THRUST_200600_302600_NS11hip_rocprim14__parallel_for6kernelILj256ENS1_20__uninitialized_fill7functorINS0_10device_ptrIfEEfEEmLj1EEEvT0_T1_SA_.uses_flat_scratch, 0
	.set _ZN6thrust23THRUST_200600_302600_NS11hip_rocprim14__parallel_for6kernelILj256ENS1_20__uninitialized_fill7functorINS0_10device_ptrIfEEfEEmLj1EEEvT0_T1_SA_.has_dyn_sized_stack, 0
	.set _ZN6thrust23THRUST_200600_302600_NS11hip_rocprim14__parallel_for6kernelILj256ENS1_20__uninitialized_fill7functorINS0_10device_ptrIfEEfEEmLj1EEEvT0_T1_SA_.has_recursion, 0
	.set _ZN6thrust23THRUST_200600_302600_NS11hip_rocprim14__parallel_for6kernelILj256ENS1_20__uninitialized_fill7functorINS0_10device_ptrIfEEfEEmLj1EEEvT0_T1_SA_.has_indirect_call, 0
	.section	.AMDGPU.csdata,"",@progbits
; Kernel info:
; codeLenInByte = 204
; TotalNumSgprs: 14
; NumVgprs: 2
; ScratchSize: 0
; MemoryBound: 0
; FloatMode: 240
; IeeeMode: 1
; LDSByteSize: 0 bytes/workgroup (compile time only)
; SGPRBlocks: 0
; VGPRBlocks: 0
; NumSGPRsForWavesPerEU: 14
; NumVGPRsForWavesPerEU: 2
; NamedBarCnt: 0
; Occupancy: 16
; WaveLimiterHint : 0
; COMPUTE_PGM_RSRC2:SCRATCH_EN: 0
; COMPUTE_PGM_RSRC2:USER_SGPR: 2
; COMPUTE_PGM_RSRC2:TRAP_HANDLER: 0
; COMPUTE_PGM_RSRC2:TGID_X_EN: 1
; COMPUTE_PGM_RSRC2:TGID_Y_EN: 0
; COMPUTE_PGM_RSRC2:TGID_Z_EN: 0
; COMPUTE_PGM_RSRC2:TIDIG_COMP_CNT: 0
	.section	.text._ZN7rocprim17ROCPRIM_400000_NS6detail17trampoline_kernelINS0_14default_configENS1_27lower_bound_config_selectorIflEEZNS1_14transform_implILb0ES3_S5_N6thrust23THRUST_200600_302600_NS6detail15normal_iteratorINS8_7pointerIfNS8_11hip_rocprim3tagENS8_11use_defaultESE_EEEENSA_INSB_IlSD_SE_SE_EEEEZNS1_13binary_searchIS3_S5_NSA_INS8_10device_ptrIfEEEESG_SI_NS1_21lower_bound_search_opENS9_16wrapped_functionINS8_7greaterIfEEbEEEE10hipError_tPvRmT1_T2_T3_mmT4_T5_P12ihipStream_tbEUlRKfE_EESS_SW_SX_mSY_S11_bEUlT_E_NS1_11comp_targetILNS1_3genE0ELNS1_11target_archE4294967295ELNS1_3gpuE0ELNS1_3repE0EEENS1_30default_config_static_selectorELNS0_4arch9wavefront6targetE0EEEvSV_,"axG",@progbits,_ZN7rocprim17ROCPRIM_400000_NS6detail17trampoline_kernelINS0_14default_configENS1_27lower_bound_config_selectorIflEEZNS1_14transform_implILb0ES3_S5_N6thrust23THRUST_200600_302600_NS6detail15normal_iteratorINS8_7pointerIfNS8_11hip_rocprim3tagENS8_11use_defaultESE_EEEENSA_INSB_IlSD_SE_SE_EEEEZNS1_13binary_searchIS3_S5_NSA_INS8_10device_ptrIfEEEESG_SI_NS1_21lower_bound_search_opENS9_16wrapped_functionINS8_7greaterIfEEbEEEE10hipError_tPvRmT1_T2_T3_mmT4_T5_P12ihipStream_tbEUlRKfE_EESS_SW_SX_mSY_S11_bEUlT_E_NS1_11comp_targetILNS1_3genE0ELNS1_11target_archE4294967295ELNS1_3gpuE0ELNS1_3repE0EEENS1_30default_config_static_selectorELNS0_4arch9wavefront6targetE0EEEvSV_,comdat
	.protected	_ZN7rocprim17ROCPRIM_400000_NS6detail17trampoline_kernelINS0_14default_configENS1_27lower_bound_config_selectorIflEEZNS1_14transform_implILb0ES3_S5_N6thrust23THRUST_200600_302600_NS6detail15normal_iteratorINS8_7pointerIfNS8_11hip_rocprim3tagENS8_11use_defaultESE_EEEENSA_INSB_IlSD_SE_SE_EEEEZNS1_13binary_searchIS3_S5_NSA_INS8_10device_ptrIfEEEESG_SI_NS1_21lower_bound_search_opENS9_16wrapped_functionINS8_7greaterIfEEbEEEE10hipError_tPvRmT1_T2_T3_mmT4_T5_P12ihipStream_tbEUlRKfE_EESS_SW_SX_mSY_S11_bEUlT_E_NS1_11comp_targetILNS1_3genE0ELNS1_11target_archE4294967295ELNS1_3gpuE0ELNS1_3repE0EEENS1_30default_config_static_selectorELNS0_4arch9wavefront6targetE0EEEvSV_ ; -- Begin function _ZN7rocprim17ROCPRIM_400000_NS6detail17trampoline_kernelINS0_14default_configENS1_27lower_bound_config_selectorIflEEZNS1_14transform_implILb0ES3_S5_N6thrust23THRUST_200600_302600_NS6detail15normal_iteratorINS8_7pointerIfNS8_11hip_rocprim3tagENS8_11use_defaultESE_EEEENSA_INSB_IlSD_SE_SE_EEEEZNS1_13binary_searchIS3_S5_NSA_INS8_10device_ptrIfEEEESG_SI_NS1_21lower_bound_search_opENS9_16wrapped_functionINS8_7greaterIfEEbEEEE10hipError_tPvRmT1_T2_T3_mmT4_T5_P12ihipStream_tbEUlRKfE_EESS_SW_SX_mSY_S11_bEUlT_E_NS1_11comp_targetILNS1_3genE0ELNS1_11target_archE4294967295ELNS1_3gpuE0ELNS1_3repE0EEENS1_30default_config_static_selectorELNS0_4arch9wavefront6targetE0EEEvSV_
	.globl	_ZN7rocprim17ROCPRIM_400000_NS6detail17trampoline_kernelINS0_14default_configENS1_27lower_bound_config_selectorIflEEZNS1_14transform_implILb0ES3_S5_N6thrust23THRUST_200600_302600_NS6detail15normal_iteratorINS8_7pointerIfNS8_11hip_rocprim3tagENS8_11use_defaultESE_EEEENSA_INSB_IlSD_SE_SE_EEEEZNS1_13binary_searchIS3_S5_NSA_INS8_10device_ptrIfEEEESG_SI_NS1_21lower_bound_search_opENS9_16wrapped_functionINS8_7greaterIfEEbEEEE10hipError_tPvRmT1_T2_T3_mmT4_T5_P12ihipStream_tbEUlRKfE_EESS_SW_SX_mSY_S11_bEUlT_E_NS1_11comp_targetILNS1_3genE0ELNS1_11target_archE4294967295ELNS1_3gpuE0ELNS1_3repE0EEENS1_30default_config_static_selectorELNS0_4arch9wavefront6targetE0EEEvSV_
	.p2align	8
	.type	_ZN7rocprim17ROCPRIM_400000_NS6detail17trampoline_kernelINS0_14default_configENS1_27lower_bound_config_selectorIflEEZNS1_14transform_implILb0ES3_S5_N6thrust23THRUST_200600_302600_NS6detail15normal_iteratorINS8_7pointerIfNS8_11hip_rocprim3tagENS8_11use_defaultESE_EEEENSA_INSB_IlSD_SE_SE_EEEEZNS1_13binary_searchIS3_S5_NSA_INS8_10device_ptrIfEEEESG_SI_NS1_21lower_bound_search_opENS9_16wrapped_functionINS8_7greaterIfEEbEEEE10hipError_tPvRmT1_T2_T3_mmT4_T5_P12ihipStream_tbEUlRKfE_EESS_SW_SX_mSY_S11_bEUlT_E_NS1_11comp_targetILNS1_3genE0ELNS1_11target_archE4294967295ELNS1_3gpuE0ELNS1_3repE0EEENS1_30default_config_static_selectorELNS0_4arch9wavefront6targetE0EEEvSV_,@function
_ZN7rocprim17ROCPRIM_400000_NS6detail17trampoline_kernelINS0_14default_configENS1_27lower_bound_config_selectorIflEEZNS1_14transform_implILb0ES3_S5_N6thrust23THRUST_200600_302600_NS6detail15normal_iteratorINS8_7pointerIfNS8_11hip_rocprim3tagENS8_11use_defaultESE_EEEENSA_INSB_IlSD_SE_SE_EEEEZNS1_13binary_searchIS3_S5_NSA_INS8_10device_ptrIfEEEESG_SI_NS1_21lower_bound_search_opENS9_16wrapped_functionINS8_7greaterIfEEbEEEE10hipError_tPvRmT1_T2_T3_mmT4_T5_P12ihipStream_tbEUlRKfE_EESS_SW_SX_mSY_S11_bEUlT_E_NS1_11comp_targetILNS1_3genE0ELNS1_11target_archE4294967295ELNS1_3gpuE0ELNS1_3repE0EEENS1_30default_config_static_selectorELNS0_4arch9wavefront6targetE0EEEvSV_: ; @_ZN7rocprim17ROCPRIM_400000_NS6detail17trampoline_kernelINS0_14default_configENS1_27lower_bound_config_selectorIflEEZNS1_14transform_implILb0ES3_S5_N6thrust23THRUST_200600_302600_NS6detail15normal_iteratorINS8_7pointerIfNS8_11hip_rocprim3tagENS8_11use_defaultESE_EEEENSA_INSB_IlSD_SE_SE_EEEEZNS1_13binary_searchIS3_S5_NSA_INS8_10device_ptrIfEEEESG_SI_NS1_21lower_bound_search_opENS9_16wrapped_functionINS8_7greaterIfEEbEEEE10hipError_tPvRmT1_T2_T3_mmT4_T5_P12ihipStream_tbEUlRKfE_EESS_SW_SX_mSY_S11_bEUlT_E_NS1_11comp_targetILNS1_3genE0ELNS1_11target_archE4294967295ELNS1_3gpuE0ELNS1_3repE0EEENS1_30default_config_static_selectorELNS0_4arch9wavefront6targetE0EEEvSV_
; %bb.0:
	s_clause 0x3
	s_load_b128 s[12:15], s[0:1], 0x0
	s_load_b128 s[4:7], s[0:1], 0x18
	s_load_b32 s16, s[0:1], 0x38
	s_load_b64 s[8:9], s[0:1], 0x28
	s_bfe_u32 s2, ttmp6, 0x4000c
	s_and_b32 s3, ttmp6, 15
	s_add_co_i32 s2, s2, 1
	s_getreg_b32 s10, hwreg(HW_REG_IB_STS2, 6, 4)
	s_mul_i32 s2, ttmp9, s2
	s_delay_alu instid0(SALU_CYCLE_1)
	s_add_co_i32 s17, s3, s2
	s_wait_kmcnt 0x0
	s_lshl_b64 s[2:3], s[14:15], 2
	s_lshl_b64 s[14:15], s[14:15], 3
	s_cmp_eq_u32 s10, 0
	s_add_nc_u64 s[10:11], s[12:13], s[2:3]
	s_cselect_b32 s12, ttmp9, s17
	s_add_co_i32 s16, s16, -1
	s_add_nc_u64 s[2:3], s[4:5], s[14:15]
	s_lshl_b32 s4, s12, 8
	s_mov_b32 s5, 0
	s_cmp_lg_u32 s12, s16
	s_mov_b32 s12, -1
	s_cbranch_scc0 .LBB31_7
; %bb.1:
	s_cmp_eq_u64 s[8:9], 0
	s_cbranch_scc1 .LBB31_5
; %bb.2:
	s_lshl_b64 s[12:13], s[4:5], 2
	v_mov_b64_e32 v[2:3], 0
	s_add_nc_u64 s[12:13], s[10:11], s[12:13]
	v_mov_b64_e32 v[4:5], s[8:9]
	flat_load_b32 v1, v0, s[12:13] scale_offset
	s_wait_xcnt 0x0
	s_mov_b32 s12, 0
.LBB31_3:                               ; =>This Inner Loop Header: Depth=1
	v_sub_nc_u64_e32 v[6:7], v[4:5], v[2:3]
	s_delay_alu instid0(VALU_DEP_1) | instskip(SKIP_1) | instid1(VALU_DEP_2)
	v_lshrrev_b64 v[8:9], 1, v[6:7]
	v_lshrrev_b64 v[6:7], 6, v[6:7]
	v_add_nc_u64_e32 v[8:9], v[8:9], v[2:3]
	s_delay_alu instid0(VALU_DEP_1) | instskip(NEXT) | instid1(VALU_DEP_1)
	v_add_nc_u64_e32 v[6:7], v[8:9], v[6:7]
	v_lshl_add_u64 v[8:9], v[6:7], 2, s[6:7]
	global_load_b32 v10, v[8:9], off
	s_wait_xcnt 0x0
	v_add_nc_u64_e32 v[8:9], 1, v[6:7]
	s_wait_loadcnt_dscnt 0x0
	v_cmp_gt_f32_e32 vcc_lo, v10, v1
	v_dual_cndmask_b32 v5, v7, v5 :: v_dual_cndmask_b32 v4, v6, v4
	s_delay_alu instid0(VALU_DEP_3) | instskip(NEXT) | instid1(VALU_DEP_1)
	v_dual_cndmask_b32 v3, v3, v9 :: v_dual_cndmask_b32 v2, v2, v8
	v_cmp_ge_u64_e32 vcc_lo, v[2:3], v[4:5]
	s_or_b32 s12, vcc_lo, s12
	s_delay_alu instid0(SALU_CYCLE_1)
	s_and_not1_b32 exec_lo, exec_lo, s12
	s_cbranch_execnz .LBB31_3
; %bb.4:
	s_or_b32 exec_lo, exec_lo, s12
	s_branch .LBB31_6
.LBB31_5:
	v_mov_b64_e32 v[2:3], 0
.LBB31_6:
	s_lshl_b64 s[12:13], s[4:5], 3
	s_delay_alu instid0(SALU_CYCLE_1)
	s_add_nc_u64 s[14:15], s[2:3], s[12:13]
	s_mov_b32 s12, 0
	flat_store_b64 v0, v[2:3], s[14:15] scale_offset
.LBB31_7:
	s_and_b32 vcc_lo, exec_lo, s12
	s_cbranch_vccz .LBB31_16
; %bb.8:
	s_load_b32 s0, s[0:1], 0x10
                                        ; implicit-def: $vgpr1
	s_wait_kmcnt 0x0
	s_sub_co_i32 s1, s0, s4
	s_delay_alu instid0(SALU_CYCLE_1)
	v_cmp_le_u32_e64 s0, s1, v0
	v_cmp_gt_u32_e32 vcc_lo, s1, v0
	s_and_saveexec_b32 s1, vcc_lo
	s_cbranch_execz .LBB31_10
; %bb.9:
	s_lshl_b64 s[12:13], s[4:5], 2
	s_delay_alu instid0(SALU_CYCLE_1)
	s_add_nc_u64 s[10:11], s[10:11], s[12:13]
	flat_load_b32 v1, v0, s[10:11] scale_offset
.LBB31_10:
	s_wait_xcnt 0x0
	s_or_b32 exec_lo, exec_lo, s1
	v_mov_b64_e32 v[2:3], 0
	s_cmp_lg_u64 s[8:9], 0
	s_cselect_b32 s1, -1, 0
	s_xor_b32 s0, s0, -1
	s_delay_alu instid0(SALU_CYCLE_1) | instskip(NEXT) | instid1(SALU_CYCLE_1)
	s_and_b32 s0, s0, s1
	s_and_saveexec_b32 s1, s0
	s_cbranch_execz .LBB31_14
; %bb.11:
	v_mov_b64_e32 v[2:3], 0
	v_mov_b64_e32 v[4:5], s[8:9]
	s_mov_b32 s8, 0
.LBB31_12:                              ; =>This Inner Loop Header: Depth=1
	s_delay_alu instid0(VALU_DEP_1) | instskip(NEXT) | instid1(VALU_DEP_1)
	v_sub_nc_u64_e32 v[6:7], v[4:5], v[2:3]
	v_lshrrev_b64 v[8:9], 1, v[6:7]
	v_lshrrev_b64 v[6:7], 6, v[6:7]
	s_delay_alu instid0(VALU_DEP_2) | instskip(NEXT) | instid1(VALU_DEP_1)
	v_add_nc_u64_e32 v[8:9], v[8:9], v[2:3]
	v_add_nc_u64_e32 v[6:7], v[8:9], v[6:7]
	s_delay_alu instid0(VALU_DEP_1)
	v_lshl_add_u64 v[8:9], v[6:7], 2, s[6:7]
	global_load_b32 v10, v[8:9], off
	s_wait_xcnt 0x0
	v_add_nc_u64_e32 v[8:9], 1, v[6:7]
	s_wait_loadcnt_dscnt 0x0
	v_cmp_gt_f32_e64 s0, v10, v1
	s_delay_alu instid0(VALU_DEP_1) | instskip(NEXT) | instid1(VALU_DEP_3)
	v_dual_cndmask_b32 v5, v7, v5, s0 :: v_dual_cndmask_b32 v4, v6, v4, s0
	v_dual_cndmask_b32 v3, v3, v9, s0 :: v_dual_cndmask_b32 v2, v2, v8, s0
	s_delay_alu instid0(VALU_DEP_1) | instskip(SKIP_1) | instid1(SALU_CYCLE_1)
	v_cmp_ge_u64_e64 s0, v[2:3], v[4:5]
	s_or_b32 s8, s0, s8
	s_and_not1_b32 exec_lo, exec_lo, s8
	s_cbranch_execnz .LBB31_12
; %bb.13:
	s_or_b32 exec_lo, exec_lo, s8
.LBB31_14:
	s_delay_alu instid0(SALU_CYCLE_1)
	s_or_b32 exec_lo, exec_lo, s1
	s_and_saveexec_b32 s0, vcc_lo
	s_cbranch_execz .LBB31_16
; %bb.15:
	s_lshl_b64 s[0:1], s[4:5], 3
	s_delay_alu instid0(SALU_CYCLE_1)
	s_add_nc_u64 s[0:1], s[2:3], s[0:1]
	flat_store_b64 v0, v[2:3], s[0:1] scale_offset
.LBB31_16:
	s_endpgm
	.section	.rodata,"a",@progbits
	.p2align	6, 0x0
	.amdhsa_kernel _ZN7rocprim17ROCPRIM_400000_NS6detail17trampoline_kernelINS0_14default_configENS1_27lower_bound_config_selectorIflEEZNS1_14transform_implILb0ES3_S5_N6thrust23THRUST_200600_302600_NS6detail15normal_iteratorINS8_7pointerIfNS8_11hip_rocprim3tagENS8_11use_defaultESE_EEEENSA_INSB_IlSD_SE_SE_EEEEZNS1_13binary_searchIS3_S5_NSA_INS8_10device_ptrIfEEEESG_SI_NS1_21lower_bound_search_opENS9_16wrapped_functionINS8_7greaterIfEEbEEEE10hipError_tPvRmT1_T2_T3_mmT4_T5_P12ihipStream_tbEUlRKfE_EESS_SW_SX_mSY_S11_bEUlT_E_NS1_11comp_targetILNS1_3genE0ELNS1_11target_archE4294967295ELNS1_3gpuE0ELNS1_3repE0EEENS1_30default_config_static_selectorELNS0_4arch9wavefront6targetE0EEEvSV_
		.amdhsa_group_segment_fixed_size 0
		.amdhsa_private_segment_fixed_size 0
		.amdhsa_kernarg_size 312
		.amdhsa_user_sgpr_count 2
		.amdhsa_user_sgpr_dispatch_ptr 0
		.amdhsa_user_sgpr_queue_ptr 0
		.amdhsa_user_sgpr_kernarg_segment_ptr 1
		.amdhsa_user_sgpr_dispatch_id 0
		.amdhsa_user_sgpr_kernarg_preload_length 0
		.amdhsa_user_sgpr_kernarg_preload_offset 0
		.amdhsa_user_sgpr_private_segment_size 0
		.amdhsa_wavefront_size32 1
		.amdhsa_uses_dynamic_stack 0
		.amdhsa_enable_private_segment 0
		.amdhsa_system_sgpr_workgroup_id_x 1
		.amdhsa_system_sgpr_workgroup_id_y 0
		.amdhsa_system_sgpr_workgroup_id_z 0
		.amdhsa_system_sgpr_workgroup_info 0
		.amdhsa_system_vgpr_workitem_id 0
		.amdhsa_next_free_vgpr 11
		.amdhsa_next_free_sgpr 18
		.amdhsa_named_barrier_count 0
		.amdhsa_reserve_vcc 1
		.amdhsa_float_round_mode_32 0
		.amdhsa_float_round_mode_16_64 0
		.amdhsa_float_denorm_mode_32 3
		.amdhsa_float_denorm_mode_16_64 3
		.amdhsa_fp16_overflow 0
		.amdhsa_memory_ordered 1
		.amdhsa_forward_progress 1
		.amdhsa_inst_pref_size 5
		.amdhsa_round_robin_scheduling 0
		.amdhsa_exception_fp_ieee_invalid_op 0
		.amdhsa_exception_fp_denorm_src 0
		.amdhsa_exception_fp_ieee_div_zero 0
		.amdhsa_exception_fp_ieee_overflow 0
		.amdhsa_exception_fp_ieee_underflow 0
		.amdhsa_exception_fp_ieee_inexact 0
		.amdhsa_exception_int_div_zero 0
	.end_amdhsa_kernel
	.section	.text._ZN7rocprim17ROCPRIM_400000_NS6detail17trampoline_kernelINS0_14default_configENS1_27lower_bound_config_selectorIflEEZNS1_14transform_implILb0ES3_S5_N6thrust23THRUST_200600_302600_NS6detail15normal_iteratorINS8_7pointerIfNS8_11hip_rocprim3tagENS8_11use_defaultESE_EEEENSA_INSB_IlSD_SE_SE_EEEEZNS1_13binary_searchIS3_S5_NSA_INS8_10device_ptrIfEEEESG_SI_NS1_21lower_bound_search_opENS9_16wrapped_functionINS8_7greaterIfEEbEEEE10hipError_tPvRmT1_T2_T3_mmT4_T5_P12ihipStream_tbEUlRKfE_EESS_SW_SX_mSY_S11_bEUlT_E_NS1_11comp_targetILNS1_3genE0ELNS1_11target_archE4294967295ELNS1_3gpuE0ELNS1_3repE0EEENS1_30default_config_static_selectorELNS0_4arch9wavefront6targetE0EEEvSV_,"axG",@progbits,_ZN7rocprim17ROCPRIM_400000_NS6detail17trampoline_kernelINS0_14default_configENS1_27lower_bound_config_selectorIflEEZNS1_14transform_implILb0ES3_S5_N6thrust23THRUST_200600_302600_NS6detail15normal_iteratorINS8_7pointerIfNS8_11hip_rocprim3tagENS8_11use_defaultESE_EEEENSA_INSB_IlSD_SE_SE_EEEEZNS1_13binary_searchIS3_S5_NSA_INS8_10device_ptrIfEEEESG_SI_NS1_21lower_bound_search_opENS9_16wrapped_functionINS8_7greaterIfEEbEEEE10hipError_tPvRmT1_T2_T3_mmT4_T5_P12ihipStream_tbEUlRKfE_EESS_SW_SX_mSY_S11_bEUlT_E_NS1_11comp_targetILNS1_3genE0ELNS1_11target_archE4294967295ELNS1_3gpuE0ELNS1_3repE0EEENS1_30default_config_static_selectorELNS0_4arch9wavefront6targetE0EEEvSV_,comdat
.Lfunc_end31:
	.size	_ZN7rocprim17ROCPRIM_400000_NS6detail17trampoline_kernelINS0_14default_configENS1_27lower_bound_config_selectorIflEEZNS1_14transform_implILb0ES3_S5_N6thrust23THRUST_200600_302600_NS6detail15normal_iteratorINS8_7pointerIfNS8_11hip_rocprim3tagENS8_11use_defaultESE_EEEENSA_INSB_IlSD_SE_SE_EEEEZNS1_13binary_searchIS3_S5_NSA_INS8_10device_ptrIfEEEESG_SI_NS1_21lower_bound_search_opENS9_16wrapped_functionINS8_7greaterIfEEbEEEE10hipError_tPvRmT1_T2_T3_mmT4_T5_P12ihipStream_tbEUlRKfE_EESS_SW_SX_mSY_S11_bEUlT_E_NS1_11comp_targetILNS1_3genE0ELNS1_11target_archE4294967295ELNS1_3gpuE0ELNS1_3repE0EEENS1_30default_config_static_selectorELNS0_4arch9wavefront6targetE0EEEvSV_, .Lfunc_end31-_ZN7rocprim17ROCPRIM_400000_NS6detail17trampoline_kernelINS0_14default_configENS1_27lower_bound_config_selectorIflEEZNS1_14transform_implILb0ES3_S5_N6thrust23THRUST_200600_302600_NS6detail15normal_iteratorINS8_7pointerIfNS8_11hip_rocprim3tagENS8_11use_defaultESE_EEEENSA_INSB_IlSD_SE_SE_EEEEZNS1_13binary_searchIS3_S5_NSA_INS8_10device_ptrIfEEEESG_SI_NS1_21lower_bound_search_opENS9_16wrapped_functionINS8_7greaterIfEEbEEEE10hipError_tPvRmT1_T2_T3_mmT4_T5_P12ihipStream_tbEUlRKfE_EESS_SW_SX_mSY_S11_bEUlT_E_NS1_11comp_targetILNS1_3genE0ELNS1_11target_archE4294967295ELNS1_3gpuE0ELNS1_3repE0EEENS1_30default_config_static_selectorELNS0_4arch9wavefront6targetE0EEEvSV_
                                        ; -- End function
	.set _ZN7rocprim17ROCPRIM_400000_NS6detail17trampoline_kernelINS0_14default_configENS1_27lower_bound_config_selectorIflEEZNS1_14transform_implILb0ES3_S5_N6thrust23THRUST_200600_302600_NS6detail15normal_iteratorINS8_7pointerIfNS8_11hip_rocprim3tagENS8_11use_defaultESE_EEEENSA_INSB_IlSD_SE_SE_EEEEZNS1_13binary_searchIS3_S5_NSA_INS8_10device_ptrIfEEEESG_SI_NS1_21lower_bound_search_opENS9_16wrapped_functionINS8_7greaterIfEEbEEEE10hipError_tPvRmT1_T2_T3_mmT4_T5_P12ihipStream_tbEUlRKfE_EESS_SW_SX_mSY_S11_bEUlT_E_NS1_11comp_targetILNS1_3genE0ELNS1_11target_archE4294967295ELNS1_3gpuE0ELNS1_3repE0EEENS1_30default_config_static_selectorELNS0_4arch9wavefront6targetE0EEEvSV_.num_vgpr, 11
	.set _ZN7rocprim17ROCPRIM_400000_NS6detail17trampoline_kernelINS0_14default_configENS1_27lower_bound_config_selectorIflEEZNS1_14transform_implILb0ES3_S5_N6thrust23THRUST_200600_302600_NS6detail15normal_iteratorINS8_7pointerIfNS8_11hip_rocprim3tagENS8_11use_defaultESE_EEEENSA_INSB_IlSD_SE_SE_EEEEZNS1_13binary_searchIS3_S5_NSA_INS8_10device_ptrIfEEEESG_SI_NS1_21lower_bound_search_opENS9_16wrapped_functionINS8_7greaterIfEEbEEEE10hipError_tPvRmT1_T2_T3_mmT4_T5_P12ihipStream_tbEUlRKfE_EESS_SW_SX_mSY_S11_bEUlT_E_NS1_11comp_targetILNS1_3genE0ELNS1_11target_archE4294967295ELNS1_3gpuE0ELNS1_3repE0EEENS1_30default_config_static_selectorELNS0_4arch9wavefront6targetE0EEEvSV_.num_agpr, 0
	.set _ZN7rocprim17ROCPRIM_400000_NS6detail17trampoline_kernelINS0_14default_configENS1_27lower_bound_config_selectorIflEEZNS1_14transform_implILb0ES3_S5_N6thrust23THRUST_200600_302600_NS6detail15normal_iteratorINS8_7pointerIfNS8_11hip_rocprim3tagENS8_11use_defaultESE_EEEENSA_INSB_IlSD_SE_SE_EEEEZNS1_13binary_searchIS3_S5_NSA_INS8_10device_ptrIfEEEESG_SI_NS1_21lower_bound_search_opENS9_16wrapped_functionINS8_7greaterIfEEbEEEE10hipError_tPvRmT1_T2_T3_mmT4_T5_P12ihipStream_tbEUlRKfE_EESS_SW_SX_mSY_S11_bEUlT_E_NS1_11comp_targetILNS1_3genE0ELNS1_11target_archE4294967295ELNS1_3gpuE0ELNS1_3repE0EEENS1_30default_config_static_selectorELNS0_4arch9wavefront6targetE0EEEvSV_.numbered_sgpr, 18
	.set _ZN7rocprim17ROCPRIM_400000_NS6detail17trampoline_kernelINS0_14default_configENS1_27lower_bound_config_selectorIflEEZNS1_14transform_implILb0ES3_S5_N6thrust23THRUST_200600_302600_NS6detail15normal_iteratorINS8_7pointerIfNS8_11hip_rocprim3tagENS8_11use_defaultESE_EEEENSA_INSB_IlSD_SE_SE_EEEEZNS1_13binary_searchIS3_S5_NSA_INS8_10device_ptrIfEEEESG_SI_NS1_21lower_bound_search_opENS9_16wrapped_functionINS8_7greaterIfEEbEEEE10hipError_tPvRmT1_T2_T3_mmT4_T5_P12ihipStream_tbEUlRKfE_EESS_SW_SX_mSY_S11_bEUlT_E_NS1_11comp_targetILNS1_3genE0ELNS1_11target_archE4294967295ELNS1_3gpuE0ELNS1_3repE0EEENS1_30default_config_static_selectorELNS0_4arch9wavefront6targetE0EEEvSV_.num_named_barrier, 0
	.set _ZN7rocprim17ROCPRIM_400000_NS6detail17trampoline_kernelINS0_14default_configENS1_27lower_bound_config_selectorIflEEZNS1_14transform_implILb0ES3_S5_N6thrust23THRUST_200600_302600_NS6detail15normal_iteratorINS8_7pointerIfNS8_11hip_rocprim3tagENS8_11use_defaultESE_EEEENSA_INSB_IlSD_SE_SE_EEEEZNS1_13binary_searchIS3_S5_NSA_INS8_10device_ptrIfEEEESG_SI_NS1_21lower_bound_search_opENS9_16wrapped_functionINS8_7greaterIfEEbEEEE10hipError_tPvRmT1_T2_T3_mmT4_T5_P12ihipStream_tbEUlRKfE_EESS_SW_SX_mSY_S11_bEUlT_E_NS1_11comp_targetILNS1_3genE0ELNS1_11target_archE4294967295ELNS1_3gpuE0ELNS1_3repE0EEENS1_30default_config_static_selectorELNS0_4arch9wavefront6targetE0EEEvSV_.private_seg_size, 0
	.set _ZN7rocprim17ROCPRIM_400000_NS6detail17trampoline_kernelINS0_14default_configENS1_27lower_bound_config_selectorIflEEZNS1_14transform_implILb0ES3_S5_N6thrust23THRUST_200600_302600_NS6detail15normal_iteratorINS8_7pointerIfNS8_11hip_rocprim3tagENS8_11use_defaultESE_EEEENSA_INSB_IlSD_SE_SE_EEEEZNS1_13binary_searchIS3_S5_NSA_INS8_10device_ptrIfEEEESG_SI_NS1_21lower_bound_search_opENS9_16wrapped_functionINS8_7greaterIfEEbEEEE10hipError_tPvRmT1_T2_T3_mmT4_T5_P12ihipStream_tbEUlRKfE_EESS_SW_SX_mSY_S11_bEUlT_E_NS1_11comp_targetILNS1_3genE0ELNS1_11target_archE4294967295ELNS1_3gpuE0ELNS1_3repE0EEENS1_30default_config_static_selectorELNS0_4arch9wavefront6targetE0EEEvSV_.uses_vcc, 1
	.set _ZN7rocprim17ROCPRIM_400000_NS6detail17trampoline_kernelINS0_14default_configENS1_27lower_bound_config_selectorIflEEZNS1_14transform_implILb0ES3_S5_N6thrust23THRUST_200600_302600_NS6detail15normal_iteratorINS8_7pointerIfNS8_11hip_rocprim3tagENS8_11use_defaultESE_EEEENSA_INSB_IlSD_SE_SE_EEEEZNS1_13binary_searchIS3_S5_NSA_INS8_10device_ptrIfEEEESG_SI_NS1_21lower_bound_search_opENS9_16wrapped_functionINS8_7greaterIfEEbEEEE10hipError_tPvRmT1_T2_T3_mmT4_T5_P12ihipStream_tbEUlRKfE_EESS_SW_SX_mSY_S11_bEUlT_E_NS1_11comp_targetILNS1_3genE0ELNS1_11target_archE4294967295ELNS1_3gpuE0ELNS1_3repE0EEENS1_30default_config_static_selectorELNS0_4arch9wavefront6targetE0EEEvSV_.uses_flat_scratch, 0
	.set _ZN7rocprim17ROCPRIM_400000_NS6detail17trampoline_kernelINS0_14default_configENS1_27lower_bound_config_selectorIflEEZNS1_14transform_implILb0ES3_S5_N6thrust23THRUST_200600_302600_NS6detail15normal_iteratorINS8_7pointerIfNS8_11hip_rocprim3tagENS8_11use_defaultESE_EEEENSA_INSB_IlSD_SE_SE_EEEEZNS1_13binary_searchIS3_S5_NSA_INS8_10device_ptrIfEEEESG_SI_NS1_21lower_bound_search_opENS9_16wrapped_functionINS8_7greaterIfEEbEEEE10hipError_tPvRmT1_T2_T3_mmT4_T5_P12ihipStream_tbEUlRKfE_EESS_SW_SX_mSY_S11_bEUlT_E_NS1_11comp_targetILNS1_3genE0ELNS1_11target_archE4294967295ELNS1_3gpuE0ELNS1_3repE0EEENS1_30default_config_static_selectorELNS0_4arch9wavefront6targetE0EEEvSV_.has_dyn_sized_stack, 0
	.set _ZN7rocprim17ROCPRIM_400000_NS6detail17trampoline_kernelINS0_14default_configENS1_27lower_bound_config_selectorIflEEZNS1_14transform_implILb0ES3_S5_N6thrust23THRUST_200600_302600_NS6detail15normal_iteratorINS8_7pointerIfNS8_11hip_rocprim3tagENS8_11use_defaultESE_EEEENSA_INSB_IlSD_SE_SE_EEEEZNS1_13binary_searchIS3_S5_NSA_INS8_10device_ptrIfEEEESG_SI_NS1_21lower_bound_search_opENS9_16wrapped_functionINS8_7greaterIfEEbEEEE10hipError_tPvRmT1_T2_T3_mmT4_T5_P12ihipStream_tbEUlRKfE_EESS_SW_SX_mSY_S11_bEUlT_E_NS1_11comp_targetILNS1_3genE0ELNS1_11target_archE4294967295ELNS1_3gpuE0ELNS1_3repE0EEENS1_30default_config_static_selectorELNS0_4arch9wavefront6targetE0EEEvSV_.has_recursion, 0
	.set _ZN7rocprim17ROCPRIM_400000_NS6detail17trampoline_kernelINS0_14default_configENS1_27lower_bound_config_selectorIflEEZNS1_14transform_implILb0ES3_S5_N6thrust23THRUST_200600_302600_NS6detail15normal_iteratorINS8_7pointerIfNS8_11hip_rocprim3tagENS8_11use_defaultESE_EEEENSA_INSB_IlSD_SE_SE_EEEEZNS1_13binary_searchIS3_S5_NSA_INS8_10device_ptrIfEEEESG_SI_NS1_21lower_bound_search_opENS9_16wrapped_functionINS8_7greaterIfEEbEEEE10hipError_tPvRmT1_T2_T3_mmT4_T5_P12ihipStream_tbEUlRKfE_EESS_SW_SX_mSY_S11_bEUlT_E_NS1_11comp_targetILNS1_3genE0ELNS1_11target_archE4294967295ELNS1_3gpuE0ELNS1_3repE0EEENS1_30default_config_static_selectorELNS0_4arch9wavefront6targetE0EEEvSV_.has_indirect_call, 0
	.section	.AMDGPU.csdata,"",@progbits
; Kernel info:
; codeLenInByte = 620
; TotalNumSgprs: 20
; NumVgprs: 11
; ScratchSize: 0
; MemoryBound: 0
; FloatMode: 240
; IeeeMode: 1
; LDSByteSize: 0 bytes/workgroup (compile time only)
; SGPRBlocks: 0
; VGPRBlocks: 0
; NumSGPRsForWavesPerEU: 20
; NumVGPRsForWavesPerEU: 11
; NamedBarCnt: 0
; Occupancy: 16
; WaveLimiterHint : 0
; COMPUTE_PGM_RSRC2:SCRATCH_EN: 0
; COMPUTE_PGM_RSRC2:USER_SGPR: 2
; COMPUTE_PGM_RSRC2:TRAP_HANDLER: 0
; COMPUTE_PGM_RSRC2:TGID_X_EN: 1
; COMPUTE_PGM_RSRC2:TGID_Y_EN: 0
; COMPUTE_PGM_RSRC2:TGID_Z_EN: 0
; COMPUTE_PGM_RSRC2:TIDIG_COMP_CNT: 0
	.section	.text._ZN7rocprim17ROCPRIM_400000_NS6detail17trampoline_kernelINS0_14default_configENS1_27lower_bound_config_selectorIflEEZNS1_14transform_implILb0ES3_S5_N6thrust23THRUST_200600_302600_NS6detail15normal_iteratorINS8_7pointerIfNS8_11hip_rocprim3tagENS8_11use_defaultESE_EEEENSA_INSB_IlSD_SE_SE_EEEEZNS1_13binary_searchIS3_S5_NSA_INS8_10device_ptrIfEEEESG_SI_NS1_21lower_bound_search_opENS9_16wrapped_functionINS8_7greaterIfEEbEEEE10hipError_tPvRmT1_T2_T3_mmT4_T5_P12ihipStream_tbEUlRKfE_EESS_SW_SX_mSY_S11_bEUlT_E_NS1_11comp_targetILNS1_3genE5ELNS1_11target_archE942ELNS1_3gpuE9ELNS1_3repE0EEENS1_30default_config_static_selectorELNS0_4arch9wavefront6targetE0EEEvSV_,"axG",@progbits,_ZN7rocprim17ROCPRIM_400000_NS6detail17trampoline_kernelINS0_14default_configENS1_27lower_bound_config_selectorIflEEZNS1_14transform_implILb0ES3_S5_N6thrust23THRUST_200600_302600_NS6detail15normal_iteratorINS8_7pointerIfNS8_11hip_rocprim3tagENS8_11use_defaultESE_EEEENSA_INSB_IlSD_SE_SE_EEEEZNS1_13binary_searchIS3_S5_NSA_INS8_10device_ptrIfEEEESG_SI_NS1_21lower_bound_search_opENS9_16wrapped_functionINS8_7greaterIfEEbEEEE10hipError_tPvRmT1_T2_T3_mmT4_T5_P12ihipStream_tbEUlRKfE_EESS_SW_SX_mSY_S11_bEUlT_E_NS1_11comp_targetILNS1_3genE5ELNS1_11target_archE942ELNS1_3gpuE9ELNS1_3repE0EEENS1_30default_config_static_selectorELNS0_4arch9wavefront6targetE0EEEvSV_,comdat
	.protected	_ZN7rocprim17ROCPRIM_400000_NS6detail17trampoline_kernelINS0_14default_configENS1_27lower_bound_config_selectorIflEEZNS1_14transform_implILb0ES3_S5_N6thrust23THRUST_200600_302600_NS6detail15normal_iteratorINS8_7pointerIfNS8_11hip_rocprim3tagENS8_11use_defaultESE_EEEENSA_INSB_IlSD_SE_SE_EEEEZNS1_13binary_searchIS3_S5_NSA_INS8_10device_ptrIfEEEESG_SI_NS1_21lower_bound_search_opENS9_16wrapped_functionINS8_7greaterIfEEbEEEE10hipError_tPvRmT1_T2_T3_mmT4_T5_P12ihipStream_tbEUlRKfE_EESS_SW_SX_mSY_S11_bEUlT_E_NS1_11comp_targetILNS1_3genE5ELNS1_11target_archE942ELNS1_3gpuE9ELNS1_3repE0EEENS1_30default_config_static_selectorELNS0_4arch9wavefront6targetE0EEEvSV_ ; -- Begin function _ZN7rocprim17ROCPRIM_400000_NS6detail17trampoline_kernelINS0_14default_configENS1_27lower_bound_config_selectorIflEEZNS1_14transform_implILb0ES3_S5_N6thrust23THRUST_200600_302600_NS6detail15normal_iteratorINS8_7pointerIfNS8_11hip_rocprim3tagENS8_11use_defaultESE_EEEENSA_INSB_IlSD_SE_SE_EEEEZNS1_13binary_searchIS3_S5_NSA_INS8_10device_ptrIfEEEESG_SI_NS1_21lower_bound_search_opENS9_16wrapped_functionINS8_7greaterIfEEbEEEE10hipError_tPvRmT1_T2_T3_mmT4_T5_P12ihipStream_tbEUlRKfE_EESS_SW_SX_mSY_S11_bEUlT_E_NS1_11comp_targetILNS1_3genE5ELNS1_11target_archE942ELNS1_3gpuE9ELNS1_3repE0EEENS1_30default_config_static_selectorELNS0_4arch9wavefront6targetE0EEEvSV_
	.globl	_ZN7rocprim17ROCPRIM_400000_NS6detail17trampoline_kernelINS0_14default_configENS1_27lower_bound_config_selectorIflEEZNS1_14transform_implILb0ES3_S5_N6thrust23THRUST_200600_302600_NS6detail15normal_iteratorINS8_7pointerIfNS8_11hip_rocprim3tagENS8_11use_defaultESE_EEEENSA_INSB_IlSD_SE_SE_EEEEZNS1_13binary_searchIS3_S5_NSA_INS8_10device_ptrIfEEEESG_SI_NS1_21lower_bound_search_opENS9_16wrapped_functionINS8_7greaterIfEEbEEEE10hipError_tPvRmT1_T2_T3_mmT4_T5_P12ihipStream_tbEUlRKfE_EESS_SW_SX_mSY_S11_bEUlT_E_NS1_11comp_targetILNS1_3genE5ELNS1_11target_archE942ELNS1_3gpuE9ELNS1_3repE0EEENS1_30default_config_static_selectorELNS0_4arch9wavefront6targetE0EEEvSV_
	.p2align	8
	.type	_ZN7rocprim17ROCPRIM_400000_NS6detail17trampoline_kernelINS0_14default_configENS1_27lower_bound_config_selectorIflEEZNS1_14transform_implILb0ES3_S5_N6thrust23THRUST_200600_302600_NS6detail15normal_iteratorINS8_7pointerIfNS8_11hip_rocprim3tagENS8_11use_defaultESE_EEEENSA_INSB_IlSD_SE_SE_EEEEZNS1_13binary_searchIS3_S5_NSA_INS8_10device_ptrIfEEEESG_SI_NS1_21lower_bound_search_opENS9_16wrapped_functionINS8_7greaterIfEEbEEEE10hipError_tPvRmT1_T2_T3_mmT4_T5_P12ihipStream_tbEUlRKfE_EESS_SW_SX_mSY_S11_bEUlT_E_NS1_11comp_targetILNS1_3genE5ELNS1_11target_archE942ELNS1_3gpuE9ELNS1_3repE0EEENS1_30default_config_static_selectorELNS0_4arch9wavefront6targetE0EEEvSV_,@function
_ZN7rocprim17ROCPRIM_400000_NS6detail17trampoline_kernelINS0_14default_configENS1_27lower_bound_config_selectorIflEEZNS1_14transform_implILb0ES3_S5_N6thrust23THRUST_200600_302600_NS6detail15normal_iteratorINS8_7pointerIfNS8_11hip_rocprim3tagENS8_11use_defaultESE_EEEENSA_INSB_IlSD_SE_SE_EEEEZNS1_13binary_searchIS3_S5_NSA_INS8_10device_ptrIfEEEESG_SI_NS1_21lower_bound_search_opENS9_16wrapped_functionINS8_7greaterIfEEbEEEE10hipError_tPvRmT1_T2_T3_mmT4_T5_P12ihipStream_tbEUlRKfE_EESS_SW_SX_mSY_S11_bEUlT_E_NS1_11comp_targetILNS1_3genE5ELNS1_11target_archE942ELNS1_3gpuE9ELNS1_3repE0EEENS1_30default_config_static_selectorELNS0_4arch9wavefront6targetE0EEEvSV_: ; @_ZN7rocprim17ROCPRIM_400000_NS6detail17trampoline_kernelINS0_14default_configENS1_27lower_bound_config_selectorIflEEZNS1_14transform_implILb0ES3_S5_N6thrust23THRUST_200600_302600_NS6detail15normal_iteratorINS8_7pointerIfNS8_11hip_rocprim3tagENS8_11use_defaultESE_EEEENSA_INSB_IlSD_SE_SE_EEEEZNS1_13binary_searchIS3_S5_NSA_INS8_10device_ptrIfEEEESG_SI_NS1_21lower_bound_search_opENS9_16wrapped_functionINS8_7greaterIfEEbEEEE10hipError_tPvRmT1_T2_T3_mmT4_T5_P12ihipStream_tbEUlRKfE_EESS_SW_SX_mSY_S11_bEUlT_E_NS1_11comp_targetILNS1_3genE5ELNS1_11target_archE942ELNS1_3gpuE9ELNS1_3repE0EEENS1_30default_config_static_selectorELNS0_4arch9wavefront6targetE0EEEvSV_
; %bb.0:
	.section	.rodata,"a",@progbits
	.p2align	6, 0x0
	.amdhsa_kernel _ZN7rocprim17ROCPRIM_400000_NS6detail17trampoline_kernelINS0_14default_configENS1_27lower_bound_config_selectorIflEEZNS1_14transform_implILb0ES3_S5_N6thrust23THRUST_200600_302600_NS6detail15normal_iteratorINS8_7pointerIfNS8_11hip_rocprim3tagENS8_11use_defaultESE_EEEENSA_INSB_IlSD_SE_SE_EEEEZNS1_13binary_searchIS3_S5_NSA_INS8_10device_ptrIfEEEESG_SI_NS1_21lower_bound_search_opENS9_16wrapped_functionINS8_7greaterIfEEbEEEE10hipError_tPvRmT1_T2_T3_mmT4_T5_P12ihipStream_tbEUlRKfE_EESS_SW_SX_mSY_S11_bEUlT_E_NS1_11comp_targetILNS1_3genE5ELNS1_11target_archE942ELNS1_3gpuE9ELNS1_3repE0EEENS1_30default_config_static_selectorELNS0_4arch9wavefront6targetE0EEEvSV_
		.amdhsa_group_segment_fixed_size 0
		.amdhsa_private_segment_fixed_size 0
		.amdhsa_kernarg_size 56
		.amdhsa_user_sgpr_count 2
		.amdhsa_user_sgpr_dispatch_ptr 0
		.amdhsa_user_sgpr_queue_ptr 0
		.amdhsa_user_sgpr_kernarg_segment_ptr 1
		.amdhsa_user_sgpr_dispatch_id 0
		.amdhsa_user_sgpr_kernarg_preload_length 0
		.amdhsa_user_sgpr_kernarg_preload_offset 0
		.amdhsa_user_sgpr_private_segment_size 0
		.amdhsa_wavefront_size32 1
		.amdhsa_uses_dynamic_stack 0
		.amdhsa_enable_private_segment 0
		.amdhsa_system_sgpr_workgroup_id_x 1
		.amdhsa_system_sgpr_workgroup_id_y 0
		.amdhsa_system_sgpr_workgroup_id_z 0
		.amdhsa_system_sgpr_workgroup_info 0
		.amdhsa_system_vgpr_workitem_id 0
		.amdhsa_next_free_vgpr 1
		.amdhsa_next_free_sgpr 1
		.amdhsa_named_barrier_count 0
		.amdhsa_reserve_vcc 0
		.amdhsa_float_round_mode_32 0
		.amdhsa_float_round_mode_16_64 0
		.amdhsa_float_denorm_mode_32 3
		.amdhsa_float_denorm_mode_16_64 3
		.amdhsa_fp16_overflow 0
		.amdhsa_memory_ordered 1
		.amdhsa_forward_progress 1
		.amdhsa_inst_pref_size 0
		.amdhsa_round_robin_scheduling 0
		.amdhsa_exception_fp_ieee_invalid_op 0
		.amdhsa_exception_fp_denorm_src 0
		.amdhsa_exception_fp_ieee_div_zero 0
		.amdhsa_exception_fp_ieee_overflow 0
		.amdhsa_exception_fp_ieee_underflow 0
		.amdhsa_exception_fp_ieee_inexact 0
		.amdhsa_exception_int_div_zero 0
	.end_amdhsa_kernel
	.section	.text._ZN7rocprim17ROCPRIM_400000_NS6detail17trampoline_kernelINS0_14default_configENS1_27lower_bound_config_selectorIflEEZNS1_14transform_implILb0ES3_S5_N6thrust23THRUST_200600_302600_NS6detail15normal_iteratorINS8_7pointerIfNS8_11hip_rocprim3tagENS8_11use_defaultESE_EEEENSA_INSB_IlSD_SE_SE_EEEEZNS1_13binary_searchIS3_S5_NSA_INS8_10device_ptrIfEEEESG_SI_NS1_21lower_bound_search_opENS9_16wrapped_functionINS8_7greaterIfEEbEEEE10hipError_tPvRmT1_T2_T3_mmT4_T5_P12ihipStream_tbEUlRKfE_EESS_SW_SX_mSY_S11_bEUlT_E_NS1_11comp_targetILNS1_3genE5ELNS1_11target_archE942ELNS1_3gpuE9ELNS1_3repE0EEENS1_30default_config_static_selectorELNS0_4arch9wavefront6targetE0EEEvSV_,"axG",@progbits,_ZN7rocprim17ROCPRIM_400000_NS6detail17trampoline_kernelINS0_14default_configENS1_27lower_bound_config_selectorIflEEZNS1_14transform_implILb0ES3_S5_N6thrust23THRUST_200600_302600_NS6detail15normal_iteratorINS8_7pointerIfNS8_11hip_rocprim3tagENS8_11use_defaultESE_EEEENSA_INSB_IlSD_SE_SE_EEEEZNS1_13binary_searchIS3_S5_NSA_INS8_10device_ptrIfEEEESG_SI_NS1_21lower_bound_search_opENS9_16wrapped_functionINS8_7greaterIfEEbEEEE10hipError_tPvRmT1_T2_T3_mmT4_T5_P12ihipStream_tbEUlRKfE_EESS_SW_SX_mSY_S11_bEUlT_E_NS1_11comp_targetILNS1_3genE5ELNS1_11target_archE942ELNS1_3gpuE9ELNS1_3repE0EEENS1_30default_config_static_selectorELNS0_4arch9wavefront6targetE0EEEvSV_,comdat
.Lfunc_end32:
	.size	_ZN7rocprim17ROCPRIM_400000_NS6detail17trampoline_kernelINS0_14default_configENS1_27lower_bound_config_selectorIflEEZNS1_14transform_implILb0ES3_S5_N6thrust23THRUST_200600_302600_NS6detail15normal_iteratorINS8_7pointerIfNS8_11hip_rocprim3tagENS8_11use_defaultESE_EEEENSA_INSB_IlSD_SE_SE_EEEEZNS1_13binary_searchIS3_S5_NSA_INS8_10device_ptrIfEEEESG_SI_NS1_21lower_bound_search_opENS9_16wrapped_functionINS8_7greaterIfEEbEEEE10hipError_tPvRmT1_T2_T3_mmT4_T5_P12ihipStream_tbEUlRKfE_EESS_SW_SX_mSY_S11_bEUlT_E_NS1_11comp_targetILNS1_3genE5ELNS1_11target_archE942ELNS1_3gpuE9ELNS1_3repE0EEENS1_30default_config_static_selectorELNS0_4arch9wavefront6targetE0EEEvSV_, .Lfunc_end32-_ZN7rocprim17ROCPRIM_400000_NS6detail17trampoline_kernelINS0_14default_configENS1_27lower_bound_config_selectorIflEEZNS1_14transform_implILb0ES3_S5_N6thrust23THRUST_200600_302600_NS6detail15normal_iteratorINS8_7pointerIfNS8_11hip_rocprim3tagENS8_11use_defaultESE_EEEENSA_INSB_IlSD_SE_SE_EEEEZNS1_13binary_searchIS3_S5_NSA_INS8_10device_ptrIfEEEESG_SI_NS1_21lower_bound_search_opENS9_16wrapped_functionINS8_7greaterIfEEbEEEE10hipError_tPvRmT1_T2_T3_mmT4_T5_P12ihipStream_tbEUlRKfE_EESS_SW_SX_mSY_S11_bEUlT_E_NS1_11comp_targetILNS1_3genE5ELNS1_11target_archE942ELNS1_3gpuE9ELNS1_3repE0EEENS1_30default_config_static_selectorELNS0_4arch9wavefront6targetE0EEEvSV_
                                        ; -- End function
	.set _ZN7rocprim17ROCPRIM_400000_NS6detail17trampoline_kernelINS0_14default_configENS1_27lower_bound_config_selectorIflEEZNS1_14transform_implILb0ES3_S5_N6thrust23THRUST_200600_302600_NS6detail15normal_iteratorINS8_7pointerIfNS8_11hip_rocprim3tagENS8_11use_defaultESE_EEEENSA_INSB_IlSD_SE_SE_EEEEZNS1_13binary_searchIS3_S5_NSA_INS8_10device_ptrIfEEEESG_SI_NS1_21lower_bound_search_opENS9_16wrapped_functionINS8_7greaterIfEEbEEEE10hipError_tPvRmT1_T2_T3_mmT4_T5_P12ihipStream_tbEUlRKfE_EESS_SW_SX_mSY_S11_bEUlT_E_NS1_11comp_targetILNS1_3genE5ELNS1_11target_archE942ELNS1_3gpuE9ELNS1_3repE0EEENS1_30default_config_static_selectorELNS0_4arch9wavefront6targetE0EEEvSV_.num_vgpr, 0
	.set _ZN7rocprim17ROCPRIM_400000_NS6detail17trampoline_kernelINS0_14default_configENS1_27lower_bound_config_selectorIflEEZNS1_14transform_implILb0ES3_S5_N6thrust23THRUST_200600_302600_NS6detail15normal_iteratorINS8_7pointerIfNS8_11hip_rocprim3tagENS8_11use_defaultESE_EEEENSA_INSB_IlSD_SE_SE_EEEEZNS1_13binary_searchIS3_S5_NSA_INS8_10device_ptrIfEEEESG_SI_NS1_21lower_bound_search_opENS9_16wrapped_functionINS8_7greaterIfEEbEEEE10hipError_tPvRmT1_T2_T3_mmT4_T5_P12ihipStream_tbEUlRKfE_EESS_SW_SX_mSY_S11_bEUlT_E_NS1_11comp_targetILNS1_3genE5ELNS1_11target_archE942ELNS1_3gpuE9ELNS1_3repE0EEENS1_30default_config_static_selectorELNS0_4arch9wavefront6targetE0EEEvSV_.num_agpr, 0
	.set _ZN7rocprim17ROCPRIM_400000_NS6detail17trampoline_kernelINS0_14default_configENS1_27lower_bound_config_selectorIflEEZNS1_14transform_implILb0ES3_S5_N6thrust23THRUST_200600_302600_NS6detail15normal_iteratorINS8_7pointerIfNS8_11hip_rocprim3tagENS8_11use_defaultESE_EEEENSA_INSB_IlSD_SE_SE_EEEEZNS1_13binary_searchIS3_S5_NSA_INS8_10device_ptrIfEEEESG_SI_NS1_21lower_bound_search_opENS9_16wrapped_functionINS8_7greaterIfEEbEEEE10hipError_tPvRmT1_T2_T3_mmT4_T5_P12ihipStream_tbEUlRKfE_EESS_SW_SX_mSY_S11_bEUlT_E_NS1_11comp_targetILNS1_3genE5ELNS1_11target_archE942ELNS1_3gpuE9ELNS1_3repE0EEENS1_30default_config_static_selectorELNS0_4arch9wavefront6targetE0EEEvSV_.numbered_sgpr, 0
	.set _ZN7rocprim17ROCPRIM_400000_NS6detail17trampoline_kernelINS0_14default_configENS1_27lower_bound_config_selectorIflEEZNS1_14transform_implILb0ES3_S5_N6thrust23THRUST_200600_302600_NS6detail15normal_iteratorINS8_7pointerIfNS8_11hip_rocprim3tagENS8_11use_defaultESE_EEEENSA_INSB_IlSD_SE_SE_EEEEZNS1_13binary_searchIS3_S5_NSA_INS8_10device_ptrIfEEEESG_SI_NS1_21lower_bound_search_opENS9_16wrapped_functionINS8_7greaterIfEEbEEEE10hipError_tPvRmT1_T2_T3_mmT4_T5_P12ihipStream_tbEUlRKfE_EESS_SW_SX_mSY_S11_bEUlT_E_NS1_11comp_targetILNS1_3genE5ELNS1_11target_archE942ELNS1_3gpuE9ELNS1_3repE0EEENS1_30default_config_static_selectorELNS0_4arch9wavefront6targetE0EEEvSV_.num_named_barrier, 0
	.set _ZN7rocprim17ROCPRIM_400000_NS6detail17trampoline_kernelINS0_14default_configENS1_27lower_bound_config_selectorIflEEZNS1_14transform_implILb0ES3_S5_N6thrust23THRUST_200600_302600_NS6detail15normal_iteratorINS8_7pointerIfNS8_11hip_rocprim3tagENS8_11use_defaultESE_EEEENSA_INSB_IlSD_SE_SE_EEEEZNS1_13binary_searchIS3_S5_NSA_INS8_10device_ptrIfEEEESG_SI_NS1_21lower_bound_search_opENS9_16wrapped_functionINS8_7greaterIfEEbEEEE10hipError_tPvRmT1_T2_T3_mmT4_T5_P12ihipStream_tbEUlRKfE_EESS_SW_SX_mSY_S11_bEUlT_E_NS1_11comp_targetILNS1_3genE5ELNS1_11target_archE942ELNS1_3gpuE9ELNS1_3repE0EEENS1_30default_config_static_selectorELNS0_4arch9wavefront6targetE0EEEvSV_.private_seg_size, 0
	.set _ZN7rocprim17ROCPRIM_400000_NS6detail17trampoline_kernelINS0_14default_configENS1_27lower_bound_config_selectorIflEEZNS1_14transform_implILb0ES3_S5_N6thrust23THRUST_200600_302600_NS6detail15normal_iteratorINS8_7pointerIfNS8_11hip_rocprim3tagENS8_11use_defaultESE_EEEENSA_INSB_IlSD_SE_SE_EEEEZNS1_13binary_searchIS3_S5_NSA_INS8_10device_ptrIfEEEESG_SI_NS1_21lower_bound_search_opENS9_16wrapped_functionINS8_7greaterIfEEbEEEE10hipError_tPvRmT1_T2_T3_mmT4_T5_P12ihipStream_tbEUlRKfE_EESS_SW_SX_mSY_S11_bEUlT_E_NS1_11comp_targetILNS1_3genE5ELNS1_11target_archE942ELNS1_3gpuE9ELNS1_3repE0EEENS1_30default_config_static_selectorELNS0_4arch9wavefront6targetE0EEEvSV_.uses_vcc, 0
	.set _ZN7rocprim17ROCPRIM_400000_NS6detail17trampoline_kernelINS0_14default_configENS1_27lower_bound_config_selectorIflEEZNS1_14transform_implILb0ES3_S5_N6thrust23THRUST_200600_302600_NS6detail15normal_iteratorINS8_7pointerIfNS8_11hip_rocprim3tagENS8_11use_defaultESE_EEEENSA_INSB_IlSD_SE_SE_EEEEZNS1_13binary_searchIS3_S5_NSA_INS8_10device_ptrIfEEEESG_SI_NS1_21lower_bound_search_opENS9_16wrapped_functionINS8_7greaterIfEEbEEEE10hipError_tPvRmT1_T2_T3_mmT4_T5_P12ihipStream_tbEUlRKfE_EESS_SW_SX_mSY_S11_bEUlT_E_NS1_11comp_targetILNS1_3genE5ELNS1_11target_archE942ELNS1_3gpuE9ELNS1_3repE0EEENS1_30default_config_static_selectorELNS0_4arch9wavefront6targetE0EEEvSV_.uses_flat_scratch, 0
	.set _ZN7rocprim17ROCPRIM_400000_NS6detail17trampoline_kernelINS0_14default_configENS1_27lower_bound_config_selectorIflEEZNS1_14transform_implILb0ES3_S5_N6thrust23THRUST_200600_302600_NS6detail15normal_iteratorINS8_7pointerIfNS8_11hip_rocprim3tagENS8_11use_defaultESE_EEEENSA_INSB_IlSD_SE_SE_EEEEZNS1_13binary_searchIS3_S5_NSA_INS8_10device_ptrIfEEEESG_SI_NS1_21lower_bound_search_opENS9_16wrapped_functionINS8_7greaterIfEEbEEEE10hipError_tPvRmT1_T2_T3_mmT4_T5_P12ihipStream_tbEUlRKfE_EESS_SW_SX_mSY_S11_bEUlT_E_NS1_11comp_targetILNS1_3genE5ELNS1_11target_archE942ELNS1_3gpuE9ELNS1_3repE0EEENS1_30default_config_static_selectorELNS0_4arch9wavefront6targetE0EEEvSV_.has_dyn_sized_stack, 0
	.set _ZN7rocprim17ROCPRIM_400000_NS6detail17trampoline_kernelINS0_14default_configENS1_27lower_bound_config_selectorIflEEZNS1_14transform_implILb0ES3_S5_N6thrust23THRUST_200600_302600_NS6detail15normal_iteratorINS8_7pointerIfNS8_11hip_rocprim3tagENS8_11use_defaultESE_EEEENSA_INSB_IlSD_SE_SE_EEEEZNS1_13binary_searchIS3_S5_NSA_INS8_10device_ptrIfEEEESG_SI_NS1_21lower_bound_search_opENS9_16wrapped_functionINS8_7greaterIfEEbEEEE10hipError_tPvRmT1_T2_T3_mmT4_T5_P12ihipStream_tbEUlRKfE_EESS_SW_SX_mSY_S11_bEUlT_E_NS1_11comp_targetILNS1_3genE5ELNS1_11target_archE942ELNS1_3gpuE9ELNS1_3repE0EEENS1_30default_config_static_selectorELNS0_4arch9wavefront6targetE0EEEvSV_.has_recursion, 0
	.set _ZN7rocprim17ROCPRIM_400000_NS6detail17trampoline_kernelINS0_14default_configENS1_27lower_bound_config_selectorIflEEZNS1_14transform_implILb0ES3_S5_N6thrust23THRUST_200600_302600_NS6detail15normal_iteratorINS8_7pointerIfNS8_11hip_rocprim3tagENS8_11use_defaultESE_EEEENSA_INSB_IlSD_SE_SE_EEEEZNS1_13binary_searchIS3_S5_NSA_INS8_10device_ptrIfEEEESG_SI_NS1_21lower_bound_search_opENS9_16wrapped_functionINS8_7greaterIfEEbEEEE10hipError_tPvRmT1_T2_T3_mmT4_T5_P12ihipStream_tbEUlRKfE_EESS_SW_SX_mSY_S11_bEUlT_E_NS1_11comp_targetILNS1_3genE5ELNS1_11target_archE942ELNS1_3gpuE9ELNS1_3repE0EEENS1_30default_config_static_selectorELNS0_4arch9wavefront6targetE0EEEvSV_.has_indirect_call, 0
	.section	.AMDGPU.csdata,"",@progbits
; Kernel info:
; codeLenInByte = 0
; TotalNumSgprs: 0
; NumVgprs: 0
; ScratchSize: 0
; MemoryBound: 0
; FloatMode: 240
; IeeeMode: 1
; LDSByteSize: 0 bytes/workgroup (compile time only)
; SGPRBlocks: 0
; VGPRBlocks: 0
; NumSGPRsForWavesPerEU: 1
; NumVGPRsForWavesPerEU: 1
; NamedBarCnt: 0
; Occupancy: 16
; WaveLimiterHint : 0
; COMPUTE_PGM_RSRC2:SCRATCH_EN: 0
; COMPUTE_PGM_RSRC2:USER_SGPR: 2
; COMPUTE_PGM_RSRC2:TRAP_HANDLER: 0
; COMPUTE_PGM_RSRC2:TGID_X_EN: 1
; COMPUTE_PGM_RSRC2:TGID_Y_EN: 0
; COMPUTE_PGM_RSRC2:TGID_Z_EN: 0
; COMPUTE_PGM_RSRC2:TIDIG_COMP_CNT: 0
	.section	.text._ZN7rocprim17ROCPRIM_400000_NS6detail17trampoline_kernelINS0_14default_configENS1_27lower_bound_config_selectorIflEEZNS1_14transform_implILb0ES3_S5_N6thrust23THRUST_200600_302600_NS6detail15normal_iteratorINS8_7pointerIfNS8_11hip_rocprim3tagENS8_11use_defaultESE_EEEENSA_INSB_IlSD_SE_SE_EEEEZNS1_13binary_searchIS3_S5_NSA_INS8_10device_ptrIfEEEESG_SI_NS1_21lower_bound_search_opENS9_16wrapped_functionINS8_7greaterIfEEbEEEE10hipError_tPvRmT1_T2_T3_mmT4_T5_P12ihipStream_tbEUlRKfE_EESS_SW_SX_mSY_S11_bEUlT_E_NS1_11comp_targetILNS1_3genE4ELNS1_11target_archE910ELNS1_3gpuE8ELNS1_3repE0EEENS1_30default_config_static_selectorELNS0_4arch9wavefront6targetE0EEEvSV_,"axG",@progbits,_ZN7rocprim17ROCPRIM_400000_NS6detail17trampoline_kernelINS0_14default_configENS1_27lower_bound_config_selectorIflEEZNS1_14transform_implILb0ES3_S5_N6thrust23THRUST_200600_302600_NS6detail15normal_iteratorINS8_7pointerIfNS8_11hip_rocprim3tagENS8_11use_defaultESE_EEEENSA_INSB_IlSD_SE_SE_EEEEZNS1_13binary_searchIS3_S5_NSA_INS8_10device_ptrIfEEEESG_SI_NS1_21lower_bound_search_opENS9_16wrapped_functionINS8_7greaterIfEEbEEEE10hipError_tPvRmT1_T2_T3_mmT4_T5_P12ihipStream_tbEUlRKfE_EESS_SW_SX_mSY_S11_bEUlT_E_NS1_11comp_targetILNS1_3genE4ELNS1_11target_archE910ELNS1_3gpuE8ELNS1_3repE0EEENS1_30default_config_static_selectorELNS0_4arch9wavefront6targetE0EEEvSV_,comdat
	.protected	_ZN7rocprim17ROCPRIM_400000_NS6detail17trampoline_kernelINS0_14default_configENS1_27lower_bound_config_selectorIflEEZNS1_14transform_implILb0ES3_S5_N6thrust23THRUST_200600_302600_NS6detail15normal_iteratorINS8_7pointerIfNS8_11hip_rocprim3tagENS8_11use_defaultESE_EEEENSA_INSB_IlSD_SE_SE_EEEEZNS1_13binary_searchIS3_S5_NSA_INS8_10device_ptrIfEEEESG_SI_NS1_21lower_bound_search_opENS9_16wrapped_functionINS8_7greaterIfEEbEEEE10hipError_tPvRmT1_T2_T3_mmT4_T5_P12ihipStream_tbEUlRKfE_EESS_SW_SX_mSY_S11_bEUlT_E_NS1_11comp_targetILNS1_3genE4ELNS1_11target_archE910ELNS1_3gpuE8ELNS1_3repE0EEENS1_30default_config_static_selectorELNS0_4arch9wavefront6targetE0EEEvSV_ ; -- Begin function _ZN7rocprim17ROCPRIM_400000_NS6detail17trampoline_kernelINS0_14default_configENS1_27lower_bound_config_selectorIflEEZNS1_14transform_implILb0ES3_S5_N6thrust23THRUST_200600_302600_NS6detail15normal_iteratorINS8_7pointerIfNS8_11hip_rocprim3tagENS8_11use_defaultESE_EEEENSA_INSB_IlSD_SE_SE_EEEEZNS1_13binary_searchIS3_S5_NSA_INS8_10device_ptrIfEEEESG_SI_NS1_21lower_bound_search_opENS9_16wrapped_functionINS8_7greaterIfEEbEEEE10hipError_tPvRmT1_T2_T3_mmT4_T5_P12ihipStream_tbEUlRKfE_EESS_SW_SX_mSY_S11_bEUlT_E_NS1_11comp_targetILNS1_3genE4ELNS1_11target_archE910ELNS1_3gpuE8ELNS1_3repE0EEENS1_30default_config_static_selectorELNS0_4arch9wavefront6targetE0EEEvSV_
	.globl	_ZN7rocprim17ROCPRIM_400000_NS6detail17trampoline_kernelINS0_14default_configENS1_27lower_bound_config_selectorIflEEZNS1_14transform_implILb0ES3_S5_N6thrust23THRUST_200600_302600_NS6detail15normal_iteratorINS8_7pointerIfNS8_11hip_rocprim3tagENS8_11use_defaultESE_EEEENSA_INSB_IlSD_SE_SE_EEEEZNS1_13binary_searchIS3_S5_NSA_INS8_10device_ptrIfEEEESG_SI_NS1_21lower_bound_search_opENS9_16wrapped_functionINS8_7greaterIfEEbEEEE10hipError_tPvRmT1_T2_T3_mmT4_T5_P12ihipStream_tbEUlRKfE_EESS_SW_SX_mSY_S11_bEUlT_E_NS1_11comp_targetILNS1_3genE4ELNS1_11target_archE910ELNS1_3gpuE8ELNS1_3repE0EEENS1_30default_config_static_selectorELNS0_4arch9wavefront6targetE0EEEvSV_
	.p2align	8
	.type	_ZN7rocprim17ROCPRIM_400000_NS6detail17trampoline_kernelINS0_14default_configENS1_27lower_bound_config_selectorIflEEZNS1_14transform_implILb0ES3_S5_N6thrust23THRUST_200600_302600_NS6detail15normal_iteratorINS8_7pointerIfNS8_11hip_rocprim3tagENS8_11use_defaultESE_EEEENSA_INSB_IlSD_SE_SE_EEEEZNS1_13binary_searchIS3_S5_NSA_INS8_10device_ptrIfEEEESG_SI_NS1_21lower_bound_search_opENS9_16wrapped_functionINS8_7greaterIfEEbEEEE10hipError_tPvRmT1_T2_T3_mmT4_T5_P12ihipStream_tbEUlRKfE_EESS_SW_SX_mSY_S11_bEUlT_E_NS1_11comp_targetILNS1_3genE4ELNS1_11target_archE910ELNS1_3gpuE8ELNS1_3repE0EEENS1_30default_config_static_selectorELNS0_4arch9wavefront6targetE0EEEvSV_,@function
_ZN7rocprim17ROCPRIM_400000_NS6detail17trampoline_kernelINS0_14default_configENS1_27lower_bound_config_selectorIflEEZNS1_14transform_implILb0ES3_S5_N6thrust23THRUST_200600_302600_NS6detail15normal_iteratorINS8_7pointerIfNS8_11hip_rocprim3tagENS8_11use_defaultESE_EEEENSA_INSB_IlSD_SE_SE_EEEEZNS1_13binary_searchIS3_S5_NSA_INS8_10device_ptrIfEEEESG_SI_NS1_21lower_bound_search_opENS9_16wrapped_functionINS8_7greaterIfEEbEEEE10hipError_tPvRmT1_T2_T3_mmT4_T5_P12ihipStream_tbEUlRKfE_EESS_SW_SX_mSY_S11_bEUlT_E_NS1_11comp_targetILNS1_3genE4ELNS1_11target_archE910ELNS1_3gpuE8ELNS1_3repE0EEENS1_30default_config_static_selectorELNS0_4arch9wavefront6targetE0EEEvSV_: ; @_ZN7rocprim17ROCPRIM_400000_NS6detail17trampoline_kernelINS0_14default_configENS1_27lower_bound_config_selectorIflEEZNS1_14transform_implILb0ES3_S5_N6thrust23THRUST_200600_302600_NS6detail15normal_iteratorINS8_7pointerIfNS8_11hip_rocprim3tagENS8_11use_defaultESE_EEEENSA_INSB_IlSD_SE_SE_EEEEZNS1_13binary_searchIS3_S5_NSA_INS8_10device_ptrIfEEEESG_SI_NS1_21lower_bound_search_opENS9_16wrapped_functionINS8_7greaterIfEEbEEEE10hipError_tPvRmT1_T2_T3_mmT4_T5_P12ihipStream_tbEUlRKfE_EESS_SW_SX_mSY_S11_bEUlT_E_NS1_11comp_targetILNS1_3genE4ELNS1_11target_archE910ELNS1_3gpuE8ELNS1_3repE0EEENS1_30default_config_static_selectorELNS0_4arch9wavefront6targetE0EEEvSV_
; %bb.0:
	.section	.rodata,"a",@progbits
	.p2align	6, 0x0
	.amdhsa_kernel _ZN7rocprim17ROCPRIM_400000_NS6detail17trampoline_kernelINS0_14default_configENS1_27lower_bound_config_selectorIflEEZNS1_14transform_implILb0ES3_S5_N6thrust23THRUST_200600_302600_NS6detail15normal_iteratorINS8_7pointerIfNS8_11hip_rocprim3tagENS8_11use_defaultESE_EEEENSA_INSB_IlSD_SE_SE_EEEEZNS1_13binary_searchIS3_S5_NSA_INS8_10device_ptrIfEEEESG_SI_NS1_21lower_bound_search_opENS9_16wrapped_functionINS8_7greaterIfEEbEEEE10hipError_tPvRmT1_T2_T3_mmT4_T5_P12ihipStream_tbEUlRKfE_EESS_SW_SX_mSY_S11_bEUlT_E_NS1_11comp_targetILNS1_3genE4ELNS1_11target_archE910ELNS1_3gpuE8ELNS1_3repE0EEENS1_30default_config_static_selectorELNS0_4arch9wavefront6targetE0EEEvSV_
		.amdhsa_group_segment_fixed_size 0
		.amdhsa_private_segment_fixed_size 0
		.amdhsa_kernarg_size 56
		.amdhsa_user_sgpr_count 2
		.amdhsa_user_sgpr_dispatch_ptr 0
		.amdhsa_user_sgpr_queue_ptr 0
		.amdhsa_user_sgpr_kernarg_segment_ptr 1
		.amdhsa_user_sgpr_dispatch_id 0
		.amdhsa_user_sgpr_kernarg_preload_length 0
		.amdhsa_user_sgpr_kernarg_preload_offset 0
		.amdhsa_user_sgpr_private_segment_size 0
		.amdhsa_wavefront_size32 1
		.amdhsa_uses_dynamic_stack 0
		.amdhsa_enable_private_segment 0
		.amdhsa_system_sgpr_workgroup_id_x 1
		.amdhsa_system_sgpr_workgroup_id_y 0
		.amdhsa_system_sgpr_workgroup_id_z 0
		.amdhsa_system_sgpr_workgroup_info 0
		.amdhsa_system_vgpr_workitem_id 0
		.amdhsa_next_free_vgpr 1
		.amdhsa_next_free_sgpr 1
		.amdhsa_named_barrier_count 0
		.amdhsa_reserve_vcc 0
		.amdhsa_float_round_mode_32 0
		.amdhsa_float_round_mode_16_64 0
		.amdhsa_float_denorm_mode_32 3
		.amdhsa_float_denorm_mode_16_64 3
		.amdhsa_fp16_overflow 0
		.amdhsa_memory_ordered 1
		.amdhsa_forward_progress 1
		.amdhsa_inst_pref_size 0
		.amdhsa_round_robin_scheduling 0
		.amdhsa_exception_fp_ieee_invalid_op 0
		.amdhsa_exception_fp_denorm_src 0
		.amdhsa_exception_fp_ieee_div_zero 0
		.amdhsa_exception_fp_ieee_overflow 0
		.amdhsa_exception_fp_ieee_underflow 0
		.amdhsa_exception_fp_ieee_inexact 0
		.amdhsa_exception_int_div_zero 0
	.end_amdhsa_kernel
	.section	.text._ZN7rocprim17ROCPRIM_400000_NS6detail17trampoline_kernelINS0_14default_configENS1_27lower_bound_config_selectorIflEEZNS1_14transform_implILb0ES3_S5_N6thrust23THRUST_200600_302600_NS6detail15normal_iteratorINS8_7pointerIfNS8_11hip_rocprim3tagENS8_11use_defaultESE_EEEENSA_INSB_IlSD_SE_SE_EEEEZNS1_13binary_searchIS3_S5_NSA_INS8_10device_ptrIfEEEESG_SI_NS1_21lower_bound_search_opENS9_16wrapped_functionINS8_7greaterIfEEbEEEE10hipError_tPvRmT1_T2_T3_mmT4_T5_P12ihipStream_tbEUlRKfE_EESS_SW_SX_mSY_S11_bEUlT_E_NS1_11comp_targetILNS1_3genE4ELNS1_11target_archE910ELNS1_3gpuE8ELNS1_3repE0EEENS1_30default_config_static_selectorELNS0_4arch9wavefront6targetE0EEEvSV_,"axG",@progbits,_ZN7rocprim17ROCPRIM_400000_NS6detail17trampoline_kernelINS0_14default_configENS1_27lower_bound_config_selectorIflEEZNS1_14transform_implILb0ES3_S5_N6thrust23THRUST_200600_302600_NS6detail15normal_iteratorINS8_7pointerIfNS8_11hip_rocprim3tagENS8_11use_defaultESE_EEEENSA_INSB_IlSD_SE_SE_EEEEZNS1_13binary_searchIS3_S5_NSA_INS8_10device_ptrIfEEEESG_SI_NS1_21lower_bound_search_opENS9_16wrapped_functionINS8_7greaterIfEEbEEEE10hipError_tPvRmT1_T2_T3_mmT4_T5_P12ihipStream_tbEUlRKfE_EESS_SW_SX_mSY_S11_bEUlT_E_NS1_11comp_targetILNS1_3genE4ELNS1_11target_archE910ELNS1_3gpuE8ELNS1_3repE0EEENS1_30default_config_static_selectorELNS0_4arch9wavefront6targetE0EEEvSV_,comdat
.Lfunc_end33:
	.size	_ZN7rocprim17ROCPRIM_400000_NS6detail17trampoline_kernelINS0_14default_configENS1_27lower_bound_config_selectorIflEEZNS1_14transform_implILb0ES3_S5_N6thrust23THRUST_200600_302600_NS6detail15normal_iteratorINS8_7pointerIfNS8_11hip_rocprim3tagENS8_11use_defaultESE_EEEENSA_INSB_IlSD_SE_SE_EEEEZNS1_13binary_searchIS3_S5_NSA_INS8_10device_ptrIfEEEESG_SI_NS1_21lower_bound_search_opENS9_16wrapped_functionINS8_7greaterIfEEbEEEE10hipError_tPvRmT1_T2_T3_mmT4_T5_P12ihipStream_tbEUlRKfE_EESS_SW_SX_mSY_S11_bEUlT_E_NS1_11comp_targetILNS1_3genE4ELNS1_11target_archE910ELNS1_3gpuE8ELNS1_3repE0EEENS1_30default_config_static_selectorELNS0_4arch9wavefront6targetE0EEEvSV_, .Lfunc_end33-_ZN7rocprim17ROCPRIM_400000_NS6detail17trampoline_kernelINS0_14default_configENS1_27lower_bound_config_selectorIflEEZNS1_14transform_implILb0ES3_S5_N6thrust23THRUST_200600_302600_NS6detail15normal_iteratorINS8_7pointerIfNS8_11hip_rocprim3tagENS8_11use_defaultESE_EEEENSA_INSB_IlSD_SE_SE_EEEEZNS1_13binary_searchIS3_S5_NSA_INS8_10device_ptrIfEEEESG_SI_NS1_21lower_bound_search_opENS9_16wrapped_functionINS8_7greaterIfEEbEEEE10hipError_tPvRmT1_T2_T3_mmT4_T5_P12ihipStream_tbEUlRKfE_EESS_SW_SX_mSY_S11_bEUlT_E_NS1_11comp_targetILNS1_3genE4ELNS1_11target_archE910ELNS1_3gpuE8ELNS1_3repE0EEENS1_30default_config_static_selectorELNS0_4arch9wavefront6targetE0EEEvSV_
                                        ; -- End function
	.set _ZN7rocprim17ROCPRIM_400000_NS6detail17trampoline_kernelINS0_14default_configENS1_27lower_bound_config_selectorIflEEZNS1_14transform_implILb0ES3_S5_N6thrust23THRUST_200600_302600_NS6detail15normal_iteratorINS8_7pointerIfNS8_11hip_rocprim3tagENS8_11use_defaultESE_EEEENSA_INSB_IlSD_SE_SE_EEEEZNS1_13binary_searchIS3_S5_NSA_INS8_10device_ptrIfEEEESG_SI_NS1_21lower_bound_search_opENS9_16wrapped_functionINS8_7greaterIfEEbEEEE10hipError_tPvRmT1_T2_T3_mmT4_T5_P12ihipStream_tbEUlRKfE_EESS_SW_SX_mSY_S11_bEUlT_E_NS1_11comp_targetILNS1_3genE4ELNS1_11target_archE910ELNS1_3gpuE8ELNS1_3repE0EEENS1_30default_config_static_selectorELNS0_4arch9wavefront6targetE0EEEvSV_.num_vgpr, 0
	.set _ZN7rocprim17ROCPRIM_400000_NS6detail17trampoline_kernelINS0_14default_configENS1_27lower_bound_config_selectorIflEEZNS1_14transform_implILb0ES3_S5_N6thrust23THRUST_200600_302600_NS6detail15normal_iteratorINS8_7pointerIfNS8_11hip_rocprim3tagENS8_11use_defaultESE_EEEENSA_INSB_IlSD_SE_SE_EEEEZNS1_13binary_searchIS3_S5_NSA_INS8_10device_ptrIfEEEESG_SI_NS1_21lower_bound_search_opENS9_16wrapped_functionINS8_7greaterIfEEbEEEE10hipError_tPvRmT1_T2_T3_mmT4_T5_P12ihipStream_tbEUlRKfE_EESS_SW_SX_mSY_S11_bEUlT_E_NS1_11comp_targetILNS1_3genE4ELNS1_11target_archE910ELNS1_3gpuE8ELNS1_3repE0EEENS1_30default_config_static_selectorELNS0_4arch9wavefront6targetE0EEEvSV_.num_agpr, 0
	.set _ZN7rocprim17ROCPRIM_400000_NS6detail17trampoline_kernelINS0_14default_configENS1_27lower_bound_config_selectorIflEEZNS1_14transform_implILb0ES3_S5_N6thrust23THRUST_200600_302600_NS6detail15normal_iteratorINS8_7pointerIfNS8_11hip_rocprim3tagENS8_11use_defaultESE_EEEENSA_INSB_IlSD_SE_SE_EEEEZNS1_13binary_searchIS3_S5_NSA_INS8_10device_ptrIfEEEESG_SI_NS1_21lower_bound_search_opENS9_16wrapped_functionINS8_7greaterIfEEbEEEE10hipError_tPvRmT1_T2_T3_mmT4_T5_P12ihipStream_tbEUlRKfE_EESS_SW_SX_mSY_S11_bEUlT_E_NS1_11comp_targetILNS1_3genE4ELNS1_11target_archE910ELNS1_3gpuE8ELNS1_3repE0EEENS1_30default_config_static_selectorELNS0_4arch9wavefront6targetE0EEEvSV_.numbered_sgpr, 0
	.set _ZN7rocprim17ROCPRIM_400000_NS6detail17trampoline_kernelINS0_14default_configENS1_27lower_bound_config_selectorIflEEZNS1_14transform_implILb0ES3_S5_N6thrust23THRUST_200600_302600_NS6detail15normal_iteratorINS8_7pointerIfNS8_11hip_rocprim3tagENS8_11use_defaultESE_EEEENSA_INSB_IlSD_SE_SE_EEEEZNS1_13binary_searchIS3_S5_NSA_INS8_10device_ptrIfEEEESG_SI_NS1_21lower_bound_search_opENS9_16wrapped_functionINS8_7greaterIfEEbEEEE10hipError_tPvRmT1_T2_T3_mmT4_T5_P12ihipStream_tbEUlRKfE_EESS_SW_SX_mSY_S11_bEUlT_E_NS1_11comp_targetILNS1_3genE4ELNS1_11target_archE910ELNS1_3gpuE8ELNS1_3repE0EEENS1_30default_config_static_selectorELNS0_4arch9wavefront6targetE0EEEvSV_.num_named_barrier, 0
	.set _ZN7rocprim17ROCPRIM_400000_NS6detail17trampoline_kernelINS0_14default_configENS1_27lower_bound_config_selectorIflEEZNS1_14transform_implILb0ES3_S5_N6thrust23THRUST_200600_302600_NS6detail15normal_iteratorINS8_7pointerIfNS8_11hip_rocprim3tagENS8_11use_defaultESE_EEEENSA_INSB_IlSD_SE_SE_EEEEZNS1_13binary_searchIS3_S5_NSA_INS8_10device_ptrIfEEEESG_SI_NS1_21lower_bound_search_opENS9_16wrapped_functionINS8_7greaterIfEEbEEEE10hipError_tPvRmT1_T2_T3_mmT4_T5_P12ihipStream_tbEUlRKfE_EESS_SW_SX_mSY_S11_bEUlT_E_NS1_11comp_targetILNS1_3genE4ELNS1_11target_archE910ELNS1_3gpuE8ELNS1_3repE0EEENS1_30default_config_static_selectorELNS0_4arch9wavefront6targetE0EEEvSV_.private_seg_size, 0
	.set _ZN7rocprim17ROCPRIM_400000_NS6detail17trampoline_kernelINS0_14default_configENS1_27lower_bound_config_selectorIflEEZNS1_14transform_implILb0ES3_S5_N6thrust23THRUST_200600_302600_NS6detail15normal_iteratorINS8_7pointerIfNS8_11hip_rocprim3tagENS8_11use_defaultESE_EEEENSA_INSB_IlSD_SE_SE_EEEEZNS1_13binary_searchIS3_S5_NSA_INS8_10device_ptrIfEEEESG_SI_NS1_21lower_bound_search_opENS9_16wrapped_functionINS8_7greaterIfEEbEEEE10hipError_tPvRmT1_T2_T3_mmT4_T5_P12ihipStream_tbEUlRKfE_EESS_SW_SX_mSY_S11_bEUlT_E_NS1_11comp_targetILNS1_3genE4ELNS1_11target_archE910ELNS1_3gpuE8ELNS1_3repE0EEENS1_30default_config_static_selectorELNS0_4arch9wavefront6targetE0EEEvSV_.uses_vcc, 0
	.set _ZN7rocprim17ROCPRIM_400000_NS6detail17trampoline_kernelINS0_14default_configENS1_27lower_bound_config_selectorIflEEZNS1_14transform_implILb0ES3_S5_N6thrust23THRUST_200600_302600_NS6detail15normal_iteratorINS8_7pointerIfNS8_11hip_rocprim3tagENS8_11use_defaultESE_EEEENSA_INSB_IlSD_SE_SE_EEEEZNS1_13binary_searchIS3_S5_NSA_INS8_10device_ptrIfEEEESG_SI_NS1_21lower_bound_search_opENS9_16wrapped_functionINS8_7greaterIfEEbEEEE10hipError_tPvRmT1_T2_T3_mmT4_T5_P12ihipStream_tbEUlRKfE_EESS_SW_SX_mSY_S11_bEUlT_E_NS1_11comp_targetILNS1_3genE4ELNS1_11target_archE910ELNS1_3gpuE8ELNS1_3repE0EEENS1_30default_config_static_selectorELNS0_4arch9wavefront6targetE0EEEvSV_.uses_flat_scratch, 0
	.set _ZN7rocprim17ROCPRIM_400000_NS6detail17trampoline_kernelINS0_14default_configENS1_27lower_bound_config_selectorIflEEZNS1_14transform_implILb0ES3_S5_N6thrust23THRUST_200600_302600_NS6detail15normal_iteratorINS8_7pointerIfNS8_11hip_rocprim3tagENS8_11use_defaultESE_EEEENSA_INSB_IlSD_SE_SE_EEEEZNS1_13binary_searchIS3_S5_NSA_INS8_10device_ptrIfEEEESG_SI_NS1_21lower_bound_search_opENS9_16wrapped_functionINS8_7greaterIfEEbEEEE10hipError_tPvRmT1_T2_T3_mmT4_T5_P12ihipStream_tbEUlRKfE_EESS_SW_SX_mSY_S11_bEUlT_E_NS1_11comp_targetILNS1_3genE4ELNS1_11target_archE910ELNS1_3gpuE8ELNS1_3repE0EEENS1_30default_config_static_selectorELNS0_4arch9wavefront6targetE0EEEvSV_.has_dyn_sized_stack, 0
	.set _ZN7rocprim17ROCPRIM_400000_NS6detail17trampoline_kernelINS0_14default_configENS1_27lower_bound_config_selectorIflEEZNS1_14transform_implILb0ES3_S5_N6thrust23THRUST_200600_302600_NS6detail15normal_iteratorINS8_7pointerIfNS8_11hip_rocprim3tagENS8_11use_defaultESE_EEEENSA_INSB_IlSD_SE_SE_EEEEZNS1_13binary_searchIS3_S5_NSA_INS8_10device_ptrIfEEEESG_SI_NS1_21lower_bound_search_opENS9_16wrapped_functionINS8_7greaterIfEEbEEEE10hipError_tPvRmT1_T2_T3_mmT4_T5_P12ihipStream_tbEUlRKfE_EESS_SW_SX_mSY_S11_bEUlT_E_NS1_11comp_targetILNS1_3genE4ELNS1_11target_archE910ELNS1_3gpuE8ELNS1_3repE0EEENS1_30default_config_static_selectorELNS0_4arch9wavefront6targetE0EEEvSV_.has_recursion, 0
	.set _ZN7rocprim17ROCPRIM_400000_NS6detail17trampoline_kernelINS0_14default_configENS1_27lower_bound_config_selectorIflEEZNS1_14transform_implILb0ES3_S5_N6thrust23THRUST_200600_302600_NS6detail15normal_iteratorINS8_7pointerIfNS8_11hip_rocprim3tagENS8_11use_defaultESE_EEEENSA_INSB_IlSD_SE_SE_EEEEZNS1_13binary_searchIS3_S5_NSA_INS8_10device_ptrIfEEEESG_SI_NS1_21lower_bound_search_opENS9_16wrapped_functionINS8_7greaterIfEEbEEEE10hipError_tPvRmT1_T2_T3_mmT4_T5_P12ihipStream_tbEUlRKfE_EESS_SW_SX_mSY_S11_bEUlT_E_NS1_11comp_targetILNS1_3genE4ELNS1_11target_archE910ELNS1_3gpuE8ELNS1_3repE0EEENS1_30default_config_static_selectorELNS0_4arch9wavefront6targetE0EEEvSV_.has_indirect_call, 0
	.section	.AMDGPU.csdata,"",@progbits
; Kernel info:
; codeLenInByte = 0
; TotalNumSgprs: 0
; NumVgprs: 0
; ScratchSize: 0
; MemoryBound: 0
; FloatMode: 240
; IeeeMode: 1
; LDSByteSize: 0 bytes/workgroup (compile time only)
; SGPRBlocks: 0
; VGPRBlocks: 0
; NumSGPRsForWavesPerEU: 1
; NumVGPRsForWavesPerEU: 1
; NamedBarCnt: 0
; Occupancy: 16
; WaveLimiterHint : 0
; COMPUTE_PGM_RSRC2:SCRATCH_EN: 0
; COMPUTE_PGM_RSRC2:USER_SGPR: 2
; COMPUTE_PGM_RSRC2:TRAP_HANDLER: 0
; COMPUTE_PGM_RSRC2:TGID_X_EN: 1
; COMPUTE_PGM_RSRC2:TGID_Y_EN: 0
; COMPUTE_PGM_RSRC2:TGID_Z_EN: 0
; COMPUTE_PGM_RSRC2:TIDIG_COMP_CNT: 0
	.section	.text._ZN7rocprim17ROCPRIM_400000_NS6detail17trampoline_kernelINS0_14default_configENS1_27lower_bound_config_selectorIflEEZNS1_14transform_implILb0ES3_S5_N6thrust23THRUST_200600_302600_NS6detail15normal_iteratorINS8_7pointerIfNS8_11hip_rocprim3tagENS8_11use_defaultESE_EEEENSA_INSB_IlSD_SE_SE_EEEEZNS1_13binary_searchIS3_S5_NSA_INS8_10device_ptrIfEEEESG_SI_NS1_21lower_bound_search_opENS9_16wrapped_functionINS8_7greaterIfEEbEEEE10hipError_tPvRmT1_T2_T3_mmT4_T5_P12ihipStream_tbEUlRKfE_EESS_SW_SX_mSY_S11_bEUlT_E_NS1_11comp_targetILNS1_3genE3ELNS1_11target_archE908ELNS1_3gpuE7ELNS1_3repE0EEENS1_30default_config_static_selectorELNS0_4arch9wavefront6targetE0EEEvSV_,"axG",@progbits,_ZN7rocprim17ROCPRIM_400000_NS6detail17trampoline_kernelINS0_14default_configENS1_27lower_bound_config_selectorIflEEZNS1_14transform_implILb0ES3_S5_N6thrust23THRUST_200600_302600_NS6detail15normal_iteratorINS8_7pointerIfNS8_11hip_rocprim3tagENS8_11use_defaultESE_EEEENSA_INSB_IlSD_SE_SE_EEEEZNS1_13binary_searchIS3_S5_NSA_INS8_10device_ptrIfEEEESG_SI_NS1_21lower_bound_search_opENS9_16wrapped_functionINS8_7greaterIfEEbEEEE10hipError_tPvRmT1_T2_T3_mmT4_T5_P12ihipStream_tbEUlRKfE_EESS_SW_SX_mSY_S11_bEUlT_E_NS1_11comp_targetILNS1_3genE3ELNS1_11target_archE908ELNS1_3gpuE7ELNS1_3repE0EEENS1_30default_config_static_selectorELNS0_4arch9wavefront6targetE0EEEvSV_,comdat
	.protected	_ZN7rocprim17ROCPRIM_400000_NS6detail17trampoline_kernelINS0_14default_configENS1_27lower_bound_config_selectorIflEEZNS1_14transform_implILb0ES3_S5_N6thrust23THRUST_200600_302600_NS6detail15normal_iteratorINS8_7pointerIfNS8_11hip_rocprim3tagENS8_11use_defaultESE_EEEENSA_INSB_IlSD_SE_SE_EEEEZNS1_13binary_searchIS3_S5_NSA_INS8_10device_ptrIfEEEESG_SI_NS1_21lower_bound_search_opENS9_16wrapped_functionINS8_7greaterIfEEbEEEE10hipError_tPvRmT1_T2_T3_mmT4_T5_P12ihipStream_tbEUlRKfE_EESS_SW_SX_mSY_S11_bEUlT_E_NS1_11comp_targetILNS1_3genE3ELNS1_11target_archE908ELNS1_3gpuE7ELNS1_3repE0EEENS1_30default_config_static_selectorELNS0_4arch9wavefront6targetE0EEEvSV_ ; -- Begin function _ZN7rocprim17ROCPRIM_400000_NS6detail17trampoline_kernelINS0_14default_configENS1_27lower_bound_config_selectorIflEEZNS1_14transform_implILb0ES3_S5_N6thrust23THRUST_200600_302600_NS6detail15normal_iteratorINS8_7pointerIfNS8_11hip_rocprim3tagENS8_11use_defaultESE_EEEENSA_INSB_IlSD_SE_SE_EEEEZNS1_13binary_searchIS3_S5_NSA_INS8_10device_ptrIfEEEESG_SI_NS1_21lower_bound_search_opENS9_16wrapped_functionINS8_7greaterIfEEbEEEE10hipError_tPvRmT1_T2_T3_mmT4_T5_P12ihipStream_tbEUlRKfE_EESS_SW_SX_mSY_S11_bEUlT_E_NS1_11comp_targetILNS1_3genE3ELNS1_11target_archE908ELNS1_3gpuE7ELNS1_3repE0EEENS1_30default_config_static_selectorELNS0_4arch9wavefront6targetE0EEEvSV_
	.globl	_ZN7rocprim17ROCPRIM_400000_NS6detail17trampoline_kernelINS0_14default_configENS1_27lower_bound_config_selectorIflEEZNS1_14transform_implILb0ES3_S5_N6thrust23THRUST_200600_302600_NS6detail15normal_iteratorINS8_7pointerIfNS8_11hip_rocprim3tagENS8_11use_defaultESE_EEEENSA_INSB_IlSD_SE_SE_EEEEZNS1_13binary_searchIS3_S5_NSA_INS8_10device_ptrIfEEEESG_SI_NS1_21lower_bound_search_opENS9_16wrapped_functionINS8_7greaterIfEEbEEEE10hipError_tPvRmT1_T2_T3_mmT4_T5_P12ihipStream_tbEUlRKfE_EESS_SW_SX_mSY_S11_bEUlT_E_NS1_11comp_targetILNS1_3genE3ELNS1_11target_archE908ELNS1_3gpuE7ELNS1_3repE0EEENS1_30default_config_static_selectorELNS0_4arch9wavefront6targetE0EEEvSV_
	.p2align	8
	.type	_ZN7rocprim17ROCPRIM_400000_NS6detail17trampoline_kernelINS0_14default_configENS1_27lower_bound_config_selectorIflEEZNS1_14transform_implILb0ES3_S5_N6thrust23THRUST_200600_302600_NS6detail15normal_iteratorINS8_7pointerIfNS8_11hip_rocprim3tagENS8_11use_defaultESE_EEEENSA_INSB_IlSD_SE_SE_EEEEZNS1_13binary_searchIS3_S5_NSA_INS8_10device_ptrIfEEEESG_SI_NS1_21lower_bound_search_opENS9_16wrapped_functionINS8_7greaterIfEEbEEEE10hipError_tPvRmT1_T2_T3_mmT4_T5_P12ihipStream_tbEUlRKfE_EESS_SW_SX_mSY_S11_bEUlT_E_NS1_11comp_targetILNS1_3genE3ELNS1_11target_archE908ELNS1_3gpuE7ELNS1_3repE0EEENS1_30default_config_static_selectorELNS0_4arch9wavefront6targetE0EEEvSV_,@function
_ZN7rocprim17ROCPRIM_400000_NS6detail17trampoline_kernelINS0_14default_configENS1_27lower_bound_config_selectorIflEEZNS1_14transform_implILb0ES3_S5_N6thrust23THRUST_200600_302600_NS6detail15normal_iteratorINS8_7pointerIfNS8_11hip_rocprim3tagENS8_11use_defaultESE_EEEENSA_INSB_IlSD_SE_SE_EEEEZNS1_13binary_searchIS3_S5_NSA_INS8_10device_ptrIfEEEESG_SI_NS1_21lower_bound_search_opENS9_16wrapped_functionINS8_7greaterIfEEbEEEE10hipError_tPvRmT1_T2_T3_mmT4_T5_P12ihipStream_tbEUlRKfE_EESS_SW_SX_mSY_S11_bEUlT_E_NS1_11comp_targetILNS1_3genE3ELNS1_11target_archE908ELNS1_3gpuE7ELNS1_3repE0EEENS1_30default_config_static_selectorELNS0_4arch9wavefront6targetE0EEEvSV_: ; @_ZN7rocprim17ROCPRIM_400000_NS6detail17trampoline_kernelINS0_14default_configENS1_27lower_bound_config_selectorIflEEZNS1_14transform_implILb0ES3_S5_N6thrust23THRUST_200600_302600_NS6detail15normal_iteratorINS8_7pointerIfNS8_11hip_rocprim3tagENS8_11use_defaultESE_EEEENSA_INSB_IlSD_SE_SE_EEEEZNS1_13binary_searchIS3_S5_NSA_INS8_10device_ptrIfEEEESG_SI_NS1_21lower_bound_search_opENS9_16wrapped_functionINS8_7greaterIfEEbEEEE10hipError_tPvRmT1_T2_T3_mmT4_T5_P12ihipStream_tbEUlRKfE_EESS_SW_SX_mSY_S11_bEUlT_E_NS1_11comp_targetILNS1_3genE3ELNS1_11target_archE908ELNS1_3gpuE7ELNS1_3repE0EEENS1_30default_config_static_selectorELNS0_4arch9wavefront6targetE0EEEvSV_
; %bb.0:
	.section	.rodata,"a",@progbits
	.p2align	6, 0x0
	.amdhsa_kernel _ZN7rocprim17ROCPRIM_400000_NS6detail17trampoline_kernelINS0_14default_configENS1_27lower_bound_config_selectorIflEEZNS1_14transform_implILb0ES3_S5_N6thrust23THRUST_200600_302600_NS6detail15normal_iteratorINS8_7pointerIfNS8_11hip_rocprim3tagENS8_11use_defaultESE_EEEENSA_INSB_IlSD_SE_SE_EEEEZNS1_13binary_searchIS3_S5_NSA_INS8_10device_ptrIfEEEESG_SI_NS1_21lower_bound_search_opENS9_16wrapped_functionINS8_7greaterIfEEbEEEE10hipError_tPvRmT1_T2_T3_mmT4_T5_P12ihipStream_tbEUlRKfE_EESS_SW_SX_mSY_S11_bEUlT_E_NS1_11comp_targetILNS1_3genE3ELNS1_11target_archE908ELNS1_3gpuE7ELNS1_3repE0EEENS1_30default_config_static_selectorELNS0_4arch9wavefront6targetE0EEEvSV_
		.amdhsa_group_segment_fixed_size 0
		.amdhsa_private_segment_fixed_size 0
		.amdhsa_kernarg_size 56
		.amdhsa_user_sgpr_count 2
		.amdhsa_user_sgpr_dispatch_ptr 0
		.amdhsa_user_sgpr_queue_ptr 0
		.amdhsa_user_sgpr_kernarg_segment_ptr 1
		.amdhsa_user_sgpr_dispatch_id 0
		.amdhsa_user_sgpr_kernarg_preload_length 0
		.amdhsa_user_sgpr_kernarg_preload_offset 0
		.amdhsa_user_sgpr_private_segment_size 0
		.amdhsa_wavefront_size32 1
		.amdhsa_uses_dynamic_stack 0
		.amdhsa_enable_private_segment 0
		.amdhsa_system_sgpr_workgroup_id_x 1
		.amdhsa_system_sgpr_workgroup_id_y 0
		.amdhsa_system_sgpr_workgroup_id_z 0
		.amdhsa_system_sgpr_workgroup_info 0
		.amdhsa_system_vgpr_workitem_id 0
		.amdhsa_next_free_vgpr 1
		.amdhsa_next_free_sgpr 1
		.amdhsa_named_barrier_count 0
		.amdhsa_reserve_vcc 0
		.amdhsa_float_round_mode_32 0
		.amdhsa_float_round_mode_16_64 0
		.amdhsa_float_denorm_mode_32 3
		.amdhsa_float_denorm_mode_16_64 3
		.amdhsa_fp16_overflow 0
		.amdhsa_memory_ordered 1
		.amdhsa_forward_progress 1
		.amdhsa_inst_pref_size 0
		.amdhsa_round_robin_scheduling 0
		.amdhsa_exception_fp_ieee_invalid_op 0
		.amdhsa_exception_fp_denorm_src 0
		.amdhsa_exception_fp_ieee_div_zero 0
		.amdhsa_exception_fp_ieee_overflow 0
		.amdhsa_exception_fp_ieee_underflow 0
		.amdhsa_exception_fp_ieee_inexact 0
		.amdhsa_exception_int_div_zero 0
	.end_amdhsa_kernel
	.section	.text._ZN7rocprim17ROCPRIM_400000_NS6detail17trampoline_kernelINS0_14default_configENS1_27lower_bound_config_selectorIflEEZNS1_14transform_implILb0ES3_S5_N6thrust23THRUST_200600_302600_NS6detail15normal_iteratorINS8_7pointerIfNS8_11hip_rocprim3tagENS8_11use_defaultESE_EEEENSA_INSB_IlSD_SE_SE_EEEEZNS1_13binary_searchIS3_S5_NSA_INS8_10device_ptrIfEEEESG_SI_NS1_21lower_bound_search_opENS9_16wrapped_functionINS8_7greaterIfEEbEEEE10hipError_tPvRmT1_T2_T3_mmT4_T5_P12ihipStream_tbEUlRKfE_EESS_SW_SX_mSY_S11_bEUlT_E_NS1_11comp_targetILNS1_3genE3ELNS1_11target_archE908ELNS1_3gpuE7ELNS1_3repE0EEENS1_30default_config_static_selectorELNS0_4arch9wavefront6targetE0EEEvSV_,"axG",@progbits,_ZN7rocprim17ROCPRIM_400000_NS6detail17trampoline_kernelINS0_14default_configENS1_27lower_bound_config_selectorIflEEZNS1_14transform_implILb0ES3_S5_N6thrust23THRUST_200600_302600_NS6detail15normal_iteratorINS8_7pointerIfNS8_11hip_rocprim3tagENS8_11use_defaultESE_EEEENSA_INSB_IlSD_SE_SE_EEEEZNS1_13binary_searchIS3_S5_NSA_INS8_10device_ptrIfEEEESG_SI_NS1_21lower_bound_search_opENS9_16wrapped_functionINS8_7greaterIfEEbEEEE10hipError_tPvRmT1_T2_T3_mmT4_T5_P12ihipStream_tbEUlRKfE_EESS_SW_SX_mSY_S11_bEUlT_E_NS1_11comp_targetILNS1_3genE3ELNS1_11target_archE908ELNS1_3gpuE7ELNS1_3repE0EEENS1_30default_config_static_selectorELNS0_4arch9wavefront6targetE0EEEvSV_,comdat
.Lfunc_end34:
	.size	_ZN7rocprim17ROCPRIM_400000_NS6detail17trampoline_kernelINS0_14default_configENS1_27lower_bound_config_selectorIflEEZNS1_14transform_implILb0ES3_S5_N6thrust23THRUST_200600_302600_NS6detail15normal_iteratorINS8_7pointerIfNS8_11hip_rocprim3tagENS8_11use_defaultESE_EEEENSA_INSB_IlSD_SE_SE_EEEEZNS1_13binary_searchIS3_S5_NSA_INS8_10device_ptrIfEEEESG_SI_NS1_21lower_bound_search_opENS9_16wrapped_functionINS8_7greaterIfEEbEEEE10hipError_tPvRmT1_T2_T3_mmT4_T5_P12ihipStream_tbEUlRKfE_EESS_SW_SX_mSY_S11_bEUlT_E_NS1_11comp_targetILNS1_3genE3ELNS1_11target_archE908ELNS1_3gpuE7ELNS1_3repE0EEENS1_30default_config_static_selectorELNS0_4arch9wavefront6targetE0EEEvSV_, .Lfunc_end34-_ZN7rocprim17ROCPRIM_400000_NS6detail17trampoline_kernelINS0_14default_configENS1_27lower_bound_config_selectorIflEEZNS1_14transform_implILb0ES3_S5_N6thrust23THRUST_200600_302600_NS6detail15normal_iteratorINS8_7pointerIfNS8_11hip_rocprim3tagENS8_11use_defaultESE_EEEENSA_INSB_IlSD_SE_SE_EEEEZNS1_13binary_searchIS3_S5_NSA_INS8_10device_ptrIfEEEESG_SI_NS1_21lower_bound_search_opENS9_16wrapped_functionINS8_7greaterIfEEbEEEE10hipError_tPvRmT1_T2_T3_mmT4_T5_P12ihipStream_tbEUlRKfE_EESS_SW_SX_mSY_S11_bEUlT_E_NS1_11comp_targetILNS1_3genE3ELNS1_11target_archE908ELNS1_3gpuE7ELNS1_3repE0EEENS1_30default_config_static_selectorELNS0_4arch9wavefront6targetE0EEEvSV_
                                        ; -- End function
	.set _ZN7rocprim17ROCPRIM_400000_NS6detail17trampoline_kernelINS0_14default_configENS1_27lower_bound_config_selectorIflEEZNS1_14transform_implILb0ES3_S5_N6thrust23THRUST_200600_302600_NS6detail15normal_iteratorINS8_7pointerIfNS8_11hip_rocprim3tagENS8_11use_defaultESE_EEEENSA_INSB_IlSD_SE_SE_EEEEZNS1_13binary_searchIS3_S5_NSA_INS8_10device_ptrIfEEEESG_SI_NS1_21lower_bound_search_opENS9_16wrapped_functionINS8_7greaterIfEEbEEEE10hipError_tPvRmT1_T2_T3_mmT4_T5_P12ihipStream_tbEUlRKfE_EESS_SW_SX_mSY_S11_bEUlT_E_NS1_11comp_targetILNS1_3genE3ELNS1_11target_archE908ELNS1_3gpuE7ELNS1_3repE0EEENS1_30default_config_static_selectorELNS0_4arch9wavefront6targetE0EEEvSV_.num_vgpr, 0
	.set _ZN7rocprim17ROCPRIM_400000_NS6detail17trampoline_kernelINS0_14default_configENS1_27lower_bound_config_selectorIflEEZNS1_14transform_implILb0ES3_S5_N6thrust23THRUST_200600_302600_NS6detail15normal_iteratorINS8_7pointerIfNS8_11hip_rocprim3tagENS8_11use_defaultESE_EEEENSA_INSB_IlSD_SE_SE_EEEEZNS1_13binary_searchIS3_S5_NSA_INS8_10device_ptrIfEEEESG_SI_NS1_21lower_bound_search_opENS9_16wrapped_functionINS8_7greaterIfEEbEEEE10hipError_tPvRmT1_T2_T3_mmT4_T5_P12ihipStream_tbEUlRKfE_EESS_SW_SX_mSY_S11_bEUlT_E_NS1_11comp_targetILNS1_3genE3ELNS1_11target_archE908ELNS1_3gpuE7ELNS1_3repE0EEENS1_30default_config_static_selectorELNS0_4arch9wavefront6targetE0EEEvSV_.num_agpr, 0
	.set _ZN7rocprim17ROCPRIM_400000_NS6detail17trampoline_kernelINS0_14default_configENS1_27lower_bound_config_selectorIflEEZNS1_14transform_implILb0ES3_S5_N6thrust23THRUST_200600_302600_NS6detail15normal_iteratorINS8_7pointerIfNS8_11hip_rocprim3tagENS8_11use_defaultESE_EEEENSA_INSB_IlSD_SE_SE_EEEEZNS1_13binary_searchIS3_S5_NSA_INS8_10device_ptrIfEEEESG_SI_NS1_21lower_bound_search_opENS9_16wrapped_functionINS8_7greaterIfEEbEEEE10hipError_tPvRmT1_T2_T3_mmT4_T5_P12ihipStream_tbEUlRKfE_EESS_SW_SX_mSY_S11_bEUlT_E_NS1_11comp_targetILNS1_3genE3ELNS1_11target_archE908ELNS1_3gpuE7ELNS1_3repE0EEENS1_30default_config_static_selectorELNS0_4arch9wavefront6targetE0EEEvSV_.numbered_sgpr, 0
	.set _ZN7rocprim17ROCPRIM_400000_NS6detail17trampoline_kernelINS0_14default_configENS1_27lower_bound_config_selectorIflEEZNS1_14transform_implILb0ES3_S5_N6thrust23THRUST_200600_302600_NS6detail15normal_iteratorINS8_7pointerIfNS8_11hip_rocprim3tagENS8_11use_defaultESE_EEEENSA_INSB_IlSD_SE_SE_EEEEZNS1_13binary_searchIS3_S5_NSA_INS8_10device_ptrIfEEEESG_SI_NS1_21lower_bound_search_opENS9_16wrapped_functionINS8_7greaterIfEEbEEEE10hipError_tPvRmT1_T2_T3_mmT4_T5_P12ihipStream_tbEUlRKfE_EESS_SW_SX_mSY_S11_bEUlT_E_NS1_11comp_targetILNS1_3genE3ELNS1_11target_archE908ELNS1_3gpuE7ELNS1_3repE0EEENS1_30default_config_static_selectorELNS0_4arch9wavefront6targetE0EEEvSV_.num_named_barrier, 0
	.set _ZN7rocprim17ROCPRIM_400000_NS6detail17trampoline_kernelINS0_14default_configENS1_27lower_bound_config_selectorIflEEZNS1_14transform_implILb0ES3_S5_N6thrust23THRUST_200600_302600_NS6detail15normal_iteratorINS8_7pointerIfNS8_11hip_rocprim3tagENS8_11use_defaultESE_EEEENSA_INSB_IlSD_SE_SE_EEEEZNS1_13binary_searchIS3_S5_NSA_INS8_10device_ptrIfEEEESG_SI_NS1_21lower_bound_search_opENS9_16wrapped_functionINS8_7greaterIfEEbEEEE10hipError_tPvRmT1_T2_T3_mmT4_T5_P12ihipStream_tbEUlRKfE_EESS_SW_SX_mSY_S11_bEUlT_E_NS1_11comp_targetILNS1_3genE3ELNS1_11target_archE908ELNS1_3gpuE7ELNS1_3repE0EEENS1_30default_config_static_selectorELNS0_4arch9wavefront6targetE0EEEvSV_.private_seg_size, 0
	.set _ZN7rocprim17ROCPRIM_400000_NS6detail17trampoline_kernelINS0_14default_configENS1_27lower_bound_config_selectorIflEEZNS1_14transform_implILb0ES3_S5_N6thrust23THRUST_200600_302600_NS6detail15normal_iteratorINS8_7pointerIfNS8_11hip_rocprim3tagENS8_11use_defaultESE_EEEENSA_INSB_IlSD_SE_SE_EEEEZNS1_13binary_searchIS3_S5_NSA_INS8_10device_ptrIfEEEESG_SI_NS1_21lower_bound_search_opENS9_16wrapped_functionINS8_7greaterIfEEbEEEE10hipError_tPvRmT1_T2_T3_mmT4_T5_P12ihipStream_tbEUlRKfE_EESS_SW_SX_mSY_S11_bEUlT_E_NS1_11comp_targetILNS1_3genE3ELNS1_11target_archE908ELNS1_3gpuE7ELNS1_3repE0EEENS1_30default_config_static_selectorELNS0_4arch9wavefront6targetE0EEEvSV_.uses_vcc, 0
	.set _ZN7rocprim17ROCPRIM_400000_NS6detail17trampoline_kernelINS0_14default_configENS1_27lower_bound_config_selectorIflEEZNS1_14transform_implILb0ES3_S5_N6thrust23THRUST_200600_302600_NS6detail15normal_iteratorINS8_7pointerIfNS8_11hip_rocprim3tagENS8_11use_defaultESE_EEEENSA_INSB_IlSD_SE_SE_EEEEZNS1_13binary_searchIS3_S5_NSA_INS8_10device_ptrIfEEEESG_SI_NS1_21lower_bound_search_opENS9_16wrapped_functionINS8_7greaterIfEEbEEEE10hipError_tPvRmT1_T2_T3_mmT4_T5_P12ihipStream_tbEUlRKfE_EESS_SW_SX_mSY_S11_bEUlT_E_NS1_11comp_targetILNS1_3genE3ELNS1_11target_archE908ELNS1_3gpuE7ELNS1_3repE0EEENS1_30default_config_static_selectorELNS0_4arch9wavefront6targetE0EEEvSV_.uses_flat_scratch, 0
	.set _ZN7rocprim17ROCPRIM_400000_NS6detail17trampoline_kernelINS0_14default_configENS1_27lower_bound_config_selectorIflEEZNS1_14transform_implILb0ES3_S5_N6thrust23THRUST_200600_302600_NS6detail15normal_iteratorINS8_7pointerIfNS8_11hip_rocprim3tagENS8_11use_defaultESE_EEEENSA_INSB_IlSD_SE_SE_EEEEZNS1_13binary_searchIS3_S5_NSA_INS8_10device_ptrIfEEEESG_SI_NS1_21lower_bound_search_opENS9_16wrapped_functionINS8_7greaterIfEEbEEEE10hipError_tPvRmT1_T2_T3_mmT4_T5_P12ihipStream_tbEUlRKfE_EESS_SW_SX_mSY_S11_bEUlT_E_NS1_11comp_targetILNS1_3genE3ELNS1_11target_archE908ELNS1_3gpuE7ELNS1_3repE0EEENS1_30default_config_static_selectorELNS0_4arch9wavefront6targetE0EEEvSV_.has_dyn_sized_stack, 0
	.set _ZN7rocprim17ROCPRIM_400000_NS6detail17trampoline_kernelINS0_14default_configENS1_27lower_bound_config_selectorIflEEZNS1_14transform_implILb0ES3_S5_N6thrust23THRUST_200600_302600_NS6detail15normal_iteratorINS8_7pointerIfNS8_11hip_rocprim3tagENS8_11use_defaultESE_EEEENSA_INSB_IlSD_SE_SE_EEEEZNS1_13binary_searchIS3_S5_NSA_INS8_10device_ptrIfEEEESG_SI_NS1_21lower_bound_search_opENS9_16wrapped_functionINS8_7greaterIfEEbEEEE10hipError_tPvRmT1_T2_T3_mmT4_T5_P12ihipStream_tbEUlRKfE_EESS_SW_SX_mSY_S11_bEUlT_E_NS1_11comp_targetILNS1_3genE3ELNS1_11target_archE908ELNS1_3gpuE7ELNS1_3repE0EEENS1_30default_config_static_selectorELNS0_4arch9wavefront6targetE0EEEvSV_.has_recursion, 0
	.set _ZN7rocprim17ROCPRIM_400000_NS6detail17trampoline_kernelINS0_14default_configENS1_27lower_bound_config_selectorIflEEZNS1_14transform_implILb0ES3_S5_N6thrust23THRUST_200600_302600_NS6detail15normal_iteratorINS8_7pointerIfNS8_11hip_rocprim3tagENS8_11use_defaultESE_EEEENSA_INSB_IlSD_SE_SE_EEEEZNS1_13binary_searchIS3_S5_NSA_INS8_10device_ptrIfEEEESG_SI_NS1_21lower_bound_search_opENS9_16wrapped_functionINS8_7greaterIfEEbEEEE10hipError_tPvRmT1_T2_T3_mmT4_T5_P12ihipStream_tbEUlRKfE_EESS_SW_SX_mSY_S11_bEUlT_E_NS1_11comp_targetILNS1_3genE3ELNS1_11target_archE908ELNS1_3gpuE7ELNS1_3repE0EEENS1_30default_config_static_selectorELNS0_4arch9wavefront6targetE0EEEvSV_.has_indirect_call, 0
	.section	.AMDGPU.csdata,"",@progbits
; Kernel info:
; codeLenInByte = 0
; TotalNumSgprs: 0
; NumVgprs: 0
; ScratchSize: 0
; MemoryBound: 0
; FloatMode: 240
; IeeeMode: 1
; LDSByteSize: 0 bytes/workgroup (compile time only)
; SGPRBlocks: 0
; VGPRBlocks: 0
; NumSGPRsForWavesPerEU: 1
; NumVGPRsForWavesPerEU: 1
; NamedBarCnt: 0
; Occupancy: 16
; WaveLimiterHint : 0
; COMPUTE_PGM_RSRC2:SCRATCH_EN: 0
; COMPUTE_PGM_RSRC2:USER_SGPR: 2
; COMPUTE_PGM_RSRC2:TRAP_HANDLER: 0
; COMPUTE_PGM_RSRC2:TGID_X_EN: 1
; COMPUTE_PGM_RSRC2:TGID_Y_EN: 0
; COMPUTE_PGM_RSRC2:TGID_Z_EN: 0
; COMPUTE_PGM_RSRC2:TIDIG_COMP_CNT: 0
	.section	.text._ZN7rocprim17ROCPRIM_400000_NS6detail17trampoline_kernelINS0_14default_configENS1_27lower_bound_config_selectorIflEEZNS1_14transform_implILb0ES3_S5_N6thrust23THRUST_200600_302600_NS6detail15normal_iteratorINS8_7pointerIfNS8_11hip_rocprim3tagENS8_11use_defaultESE_EEEENSA_INSB_IlSD_SE_SE_EEEEZNS1_13binary_searchIS3_S5_NSA_INS8_10device_ptrIfEEEESG_SI_NS1_21lower_bound_search_opENS9_16wrapped_functionINS8_7greaterIfEEbEEEE10hipError_tPvRmT1_T2_T3_mmT4_T5_P12ihipStream_tbEUlRKfE_EESS_SW_SX_mSY_S11_bEUlT_E_NS1_11comp_targetILNS1_3genE2ELNS1_11target_archE906ELNS1_3gpuE6ELNS1_3repE0EEENS1_30default_config_static_selectorELNS0_4arch9wavefront6targetE0EEEvSV_,"axG",@progbits,_ZN7rocprim17ROCPRIM_400000_NS6detail17trampoline_kernelINS0_14default_configENS1_27lower_bound_config_selectorIflEEZNS1_14transform_implILb0ES3_S5_N6thrust23THRUST_200600_302600_NS6detail15normal_iteratorINS8_7pointerIfNS8_11hip_rocprim3tagENS8_11use_defaultESE_EEEENSA_INSB_IlSD_SE_SE_EEEEZNS1_13binary_searchIS3_S5_NSA_INS8_10device_ptrIfEEEESG_SI_NS1_21lower_bound_search_opENS9_16wrapped_functionINS8_7greaterIfEEbEEEE10hipError_tPvRmT1_T2_T3_mmT4_T5_P12ihipStream_tbEUlRKfE_EESS_SW_SX_mSY_S11_bEUlT_E_NS1_11comp_targetILNS1_3genE2ELNS1_11target_archE906ELNS1_3gpuE6ELNS1_3repE0EEENS1_30default_config_static_selectorELNS0_4arch9wavefront6targetE0EEEvSV_,comdat
	.protected	_ZN7rocprim17ROCPRIM_400000_NS6detail17trampoline_kernelINS0_14default_configENS1_27lower_bound_config_selectorIflEEZNS1_14transform_implILb0ES3_S5_N6thrust23THRUST_200600_302600_NS6detail15normal_iteratorINS8_7pointerIfNS8_11hip_rocprim3tagENS8_11use_defaultESE_EEEENSA_INSB_IlSD_SE_SE_EEEEZNS1_13binary_searchIS3_S5_NSA_INS8_10device_ptrIfEEEESG_SI_NS1_21lower_bound_search_opENS9_16wrapped_functionINS8_7greaterIfEEbEEEE10hipError_tPvRmT1_T2_T3_mmT4_T5_P12ihipStream_tbEUlRKfE_EESS_SW_SX_mSY_S11_bEUlT_E_NS1_11comp_targetILNS1_3genE2ELNS1_11target_archE906ELNS1_3gpuE6ELNS1_3repE0EEENS1_30default_config_static_selectorELNS0_4arch9wavefront6targetE0EEEvSV_ ; -- Begin function _ZN7rocprim17ROCPRIM_400000_NS6detail17trampoline_kernelINS0_14default_configENS1_27lower_bound_config_selectorIflEEZNS1_14transform_implILb0ES3_S5_N6thrust23THRUST_200600_302600_NS6detail15normal_iteratorINS8_7pointerIfNS8_11hip_rocprim3tagENS8_11use_defaultESE_EEEENSA_INSB_IlSD_SE_SE_EEEEZNS1_13binary_searchIS3_S5_NSA_INS8_10device_ptrIfEEEESG_SI_NS1_21lower_bound_search_opENS9_16wrapped_functionINS8_7greaterIfEEbEEEE10hipError_tPvRmT1_T2_T3_mmT4_T5_P12ihipStream_tbEUlRKfE_EESS_SW_SX_mSY_S11_bEUlT_E_NS1_11comp_targetILNS1_3genE2ELNS1_11target_archE906ELNS1_3gpuE6ELNS1_3repE0EEENS1_30default_config_static_selectorELNS0_4arch9wavefront6targetE0EEEvSV_
	.globl	_ZN7rocprim17ROCPRIM_400000_NS6detail17trampoline_kernelINS0_14default_configENS1_27lower_bound_config_selectorIflEEZNS1_14transform_implILb0ES3_S5_N6thrust23THRUST_200600_302600_NS6detail15normal_iteratorINS8_7pointerIfNS8_11hip_rocprim3tagENS8_11use_defaultESE_EEEENSA_INSB_IlSD_SE_SE_EEEEZNS1_13binary_searchIS3_S5_NSA_INS8_10device_ptrIfEEEESG_SI_NS1_21lower_bound_search_opENS9_16wrapped_functionINS8_7greaterIfEEbEEEE10hipError_tPvRmT1_T2_T3_mmT4_T5_P12ihipStream_tbEUlRKfE_EESS_SW_SX_mSY_S11_bEUlT_E_NS1_11comp_targetILNS1_3genE2ELNS1_11target_archE906ELNS1_3gpuE6ELNS1_3repE0EEENS1_30default_config_static_selectorELNS0_4arch9wavefront6targetE0EEEvSV_
	.p2align	8
	.type	_ZN7rocprim17ROCPRIM_400000_NS6detail17trampoline_kernelINS0_14default_configENS1_27lower_bound_config_selectorIflEEZNS1_14transform_implILb0ES3_S5_N6thrust23THRUST_200600_302600_NS6detail15normal_iteratorINS8_7pointerIfNS8_11hip_rocprim3tagENS8_11use_defaultESE_EEEENSA_INSB_IlSD_SE_SE_EEEEZNS1_13binary_searchIS3_S5_NSA_INS8_10device_ptrIfEEEESG_SI_NS1_21lower_bound_search_opENS9_16wrapped_functionINS8_7greaterIfEEbEEEE10hipError_tPvRmT1_T2_T3_mmT4_T5_P12ihipStream_tbEUlRKfE_EESS_SW_SX_mSY_S11_bEUlT_E_NS1_11comp_targetILNS1_3genE2ELNS1_11target_archE906ELNS1_3gpuE6ELNS1_3repE0EEENS1_30default_config_static_selectorELNS0_4arch9wavefront6targetE0EEEvSV_,@function
_ZN7rocprim17ROCPRIM_400000_NS6detail17trampoline_kernelINS0_14default_configENS1_27lower_bound_config_selectorIflEEZNS1_14transform_implILb0ES3_S5_N6thrust23THRUST_200600_302600_NS6detail15normal_iteratorINS8_7pointerIfNS8_11hip_rocprim3tagENS8_11use_defaultESE_EEEENSA_INSB_IlSD_SE_SE_EEEEZNS1_13binary_searchIS3_S5_NSA_INS8_10device_ptrIfEEEESG_SI_NS1_21lower_bound_search_opENS9_16wrapped_functionINS8_7greaterIfEEbEEEE10hipError_tPvRmT1_T2_T3_mmT4_T5_P12ihipStream_tbEUlRKfE_EESS_SW_SX_mSY_S11_bEUlT_E_NS1_11comp_targetILNS1_3genE2ELNS1_11target_archE906ELNS1_3gpuE6ELNS1_3repE0EEENS1_30default_config_static_selectorELNS0_4arch9wavefront6targetE0EEEvSV_: ; @_ZN7rocprim17ROCPRIM_400000_NS6detail17trampoline_kernelINS0_14default_configENS1_27lower_bound_config_selectorIflEEZNS1_14transform_implILb0ES3_S5_N6thrust23THRUST_200600_302600_NS6detail15normal_iteratorINS8_7pointerIfNS8_11hip_rocprim3tagENS8_11use_defaultESE_EEEENSA_INSB_IlSD_SE_SE_EEEEZNS1_13binary_searchIS3_S5_NSA_INS8_10device_ptrIfEEEESG_SI_NS1_21lower_bound_search_opENS9_16wrapped_functionINS8_7greaterIfEEbEEEE10hipError_tPvRmT1_T2_T3_mmT4_T5_P12ihipStream_tbEUlRKfE_EESS_SW_SX_mSY_S11_bEUlT_E_NS1_11comp_targetILNS1_3genE2ELNS1_11target_archE906ELNS1_3gpuE6ELNS1_3repE0EEENS1_30default_config_static_selectorELNS0_4arch9wavefront6targetE0EEEvSV_
; %bb.0:
	.section	.rodata,"a",@progbits
	.p2align	6, 0x0
	.amdhsa_kernel _ZN7rocprim17ROCPRIM_400000_NS6detail17trampoline_kernelINS0_14default_configENS1_27lower_bound_config_selectorIflEEZNS1_14transform_implILb0ES3_S5_N6thrust23THRUST_200600_302600_NS6detail15normal_iteratorINS8_7pointerIfNS8_11hip_rocprim3tagENS8_11use_defaultESE_EEEENSA_INSB_IlSD_SE_SE_EEEEZNS1_13binary_searchIS3_S5_NSA_INS8_10device_ptrIfEEEESG_SI_NS1_21lower_bound_search_opENS9_16wrapped_functionINS8_7greaterIfEEbEEEE10hipError_tPvRmT1_T2_T3_mmT4_T5_P12ihipStream_tbEUlRKfE_EESS_SW_SX_mSY_S11_bEUlT_E_NS1_11comp_targetILNS1_3genE2ELNS1_11target_archE906ELNS1_3gpuE6ELNS1_3repE0EEENS1_30default_config_static_selectorELNS0_4arch9wavefront6targetE0EEEvSV_
		.amdhsa_group_segment_fixed_size 0
		.amdhsa_private_segment_fixed_size 0
		.amdhsa_kernarg_size 56
		.amdhsa_user_sgpr_count 2
		.amdhsa_user_sgpr_dispatch_ptr 0
		.amdhsa_user_sgpr_queue_ptr 0
		.amdhsa_user_sgpr_kernarg_segment_ptr 1
		.amdhsa_user_sgpr_dispatch_id 0
		.amdhsa_user_sgpr_kernarg_preload_length 0
		.amdhsa_user_sgpr_kernarg_preload_offset 0
		.amdhsa_user_sgpr_private_segment_size 0
		.amdhsa_wavefront_size32 1
		.amdhsa_uses_dynamic_stack 0
		.amdhsa_enable_private_segment 0
		.amdhsa_system_sgpr_workgroup_id_x 1
		.amdhsa_system_sgpr_workgroup_id_y 0
		.amdhsa_system_sgpr_workgroup_id_z 0
		.amdhsa_system_sgpr_workgroup_info 0
		.amdhsa_system_vgpr_workitem_id 0
		.amdhsa_next_free_vgpr 1
		.amdhsa_next_free_sgpr 1
		.amdhsa_named_barrier_count 0
		.amdhsa_reserve_vcc 0
		.amdhsa_float_round_mode_32 0
		.amdhsa_float_round_mode_16_64 0
		.amdhsa_float_denorm_mode_32 3
		.amdhsa_float_denorm_mode_16_64 3
		.amdhsa_fp16_overflow 0
		.amdhsa_memory_ordered 1
		.amdhsa_forward_progress 1
		.amdhsa_inst_pref_size 0
		.amdhsa_round_robin_scheduling 0
		.amdhsa_exception_fp_ieee_invalid_op 0
		.amdhsa_exception_fp_denorm_src 0
		.amdhsa_exception_fp_ieee_div_zero 0
		.amdhsa_exception_fp_ieee_overflow 0
		.amdhsa_exception_fp_ieee_underflow 0
		.amdhsa_exception_fp_ieee_inexact 0
		.amdhsa_exception_int_div_zero 0
	.end_amdhsa_kernel
	.section	.text._ZN7rocprim17ROCPRIM_400000_NS6detail17trampoline_kernelINS0_14default_configENS1_27lower_bound_config_selectorIflEEZNS1_14transform_implILb0ES3_S5_N6thrust23THRUST_200600_302600_NS6detail15normal_iteratorINS8_7pointerIfNS8_11hip_rocprim3tagENS8_11use_defaultESE_EEEENSA_INSB_IlSD_SE_SE_EEEEZNS1_13binary_searchIS3_S5_NSA_INS8_10device_ptrIfEEEESG_SI_NS1_21lower_bound_search_opENS9_16wrapped_functionINS8_7greaterIfEEbEEEE10hipError_tPvRmT1_T2_T3_mmT4_T5_P12ihipStream_tbEUlRKfE_EESS_SW_SX_mSY_S11_bEUlT_E_NS1_11comp_targetILNS1_3genE2ELNS1_11target_archE906ELNS1_3gpuE6ELNS1_3repE0EEENS1_30default_config_static_selectorELNS0_4arch9wavefront6targetE0EEEvSV_,"axG",@progbits,_ZN7rocprim17ROCPRIM_400000_NS6detail17trampoline_kernelINS0_14default_configENS1_27lower_bound_config_selectorIflEEZNS1_14transform_implILb0ES3_S5_N6thrust23THRUST_200600_302600_NS6detail15normal_iteratorINS8_7pointerIfNS8_11hip_rocprim3tagENS8_11use_defaultESE_EEEENSA_INSB_IlSD_SE_SE_EEEEZNS1_13binary_searchIS3_S5_NSA_INS8_10device_ptrIfEEEESG_SI_NS1_21lower_bound_search_opENS9_16wrapped_functionINS8_7greaterIfEEbEEEE10hipError_tPvRmT1_T2_T3_mmT4_T5_P12ihipStream_tbEUlRKfE_EESS_SW_SX_mSY_S11_bEUlT_E_NS1_11comp_targetILNS1_3genE2ELNS1_11target_archE906ELNS1_3gpuE6ELNS1_3repE0EEENS1_30default_config_static_selectorELNS0_4arch9wavefront6targetE0EEEvSV_,comdat
.Lfunc_end35:
	.size	_ZN7rocprim17ROCPRIM_400000_NS6detail17trampoline_kernelINS0_14default_configENS1_27lower_bound_config_selectorIflEEZNS1_14transform_implILb0ES3_S5_N6thrust23THRUST_200600_302600_NS6detail15normal_iteratorINS8_7pointerIfNS8_11hip_rocprim3tagENS8_11use_defaultESE_EEEENSA_INSB_IlSD_SE_SE_EEEEZNS1_13binary_searchIS3_S5_NSA_INS8_10device_ptrIfEEEESG_SI_NS1_21lower_bound_search_opENS9_16wrapped_functionINS8_7greaterIfEEbEEEE10hipError_tPvRmT1_T2_T3_mmT4_T5_P12ihipStream_tbEUlRKfE_EESS_SW_SX_mSY_S11_bEUlT_E_NS1_11comp_targetILNS1_3genE2ELNS1_11target_archE906ELNS1_3gpuE6ELNS1_3repE0EEENS1_30default_config_static_selectorELNS0_4arch9wavefront6targetE0EEEvSV_, .Lfunc_end35-_ZN7rocprim17ROCPRIM_400000_NS6detail17trampoline_kernelINS0_14default_configENS1_27lower_bound_config_selectorIflEEZNS1_14transform_implILb0ES3_S5_N6thrust23THRUST_200600_302600_NS6detail15normal_iteratorINS8_7pointerIfNS8_11hip_rocprim3tagENS8_11use_defaultESE_EEEENSA_INSB_IlSD_SE_SE_EEEEZNS1_13binary_searchIS3_S5_NSA_INS8_10device_ptrIfEEEESG_SI_NS1_21lower_bound_search_opENS9_16wrapped_functionINS8_7greaterIfEEbEEEE10hipError_tPvRmT1_T2_T3_mmT4_T5_P12ihipStream_tbEUlRKfE_EESS_SW_SX_mSY_S11_bEUlT_E_NS1_11comp_targetILNS1_3genE2ELNS1_11target_archE906ELNS1_3gpuE6ELNS1_3repE0EEENS1_30default_config_static_selectorELNS0_4arch9wavefront6targetE0EEEvSV_
                                        ; -- End function
	.set _ZN7rocprim17ROCPRIM_400000_NS6detail17trampoline_kernelINS0_14default_configENS1_27lower_bound_config_selectorIflEEZNS1_14transform_implILb0ES3_S5_N6thrust23THRUST_200600_302600_NS6detail15normal_iteratorINS8_7pointerIfNS8_11hip_rocprim3tagENS8_11use_defaultESE_EEEENSA_INSB_IlSD_SE_SE_EEEEZNS1_13binary_searchIS3_S5_NSA_INS8_10device_ptrIfEEEESG_SI_NS1_21lower_bound_search_opENS9_16wrapped_functionINS8_7greaterIfEEbEEEE10hipError_tPvRmT1_T2_T3_mmT4_T5_P12ihipStream_tbEUlRKfE_EESS_SW_SX_mSY_S11_bEUlT_E_NS1_11comp_targetILNS1_3genE2ELNS1_11target_archE906ELNS1_3gpuE6ELNS1_3repE0EEENS1_30default_config_static_selectorELNS0_4arch9wavefront6targetE0EEEvSV_.num_vgpr, 0
	.set _ZN7rocprim17ROCPRIM_400000_NS6detail17trampoline_kernelINS0_14default_configENS1_27lower_bound_config_selectorIflEEZNS1_14transform_implILb0ES3_S5_N6thrust23THRUST_200600_302600_NS6detail15normal_iteratorINS8_7pointerIfNS8_11hip_rocprim3tagENS8_11use_defaultESE_EEEENSA_INSB_IlSD_SE_SE_EEEEZNS1_13binary_searchIS3_S5_NSA_INS8_10device_ptrIfEEEESG_SI_NS1_21lower_bound_search_opENS9_16wrapped_functionINS8_7greaterIfEEbEEEE10hipError_tPvRmT1_T2_T3_mmT4_T5_P12ihipStream_tbEUlRKfE_EESS_SW_SX_mSY_S11_bEUlT_E_NS1_11comp_targetILNS1_3genE2ELNS1_11target_archE906ELNS1_3gpuE6ELNS1_3repE0EEENS1_30default_config_static_selectorELNS0_4arch9wavefront6targetE0EEEvSV_.num_agpr, 0
	.set _ZN7rocprim17ROCPRIM_400000_NS6detail17trampoline_kernelINS0_14default_configENS1_27lower_bound_config_selectorIflEEZNS1_14transform_implILb0ES3_S5_N6thrust23THRUST_200600_302600_NS6detail15normal_iteratorINS8_7pointerIfNS8_11hip_rocprim3tagENS8_11use_defaultESE_EEEENSA_INSB_IlSD_SE_SE_EEEEZNS1_13binary_searchIS3_S5_NSA_INS8_10device_ptrIfEEEESG_SI_NS1_21lower_bound_search_opENS9_16wrapped_functionINS8_7greaterIfEEbEEEE10hipError_tPvRmT1_T2_T3_mmT4_T5_P12ihipStream_tbEUlRKfE_EESS_SW_SX_mSY_S11_bEUlT_E_NS1_11comp_targetILNS1_3genE2ELNS1_11target_archE906ELNS1_3gpuE6ELNS1_3repE0EEENS1_30default_config_static_selectorELNS0_4arch9wavefront6targetE0EEEvSV_.numbered_sgpr, 0
	.set _ZN7rocprim17ROCPRIM_400000_NS6detail17trampoline_kernelINS0_14default_configENS1_27lower_bound_config_selectorIflEEZNS1_14transform_implILb0ES3_S5_N6thrust23THRUST_200600_302600_NS6detail15normal_iteratorINS8_7pointerIfNS8_11hip_rocprim3tagENS8_11use_defaultESE_EEEENSA_INSB_IlSD_SE_SE_EEEEZNS1_13binary_searchIS3_S5_NSA_INS8_10device_ptrIfEEEESG_SI_NS1_21lower_bound_search_opENS9_16wrapped_functionINS8_7greaterIfEEbEEEE10hipError_tPvRmT1_T2_T3_mmT4_T5_P12ihipStream_tbEUlRKfE_EESS_SW_SX_mSY_S11_bEUlT_E_NS1_11comp_targetILNS1_3genE2ELNS1_11target_archE906ELNS1_3gpuE6ELNS1_3repE0EEENS1_30default_config_static_selectorELNS0_4arch9wavefront6targetE0EEEvSV_.num_named_barrier, 0
	.set _ZN7rocprim17ROCPRIM_400000_NS6detail17trampoline_kernelINS0_14default_configENS1_27lower_bound_config_selectorIflEEZNS1_14transform_implILb0ES3_S5_N6thrust23THRUST_200600_302600_NS6detail15normal_iteratorINS8_7pointerIfNS8_11hip_rocprim3tagENS8_11use_defaultESE_EEEENSA_INSB_IlSD_SE_SE_EEEEZNS1_13binary_searchIS3_S5_NSA_INS8_10device_ptrIfEEEESG_SI_NS1_21lower_bound_search_opENS9_16wrapped_functionINS8_7greaterIfEEbEEEE10hipError_tPvRmT1_T2_T3_mmT4_T5_P12ihipStream_tbEUlRKfE_EESS_SW_SX_mSY_S11_bEUlT_E_NS1_11comp_targetILNS1_3genE2ELNS1_11target_archE906ELNS1_3gpuE6ELNS1_3repE0EEENS1_30default_config_static_selectorELNS0_4arch9wavefront6targetE0EEEvSV_.private_seg_size, 0
	.set _ZN7rocprim17ROCPRIM_400000_NS6detail17trampoline_kernelINS0_14default_configENS1_27lower_bound_config_selectorIflEEZNS1_14transform_implILb0ES3_S5_N6thrust23THRUST_200600_302600_NS6detail15normal_iteratorINS8_7pointerIfNS8_11hip_rocprim3tagENS8_11use_defaultESE_EEEENSA_INSB_IlSD_SE_SE_EEEEZNS1_13binary_searchIS3_S5_NSA_INS8_10device_ptrIfEEEESG_SI_NS1_21lower_bound_search_opENS9_16wrapped_functionINS8_7greaterIfEEbEEEE10hipError_tPvRmT1_T2_T3_mmT4_T5_P12ihipStream_tbEUlRKfE_EESS_SW_SX_mSY_S11_bEUlT_E_NS1_11comp_targetILNS1_3genE2ELNS1_11target_archE906ELNS1_3gpuE6ELNS1_3repE0EEENS1_30default_config_static_selectorELNS0_4arch9wavefront6targetE0EEEvSV_.uses_vcc, 0
	.set _ZN7rocprim17ROCPRIM_400000_NS6detail17trampoline_kernelINS0_14default_configENS1_27lower_bound_config_selectorIflEEZNS1_14transform_implILb0ES3_S5_N6thrust23THRUST_200600_302600_NS6detail15normal_iteratorINS8_7pointerIfNS8_11hip_rocprim3tagENS8_11use_defaultESE_EEEENSA_INSB_IlSD_SE_SE_EEEEZNS1_13binary_searchIS3_S5_NSA_INS8_10device_ptrIfEEEESG_SI_NS1_21lower_bound_search_opENS9_16wrapped_functionINS8_7greaterIfEEbEEEE10hipError_tPvRmT1_T2_T3_mmT4_T5_P12ihipStream_tbEUlRKfE_EESS_SW_SX_mSY_S11_bEUlT_E_NS1_11comp_targetILNS1_3genE2ELNS1_11target_archE906ELNS1_3gpuE6ELNS1_3repE0EEENS1_30default_config_static_selectorELNS0_4arch9wavefront6targetE0EEEvSV_.uses_flat_scratch, 0
	.set _ZN7rocprim17ROCPRIM_400000_NS6detail17trampoline_kernelINS0_14default_configENS1_27lower_bound_config_selectorIflEEZNS1_14transform_implILb0ES3_S5_N6thrust23THRUST_200600_302600_NS6detail15normal_iteratorINS8_7pointerIfNS8_11hip_rocprim3tagENS8_11use_defaultESE_EEEENSA_INSB_IlSD_SE_SE_EEEEZNS1_13binary_searchIS3_S5_NSA_INS8_10device_ptrIfEEEESG_SI_NS1_21lower_bound_search_opENS9_16wrapped_functionINS8_7greaterIfEEbEEEE10hipError_tPvRmT1_T2_T3_mmT4_T5_P12ihipStream_tbEUlRKfE_EESS_SW_SX_mSY_S11_bEUlT_E_NS1_11comp_targetILNS1_3genE2ELNS1_11target_archE906ELNS1_3gpuE6ELNS1_3repE0EEENS1_30default_config_static_selectorELNS0_4arch9wavefront6targetE0EEEvSV_.has_dyn_sized_stack, 0
	.set _ZN7rocprim17ROCPRIM_400000_NS6detail17trampoline_kernelINS0_14default_configENS1_27lower_bound_config_selectorIflEEZNS1_14transform_implILb0ES3_S5_N6thrust23THRUST_200600_302600_NS6detail15normal_iteratorINS8_7pointerIfNS8_11hip_rocprim3tagENS8_11use_defaultESE_EEEENSA_INSB_IlSD_SE_SE_EEEEZNS1_13binary_searchIS3_S5_NSA_INS8_10device_ptrIfEEEESG_SI_NS1_21lower_bound_search_opENS9_16wrapped_functionINS8_7greaterIfEEbEEEE10hipError_tPvRmT1_T2_T3_mmT4_T5_P12ihipStream_tbEUlRKfE_EESS_SW_SX_mSY_S11_bEUlT_E_NS1_11comp_targetILNS1_3genE2ELNS1_11target_archE906ELNS1_3gpuE6ELNS1_3repE0EEENS1_30default_config_static_selectorELNS0_4arch9wavefront6targetE0EEEvSV_.has_recursion, 0
	.set _ZN7rocprim17ROCPRIM_400000_NS6detail17trampoline_kernelINS0_14default_configENS1_27lower_bound_config_selectorIflEEZNS1_14transform_implILb0ES3_S5_N6thrust23THRUST_200600_302600_NS6detail15normal_iteratorINS8_7pointerIfNS8_11hip_rocprim3tagENS8_11use_defaultESE_EEEENSA_INSB_IlSD_SE_SE_EEEEZNS1_13binary_searchIS3_S5_NSA_INS8_10device_ptrIfEEEESG_SI_NS1_21lower_bound_search_opENS9_16wrapped_functionINS8_7greaterIfEEbEEEE10hipError_tPvRmT1_T2_T3_mmT4_T5_P12ihipStream_tbEUlRKfE_EESS_SW_SX_mSY_S11_bEUlT_E_NS1_11comp_targetILNS1_3genE2ELNS1_11target_archE906ELNS1_3gpuE6ELNS1_3repE0EEENS1_30default_config_static_selectorELNS0_4arch9wavefront6targetE0EEEvSV_.has_indirect_call, 0
	.section	.AMDGPU.csdata,"",@progbits
; Kernel info:
; codeLenInByte = 0
; TotalNumSgprs: 0
; NumVgprs: 0
; ScratchSize: 0
; MemoryBound: 0
; FloatMode: 240
; IeeeMode: 1
; LDSByteSize: 0 bytes/workgroup (compile time only)
; SGPRBlocks: 0
; VGPRBlocks: 0
; NumSGPRsForWavesPerEU: 1
; NumVGPRsForWavesPerEU: 1
; NamedBarCnt: 0
; Occupancy: 16
; WaveLimiterHint : 0
; COMPUTE_PGM_RSRC2:SCRATCH_EN: 0
; COMPUTE_PGM_RSRC2:USER_SGPR: 2
; COMPUTE_PGM_RSRC2:TRAP_HANDLER: 0
; COMPUTE_PGM_RSRC2:TGID_X_EN: 1
; COMPUTE_PGM_RSRC2:TGID_Y_EN: 0
; COMPUTE_PGM_RSRC2:TGID_Z_EN: 0
; COMPUTE_PGM_RSRC2:TIDIG_COMP_CNT: 0
	.section	.text._ZN7rocprim17ROCPRIM_400000_NS6detail17trampoline_kernelINS0_14default_configENS1_27lower_bound_config_selectorIflEEZNS1_14transform_implILb0ES3_S5_N6thrust23THRUST_200600_302600_NS6detail15normal_iteratorINS8_7pointerIfNS8_11hip_rocprim3tagENS8_11use_defaultESE_EEEENSA_INSB_IlSD_SE_SE_EEEEZNS1_13binary_searchIS3_S5_NSA_INS8_10device_ptrIfEEEESG_SI_NS1_21lower_bound_search_opENS9_16wrapped_functionINS8_7greaterIfEEbEEEE10hipError_tPvRmT1_T2_T3_mmT4_T5_P12ihipStream_tbEUlRKfE_EESS_SW_SX_mSY_S11_bEUlT_E_NS1_11comp_targetILNS1_3genE10ELNS1_11target_archE1201ELNS1_3gpuE5ELNS1_3repE0EEENS1_30default_config_static_selectorELNS0_4arch9wavefront6targetE0EEEvSV_,"axG",@progbits,_ZN7rocprim17ROCPRIM_400000_NS6detail17trampoline_kernelINS0_14default_configENS1_27lower_bound_config_selectorIflEEZNS1_14transform_implILb0ES3_S5_N6thrust23THRUST_200600_302600_NS6detail15normal_iteratorINS8_7pointerIfNS8_11hip_rocprim3tagENS8_11use_defaultESE_EEEENSA_INSB_IlSD_SE_SE_EEEEZNS1_13binary_searchIS3_S5_NSA_INS8_10device_ptrIfEEEESG_SI_NS1_21lower_bound_search_opENS9_16wrapped_functionINS8_7greaterIfEEbEEEE10hipError_tPvRmT1_T2_T3_mmT4_T5_P12ihipStream_tbEUlRKfE_EESS_SW_SX_mSY_S11_bEUlT_E_NS1_11comp_targetILNS1_3genE10ELNS1_11target_archE1201ELNS1_3gpuE5ELNS1_3repE0EEENS1_30default_config_static_selectorELNS0_4arch9wavefront6targetE0EEEvSV_,comdat
	.protected	_ZN7rocprim17ROCPRIM_400000_NS6detail17trampoline_kernelINS0_14default_configENS1_27lower_bound_config_selectorIflEEZNS1_14transform_implILb0ES3_S5_N6thrust23THRUST_200600_302600_NS6detail15normal_iteratorINS8_7pointerIfNS8_11hip_rocprim3tagENS8_11use_defaultESE_EEEENSA_INSB_IlSD_SE_SE_EEEEZNS1_13binary_searchIS3_S5_NSA_INS8_10device_ptrIfEEEESG_SI_NS1_21lower_bound_search_opENS9_16wrapped_functionINS8_7greaterIfEEbEEEE10hipError_tPvRmT1_T2_T3_mmT4_T5_P12ihipStream_tbEUlRKfE_EESS_SW_SX_mSY_S11_bEUlT_E_NS1_11comp_targetILNS1_3genE10ELNS1_11target_archE1201ELNS1_3gpuE5ELNS1_3repE0EEENS1_30default_config_static_selectorELNS0_4arch9wavefront6targetE0EEEvSV_ ; -- Begin function _ZN7rocprim17ROCPRIM_400000_NS6detail17trampoline_kernelINS0_14default_configENS1_27lower_bound_config_selectorIflEEZNS1_14transform_implILb0ES3_S5_N6thrust23THRUST_200600_302600_NS6detail15normal_iteratorINS8_7pointerIfNS8_11hip_rocprim3tagENS8_11use_defaultESE_EEEENSA_INSB_IlSD_SE_SE_EEEEZNS1_13binary_searchIS3_S5_NSA_INS8_10device_ptrIfEEEESG_SI_NS1_21lower_bound_search_opENS9_16wrapped_functionINS8_7greaterIfEEbEEEE10hipError_tPvRmT1_T2_T3_mmT4_T5_P12ihipStream_tbEUlRKfE_EESS_SW_SX_mSY_S11_bEUlT_E_NS1_11comp_targetILNS1_3genE10ELNS1_11target_archE1201ELNS1_3gpuE5ELNS1_3repE0EEENS1_30default_config_static_selectorELNS0_4arch9wavefront6targetE0EEEvSV_
	.globl	_ZN7rocprim17ROCPRIM_400000_NS6detail17trampoline_kernelINS0_14default_configENS1_27lower_bound_config_selectorIflEEZNS1_14transform_implILb0ES3_S5_N6thrust23THRUST_200600_302600_NS6detail15normal_iteratorINS8_7pointerIfNS8_11hip_rocprim3tagENS8_11use_defaultESE_EEEENSA_INSB_IlSD_SE_SE_EEEEZNS1_13binary_searchIS3_S5_NSA_INS8_10device_ptrIfEEEESG_SI_NS1_21lower_bound_search_opENS9_16wrapped_functionINS8_7greaterIfEEbEEEE10hipError_tPvRmT1_T2_T3_mmT4_T5_P12ihipStream_tbEUlRKfE_EESS_SW_SX_mSY_S11_bEUlT_E_NS1_11comp_targetILNS1_3genE10ELNS1_11target_archE1201ELNS1_3gpuE5ELNS1_3repE0EEENS1_30default_config_static_selectorELNS0_4arch9wavefront6targetE0EEEvSV_
	.p2align	8
	.type	_ZN7rocprim17ROCPRIM_400000_NS6detail17trampoline_kernelINS0_14default_configENS1_27lower_bound_config_selectorIflEEZNS1_14transform_implILb0ES3_S5_N6thrust23THRUST_200600_302600_NS6detail15normal_iteratorINS8_7pointerIfNS8_11hip_rocprim3tagENS8_11use_defaultESE_EEEENSA_INSB_IlSD_SE_SE_EEEEZNS1_13binary_searchIS3_S5_NSA_INS8_10device_ptrIfEEEESG_SI_NS1_21lower_bound_search_opENS9_16wrapped_functionINS8_7greaterIfEEbEEEE10hipError_tPvRmT1_T2_T3_mmT4_T5_P12ihipStream_tbEUlRKfE_EESS_SW_SX_mSY_S11_bEUlT_E_NS1_11comp_targetILNS1_3genE10ELNS1_11target_archE1201ELNS1_3gpuE5ELNS1_3repE0EEENS1_30default_config_static_selectorELNS0_4arch9wavefront6targetE0EEEvSV_,@function
_ZN7rocprim17ROCPRIM_400000_NS6detail17trampoline_kernelINS0_14default_configENS1_27lower_bound_config_selectorIflEEZNS1_14transform_implILb0ES3_S5_N6thrust23THRUST_200600_302600_NS6detail15normal_iteratorINS8_7pointerIfNS8_11hip_rocprim3tagENS8_11use_defaultESE_EEEENSA_INSB_IlSD_SE_SE_EEEEZNS1_13binary_searchIS3_S5_NSA_INS8_10device_ptrIfEEEESG_SI_NS1_21lower_bound_search_opENS9_16wrapped_functionINS8_7greaterIfEEbEEEE10hipError_tPvRmT1_T2_T3_mmT4_T5_P12ihipStream_tbEUlRKfE_EESS_SW_SX_mSY_S11_bEUlT_E_NS1_11comp_targetILNS1_3genE10ELNS1_11target_archE1201ELNS1_3gpuE5ELNS1_3repE0EEENS1_30default_config_static_selectorELNS0_4arch9wavefront6targetE0EEEvSV_: ; @_ZN7rocprim17ROCPRIM_400000_NS6detail17trampoline_kernelINS0_14default_configENS1_27lower_bound_config_selectorIflEEZNS1_14transform_implILb0ES3_S5_N6thrust23THRUST_200600_302600_NS6detail15normal_iteratorINS8_7pointerIfNS8_11hip_rocprim3tagENS8_11use_defaultESE_EEEENSA_INSB_IlSD_SE_SE_EEEEZNS1_13binary_searchIS3_S5_NSA_INS8_10device_ptrIfEEEESG_SI_NS1_21lower_bound_search_opENS9_16wrapped_functionINS8_7greaterIfEEbEEEE10hipError_tPvRmT1_T2_T3_mmT4_T5_P12ihipStream_tbEUlRKfE_EESS_SW_SX_mSY_S11_bEUlT_E_NS1_11comp_targetILNS1_3genE10ELNS1_11target_archE1201ELNS1_3gpuE5ELNS1_3repE0EEENS1_30default_config_static_selectorELNS0_4arch9wavefront6targetE0EEEvSV_
; %bb.0:
	.section	.rodata,"a",@progbits
	.p2align	6, 0x0
	.amdhsa_kernel _ZN7rocprim17ROCPRIM_400000_NS6detail17trampoline_kernelINS0_14default_configENS1_27lower_bound_config_selectorIflEEZNS1_14transform_implILb0ES3_S5_N6thrust23THRUST_200600_302600_NS6detail15normal_iteratorINS8_7pointerIfNS8_11hip_rocprim3tagENS8_11use_defaultESE_EEEENSA_INSB_IlSD_SE_SE_EEEEZNS1_13binary_searchIS3_S5_NSA_INS8_10device_ptrIfEEEESG_SI_NS1_21lower_bound_search_opENS9_16wrapped_functionINS8_7greaterIfEEbEEEE10hipError_tPvRmT1_T2_T3_mmT4_T5_P12ihipStream_tbEUlRKfE_EESS_SW_SX_mSY_S11_bEUlT_E_NS1_11comp_targetILNS1_3genE10ELNS1_11target_archE1201ELNS1_3gpuE5ELNS1_3repE0EEENS1_30default_config_static_selectorELNS0_4arch9wavefront6targetE0EEEvSV_
		.amdhsa_group_segment_fixed_size 0
		.amdhsa_private_segment_fixed_size 0
		.amdhsa_kernarg_size 56
		.amdhsa_user_sgpr_count 2
		.amdhsa_user_sgpr_dispatch_ptr 0
		.amdhsa_user_sgpr_queue_ptr 0
		.amdhsa_user_sgpr_kernarg_segment_ptr 1
		.amdhsa_user_sgpr_dispatch_id 0
		.amdhsa_user_sgpr_kernarg_preload_length 0
		.amdhsa_user_sgpr_kernarg_preload_offset 0
		.amdhsa_user_sgpr_private_segment_size 0
		.amdhsa_wavefront_size32 1
		.amdhsa_uses_dynamic_stack 0
		.amdhsa_enable_private_segment 0
		.amdhsa_system_sgpr_workgroup_id_x 1
		.amdhsa_system_sgpr_workgroup_id_y 0
		.amdhsa_system_sgpr_workgroup_id_z 0
		.amdhsa_system_sgpr_workgroup_info 0
		.amdhsa_system_vgpr_workitem_id 0
		.amdhsa_next_free_vgpr 1
		.amdhsa_next_free_sgpr 1
		.amdhsa_named_barrier_count 0
		.amdhsa_reserve_vcc 0
		.amdhsa_float_round_mode_32 0
		.amdhsa_float_round_mode_16_64 0
		.amdhsa_float_denorm_mode_32 3
		.amdhsa_float_denorm_mode_16_64 3
		.amdhsa_fp16_overflow 0
		.amdhsa_memory_ordered 1
		.amdhsa_forward_progress 1
		.amdhsa_inst_pref_size 0
		.amdhsa_round_robin_scheduling 0
		.amdhsa_exception_fp_ieee_invalid_op 0
		.amdhsa_exception_fp_denorm_src 0
		.amdhsa_exception_fp_ieee_div_zero 0
		.amdhsa_exception_fp_ieee_overflow 0
		.amdhsa_exception_fp_ieee_underflow 0
		.amdhsa_exception_fp_ieee_inexact 0
		.amdhsa_exception_int_div_zero 0
	.end_amdhsa_kernel
	.section	.text._ZN7rocprim17ROCPRIM_400000_NS6detail17trampoline_kernelINS0_14default_configENS1_27lower_bound_config_selectorIflEEZNS1_14transform_implILb0ES3_S5_N6thrust23THRUST_200600_302600_NS6detail15normal_iteratorINS8_7pointerIfNS8_11hip_rocprim3tagENS8_11use_defaultESE_EEEENSA_INSB_IlSD_SE_SE_EEEEZNS1_13binary_searchIS3_S5_NSA_INS8_10device_ptrIfEEEESG_SI_NS1_21lower_bound_search_opENS9_16wrapped_functionINS8_7greaterIfEEbEEEE10hipError_tPvRmT1_T2_T3_mmT4_T5_P12ihipStream_tbEUlRKfE_EESS_SW_SX_mSY_S11_bEUlT_E_NS1_11comp_targetILNS1_3genE10ELNS1_11target_archE1201ELNS1_3gpuE5ELNS1_3repE0EEENS1_30default_config_static_selectorELNS0_4arch9wavefront6targetE0EEEvSV_,"axG",@progbits,_ZN7rocprim17ROCPRIM_400000_NS6detail17trampoline_kernelINS0_14default_configENS1_27lower_bound_config_selectorIflEEZNS1_14transform_implILb0ES3_S5_N6thrust23THRUST_200600_302600_NS6detail15normal_iteratorINS8_7pointerIfNS8_11hip_rocprim3tagENS8_11use_defaultESE_EEEENSA_INSB_IlSD_SE_SE_EEEEZNS1_13binary_searchIS3_S5_NSA_INS8_10device_ptrIfEEEESG_SI_NS1_21lower_bound_search_opENS9_16wrapped_functionINS8_7greaterIfEEbEEEE10hipError_tPvRmT1_T2_T3_mmT4_T5_P12ihipStream_tbEUlRKfE_EESS_SW_SX_mSY_S11_bEUlT_E_NS1_11comp_targetILNS1_3genE10ELNS1_11target_archE1201ELNS1_3gpuE5ELNS1_3repE0EEENS1_30default_config_static_selectorELNS0_4arch9wavefront6targetE0EEEvSV_,comdat
.Lfunc_end36:
	.size	_ZN7rocprim17ROCPRIM_400000_NS6detail17trampoline_kernelINS0_14default_configENS1_27lower_bound_config_selectorIflEEZNS1_14transform_implILb0ES3_S5_N6thrust23THRUST_200600_302600_NS6detail15normal_iteratorINS8_7pointerIfNS8_11hip_rocprim3tagENS8_11use_defaultESE_EEEENSA_INSB_IlSD_SE_SE_EEEEZNS1_13binary_searchIS3_S5_NSA_INS8_10device_ptrIfEEEESG_SI_NS1_21lower_bound_search_opENS9_16wrapped_functionINS8_7greaterIfEEbEEEE10hipError_tPvRmT1_T2_T3_mmT4_T5_P12ihipStream_tbEUlRKfE_EESS_SW_SX_mSY_S11_bEUlT_E_NS1_11comp_targetILNS1_3genE10ELNS1_11target_archE1201ELNS1_3gpuE5ELNS1_3repE0EEENS1_30default_config_static_selectorELNS0_4arch9wavefront6targetE0EEEvSV_, .Lfunc_end36-_ZN7rocprim17ROCPRIM_400000_NS6detail17trampoline_kernelINS0_14default_configENS1_27lower_bound_config_selectorIflEEZNS1_14transform_implILb0ES3_S5_N6thrust23THRUST_200600_302600_NS6detail15normal_iteratorINS8_7pointerIfNS8_11hip_rocprim3tagENS8_11use_defaultESE_EEEENSA_INSB_IlSD_SE_SE_EEEEZNS1_13binary_searchIS3_S5_NSA_INS8_10device_ptrIfEEEESG_SI_NS1_21lower_bound_search_opENS9_16wrapped_functionINS8_7greaterIfEEbEEEE10hipError_tPvRmT1_T2_T3_mmT4_T5_P12ihipStream_tbEUlRKfE_EESS_SW_SX_mSY_S11_bEUlT_E_NS1_11comp_targetILNS1_3genE10ELNS1_11target_archE1201ELNS1_3gpuE5ELNS1_3repE0EEENS1_30default_config_static_selectorELNS0_4arch9wavefront6targetE0EEEvSV_
                                        ; -- End function
	.set _ZN7rocprim17ROCPRIM_400000_NS6detail17trampoline_kernelINS0_14default_configENS1_27lower_bound_config_selectorIflEEZNS1_14transform_implILb0ES3_S5_N6thrust23THRUST_200600_302600_NS6detail15normal_iteratorINS8_7pointerIfNS8_11hip_rocprim3tagENS8_11use_defaultESE_EEEENSA_INSB_IlSD_SE_SE_EEEEZNS1_13binary_searchIS3_S5_NSA_INS8_10device_ptrIfEEEESG_SI_NS1_21lower_bound_search_opENS9_16wrapped_functionINS8_7greaterIfEEbEEEE10hipError_tPvRmT1_T2_T3_mmT4_T5_P12ihipStream_tbEUlRKfE_EESS_SW_SX_mSY_S11_bEUlT_E_NS1_11comp_targetILNS1_3genE10ELNS1_11target_archE1201ELNS1_3gpuE5ELNS1_3repE0EEENS1_30default_config_static_selectorELNS0_4arch9wavefront6targetE0EEEvSV_.num_vgpr, 0
	.set _ZN7rocprim17ROCPRIM_400000_NS6detail17trampoline_kernelINS0_14default_configENS1_27lower_bound_config_selectorIflEEZNS1_14transform_implILb0ES3_S5_N6thrust23THRUST_200600_302600_NS6detail15normal_iteratorINS8_7pointerIfNS8_11hip_rocprim3tagENS8_11use_defaultESE_EEEENSA_INSB_IlSD_SE_SE_EEEEZNS1_13binary_searchIS3_S5_NSA_INS8_10device_ptrIfEEEESG_SI_NS1_21lower_bound_search_opENS9_16wrapped_functionINS8_7greaterIfEEbEEEE10hipError_tPvRmT1_T2_T3_mmT4_T5_P12ihipStream_tbEUlRKfE_EESS_SW_SX_mSY_S11_bEUlT_E_NS1_11comp_targetILNS1_3genE10ELNS1_11target_archE1201ELNS1_3gpuE5ELNS1_3repE0EEENS1_30default_config_static_selectorELNS0_4arch9wavefront6targetE0EEEvSV_.num_agpr, 0
	.set _ZN7rocprim17ROCPRIM_400000_NS6detail17trampoline_kernelINS0_14default_configENS1_27lower_bound_config_selectorIflEEZNS1_14transform_implILb0ES3_S5_N6thrust23THRUST_200600_302600_NS6detail15normal_iteratorINS8_7pointerIfNS8_11hip_rocprim3tagENS8_11use_defaultESE_EEEENSA_INSB_IlSD_SE_SE_EEEEZNS1_13binary_searchIS3_S5_NSA_INS8_10device_ptrIfEEEESG_SI_NS1_21lower_bound_search_opENS9_16wrapped_functionINS8_7greaterIfEEbEEEE10hipError_tPvRmT1_T2_T3_mmT4_T5_P12ihipStream_tbEUlRKfE_EESS_SW_SX_mSY_S11_bEUlT_E_NS1_11comp_targetILNS1_3genE10ELNS1_11target_archE1201ELNS1_3gpuE5ELNS1_3repE0EEENS1_30default_config_static_selectorELNS0_4arch9wavefront6targetE0EEEvSV_.numbered_sgpr, 0
	.set _ZN7rocprim17ROCPRIM_400000_NS6detail17trampoline_kernelINS0_14default_configENS1_27lower_bound_config_selectorIflEEZNS1_14transform_implILb0ES3_S5_N6thrust23THRUST_200600_302600_NS6detail15normal_iteratorINS8_7pointerIfNS8_11hip_rocprim3tagENS8_11use_defaultESE_EEEENSA_INSB_IlSD_SE_SE_EEEEZNS1_13binary_searchIS3_S5_NSA_INS8_10device_ptrIfEEEESG_SI_NS1_21lower_bound_search_opENS9_16wrapped_functionINS8_7greaterIfEEbEEEE10hipError_tPvRmT1_T2_T3_mmT4_T5_P12ihipStream_tbEUlRKfE_EESS_SW_SX_mSY_S11_bEUlT_E_NS1_11comp_targetILNS1_3genE10ELNS1_11target_archE1201ELNS1_3gpuE5ELNS1_3repE0EEENS1_30default_config_static_selectorELNS0_4arch9wavefront6targetE0EEEvSV_.num_named_barrier, 0
	.set _ZN7rocprim17ROCPRIM_400000_NS6detail17trampoline_kernelINS0_14default_configENS1_27lower_bound_config_selectorIflEEZNS1_14transform_implILb0ES3_S5_N6thrust23THRUST_200600_302600_NS6detail15normal_iteratorINS8_7pointerIfNS8_11hip_rocprim3tagENS8_11use_defaultESE_EEEENSA_INSB_IlSD_SE_SE_EEEEZNS1_13binary_searchIS3_S5_NSA_INS8_10device_ptrIfEEEESG_SI_NS1_21lower_bound_search_opENS9_16wrapped_functionINS8_7greaterIfEEbEEEE10hipError_tPvRmT1_T2_T3_mmT4_T5_P12ihipStream_tbEUlRKfE_EESS_SW_SX_mSY_S11_bEUlT_E_NS1_11comp_targetILNS1_3genE10ELNS1_11target_archE1201ELNS1_3gpuE5ELNS1_3repE0EEENS1_30default_config_static_selectorELNS0_4arch9wavefront6targetE0EEEvSV_.private_seg_size, 0
	.set _ZN7rocprim17ROCPRIM_400000_NS6detail17trampoline_kernelINS0_14default_configENS1_27lower_bound_config_selectorIflEEZNS1_14transform_implILb0ES3_S5_N6thrust23THRUST_200600_302600_NS6detail15normal_iteratorINS8_7pointerIfNS8_11hip_rocprim3tagENS8_11use_defaultESE_EEEENSA_INSB_IlSD_SE_SE_EEEEZNS1_13binary_searchIS3_S5_NSA_INS8_10device_ptrIfEEEESG_SI_NS1_21lower_bound_search_opENS9_16wrapped_functionINS8_7greaterIfEEbEEEE10hipError_tPvRmT1_T2_T3_mmT4_T5_P12ihipStream_tbEUlRKfE_EESS_SW_SX_mSY_S11_bEUlT_E_NS1_11comp_targetILNS1_3genE10ELNS1_11target_archE1201ELNS1_3gpuE5ELNS1_3repE0EEENS1_30default_config_static_selectorELNS0_4arch9wavefront6targetE0EEEvSV_.uses_vcc, 0
	.set _ZN7rocprim17ROCPRIM_400000_NS6detail17trampoline_kernelINS0_14default_configENS1_27lower_bound_config_selectorIflEEZNS1_14transform_implILb0ES3_S5_N6thrust23THRUST_200600_302600_NS6detail15normal_iteratorINS8_7pointerIfNS8_11hip_rocprim3tagENS8_11use_defaultESE_EEEENSA_INSB_IlSD_SE_SE_EEEEZNS1_13binary_searchIS3_S5_NSA_INS8_10device_ptrIfEEEESG_SI_NS1_21lower_bound_search_opENS9_16wrapped_functionINS8_7greaterIfEEbEEEE10hipError_tPvRmT1_T2_T3_mmT4_T5_P12ihipStream_tbEUlRKfE_EESS_SW_SX_mSY_S11_bEUlT_E_NS1_11comp_targetILNS1_3genE10ELNS1_11target_archE1201ELNS1_3gpuE5ELNS1_3repE0EEENS1_30default_config_static_selectorELNS0_4arch9wavefront6targetE0EEEvSV_.uses_flat_scratch, 0
	.set _ZN7rocprim17ROCPRIM_400000_NS6detail17trampoline_kernelINS0_14default_configENS1_27lower_bound_config_selectorIflEEZNS1_14transform_implILb0ES3_S5_N6thrust23THRUST_200600_302600_NS6detail15normal_iteratorINS8_7pointerIfNS8_11hip_rocprim3tagENS8_11use_defaultESE_EEEENSA_INSB_IlSD_SE_SE_EEEEZNS1_13binary_searchIS3_S5_NSA_INS8_10device_ptrIfEEEESG_SI_NS1_21lower_bound_search_opENS9_16wrapped_functionINS8_7greaterIfEEbEEEE10hipError_tPvRmT1_T2_T3_mmT4_T5_P12ihipStream_tbEUlRKfE_EESS_SW_SX_mSY_S11_bEUlT_E_NS1_11comp_targetILNS1_3genE10ELNS1_11target_archE1201ELNS1_3gpuE5ELNS1_3repE0EEENS1_30default_config_static_selectorELNS0_4arch9wavefront6targetE0EEEvSV_.has_dyn_sized_stack, 0
	.set _ZN7rocprim17ROCPRIM_400000_NS6detail17trampoline_kernelINS0_14default_configENS1_27lower_bound_config_selectorIflEEZNS1_14transform_implILb0ES3_S5_N6thrust23THRUST_200600_302600_NS6detail15normal_iteratorINS8_7pointerIfNS8_11hip_rocprim3tagENS8_11use_defaultESE_EEEENSA_INSB_IlSD_SE_SE_EEEEZNS1_13binary_searchIS3_S5_NSA_INS8_10device_ptrIfEEEESG_SI_NS1_21lower_bound_search_opENS9_16wrapped_functionINS8_7greaterIfEEbEEEE10hipError_tPvRmT1_T2_T3_mmT4_T5_P12ihipStream_tbEUlRKfE_EESS_SW_SX_mSY_S11_bEUlT_E_NS1_11comp_targetILNS1_3genE10ELNS1_11target_archE1201ELNS1_3gpuE5ELNS1_3repE0EEENS1_30default_config_static_selectorELNS0_4arch9wavefront6targetE0EEEvSV_.has_recursion, 0
	.set _ZN7rocprim17ROCPRIM_400000_NS6detail17trampoline_kernelINS0_14default_configENS1_27lower_bound_config_selectorIflEEZNS1_14transform_implILb0ES3_S5_N6thrust23THRUST_200600_302600_NS6detail15normal_iteratorINS8_7pointerIfNS8_11hip_rocprim3tagENS8_11use_defaultESE_EEEENSA_INSB_IlSD_SE_SE_EEEEZNS1_13binary_searchIS3_S5_NSA_INS8_10device_ptrIfEEEESG_SI_NS1_21lower_bound_search_opENS9_16wrapped_functionINS8_7greaterIfEEbEEEE10hipError_tPvRmT1_T2_T3_mmT4_T5_P12ihipStream_tbEUlRKfE_EESS_SW_SX_mSY_S11_bEUlT_E_NS1_11comp_targetILNS1_3genE10ELNS1_11target_archE1201ELNS1_3gpuE5ELNS1_3repE0EEENS1_30default_config_static_selectorELNS0_4arch9wavefront6targetE0EEEvSV_.has_indirect_call, 0
	.section	.AMDGPU.csdata,"",@progbits
; Kernel info:
; codeLenInByte = 0
; TotalNumSgprs: 0
; NumVgprs: 0
; ScratchSize: 0
; MemoryBound: 0
; FloatMode: 240
; IeeeMode: 1
; LDSByteSize: 0 bytes/workgroup (compile time only)
; SGPRBlocks: 0
; VGPRBlocks: 0
; NumSGPRsForWavesPerEU: 1
; NumVGPRsForWavesPerEU: 1
; NamedBarCnt: 0
; Occupancy: 16
; WaveLimiterHint : 0
; COMPUTE_PGM_RSRC2:SCRATCH_EN: 0
; COMPUTE_PGM_RSRC2:USER_SGPR: 2
; COMPUTE_PGM_RSRC2:TRAP_HANDLER: 0
; COMPUTE_PGM_RSRC2:TGID_X_EN: 1
; COMPUTE_PGM_RSRC2:TGID_Y_EN: 0
; COMPUTE_PGM_RSRC2:TGID_Z_EN: 0
; COMPUTE_PGM_RSRC2:TIDIG_COMP_CNT: 0
	.section	.text._ZN7rocprim17ROCPRIM_400000_NS6detail17trampoline_kernelINS0_14default_configENS1_27lower_bound_config_selectorIflEEZNS1_14transform_implILb0ES3_S5_N6thrust23THRUST_200600_302600_NS6detail15normal_iteratorINS8_7pointerIfNS8_11hip_rocprim3tagENS8_11use_defaultESE_EEEENSA_INSB_IlSD_SE_SE_EEEEZNS1_13binary_searchIS3_S5_NSA_INS8_10device_ptrIfEEEESG_SI_NS1_21lower_bound_search_opENS9_16wrapped_functionINS8_7greaterIfEEbEEEE10hipError_tPvRmT1_T2_T3_mmT4_T5_P12ihipStream_tbEUlRKfE_EESS_SW_SX_mSY_S11_bEUlT_E_NS1_11comp_targetILNS1_3genE10ELNS1_11target_archE1200ELNS1_3gpuE4ELNS1_3repE0EEENS1_30default_config_static_selectorELNS0_4arch9wavefront6targetE0EEEvSV_,"axG",@progbits,_ZN7rocprim17ROCPRIM_400000_NS6detail17trampoline_kernelINS0_14default_configENS1_27lower_bound_config_selectorIflEEZNS1_14transform_implILb0ES3_S5_N6thrust23THRUST_200600_302600_NS6detail15normal_iteratorINS8_7pointerIfNS8_11hip_rocprim3tagENS8_11use_defaultESE_EEEENSA_INSB_IlSD_SE_SE_EEEEZNS1_13binary_searchIS3_S5_NSA_INS8_10device_ptrIfEEEESG_SI_NS1_21lower_bound_search_opENS9_16wrapped_functionINS8_7greaterIfEEbEEEE10hipError_tPvRmT1_T2_T3_mmT4_T5_P12ihipStream_tbEUlRKfE_EESS_SW_SX_mSY_S11_bEUlT_E_NS1_11comp_targetILNS1_3genE10ELNS1_11target_archE1200ELNS1_3gpuE4ELNS1_3repE0EEENS1_30default_config_static_selectorELNS0_4arch9wavefront6targetE0EEEvSV_,comdat
	.protected	_ZN7rocprim17ROCPRIM_400000_NS6detail17trampoline_kernelINS0_14default_configENS1_27lower_bound_config_selectorIflEEZNS1_14transform_implILb0ES3_S5_N6thrust23THRUST_200600_302600_NS6detail15normal_iteratorINS8_7pointerIfNS8_11hip_rocprim3tagENS8_11use_defaultESE_EEEENSA_INSB_IlSD_SE_SE_EEEEZNS1_13binary_searchIS3_S5_NSA_INS8_10device_ptrIfEEEESG_SI_NS1_21lower_bound_search_opENS9_16wrapped_functionINS8_7greaterIfEEbEEEE10hipError_tPvRmT1_T2_T3_mmT4_T5_P12ihipStream_tbEUlRKfE_EESS_SW_SX_mSY_S11_bEUlT_E_NS1_11comp_targetILNS1_3genE10ELNS1_11target_archE1200ELNS1_3gpuE4ELNS1_3repE0EEENS1_30default_config_static_selectorELNS0_4arch9wavefront6targetE0EEEvSV_ ; -- Begin function _ZN7rocprim17ROCPRIM_400000_NS6detail17trampoline_kernelINS0_14default_configENS1_27lower_bound_config_selectorIflEEZNS1_14transform_implILb0ES3_S5_N6thrust23THRUST_200600_302600_NS6detail15normal_iteratorINS8_7pointerIfNS8_11hip_rocprim3tagENS8_11use_defaultESE_EEEENSA_INSB_IlSD_SE_SE_EEEEZNS1_13binary_searchIS3_S5_NSA_INS8_10device_ptrIfEEEESG_SI_NS1_21lower_bound_search_opENS9_16wrapped_functionINS8_7greaterIfEEbEEEE10hipError_tPvRmT1_T2_T3_mmT4_T5_P12ihipStream_tbEUlRKfE_EESS_SW_SX_mSY_S11_bEUlT_E_NS1_11comp_targetILNS1_3genE10ELNS1_11target_archE1200ELNS1_3gpuE4ELNS1_3repE0EEENS1_30default_config_static_selectorELNS0_4arch9wavefront6targetE0EEEvSV_
	.globl	_ZN7rocprim17ROCPRIM_400000_NS6detail17trampoline_kernelINS0_14default_configENS1_27lower_bound_config_selectorIflEEZNS1_14transform_implILb0ES3_S5_N6thrust23THRUST_200600_302600_NS6detail15normal_iteratorINS8_7pointerIfNS8_11hip_rocprim3tagENS8_11use_defaultESE_EEEENSA_INSB_IlSD_SE_SE_EEEEZNS1_13binary_searchIS3_S5_NSA_INS8_10device_ptrIfEEEESG_SI_NS1_21lower_bound_search_opENS9_16wrapped_functionINS8_7greaterIfEEbEEEE10hipError_tPvRmT1_T2_T3_mmT4_T5_P12ihipStream_tbEUlRKfE_EESS_SW_SX_mSY_S11_bEUlT_E_NS1_11comp_targetILNS1_3genE10ELNS1_11target_archE1200ELNS1_3gpuE4ELNS1_3repE0EEENS1_30default_config_static_selectorELNS0_4arch9wavefront6targetE0EEEvSV_
	.p2align	8
	.type	_ZN7rocprim17ROCPRIM_400000_NS6detail17trampoline_kernelINS0_14default_configENS1_27lower_bound_config_selectorIflEEZNS1_14transform_implILb0ES3_S5_N6thrust23THRUST_200600_302600_NS6detail15normal_iteratorINS8_7pointerIfNS8_11hip_rocprim3tagENS8_11use_defaultESE_EEEENSA_INSB_IlSD_SE_SE_EEEEZNS1_13binary_searchIS3_S5_NSA_INS8_10device_ptrIfEEEESG_SI_NS1_21lower_bound_search_opENS9_16wrapped_functionINS8_7greaterIfEEbEEEE10hipError_tPvRmT1_T2_T3_mmT4_T5_P12ihipStream_tbEUlRKfE_EESS_SW_SX_mSY_S11_bEUlT_E_NS1_11comp_targetILNS1_3genE10ELNS1_11target_archE1200ELNS1_3gpuE4ELNS1_3repE0EEENS1_30default_config_static_selectorELNS0_4arch9wavefront6targetE0EEEvSV_,@function
_ZN7rocprim17ROCPRIM_400000_NS6detail17trampoline_kernelINS0_14default_configENS1_27lower_bound_config_selectorIflEEZNS1_14transform_implILb0ES3_S5_N6thrust23THRUST_200600_302600_NS6detail15normal_iteratorINS8_7pointerIfNS8_11hip_rocprim3tagENS8_11use_defaultESE_EEEENSA_INSB_IlSD_SE_SE_EEEEZNS1_13binary_searchIS3_S5_NSA_INS8_10device_ptrIfEEEESG_SI_NS1_21lower_bound_search_opENS9_16wrapped_functionINS8_7greaterIfEEbEEEE10hipError_tPvRmT1_T2_T3_mmT4_T5_P12ihipStream_tbEUlRKfE_EESS_SW_SX_mSY_S11_bEUlT_E_NS1_11comp_targetILNS1_3genE10ELNS1_11target_archE1200ELNS1_3gpuE4ELNS1_3repE0EEENS1_30default_config_static_selectorELNS0_4arch9wavefront6targetE0EEEvSV_: ; @_ZN7rocprim17ROCPRIM_400000_NS6detail17trampoline_kernelINS0_14default_configENS1_27lower_bound_config_selectorIflEEZNS1_14transform_implILb0ES3_S5_N6thrust23THRUST_200600_302600_NS6detail15normal_iteratorINS8_7pointerIfNS8_11hip_rocprim3tagENS8_11use_defaultESE_EEEENSA_INSB_IlSD_SE_SE_EEEEZNS1_13binary_searchIS3_S5_NSA_INS8_10device_ptrIfEEEESG_SI_NS1_21lower_bound_search_opENS9_16wrapped_functionINS8_7greaterIfEEbEEEE10hipError_tPvRmT1_T2_T3_mmT4_T5_P12ihipStream_tbEUlRKfE_EESS_SW_SX_mSY_S11_bEUlT_E_NS1_11comp_targetILNS1_3genE10ELNS1_11target_archE1200ELNS1_3gpuE4ELNS1_3repE0EEENS1_30default_config_static_selectorELNS0_4arch9wavefront6targetE0EEEvSV_
; %bb.0:
	.section	.rodata,"a",@progbits
	.p2align	6, 0x0
	.amdhsa_kernel _ZN7rocprim17ROCPRIM_400000_NS6detail17trampoline_kernelINS0_14default_configENS1_27lower_bound_config_selectorIflEEZNS1_14transform_implILb0ES3_S5_N6thrust23THRUST_200600_302600_NS6detail15normal_iteratorINS8_7pointerIfNS8_11hip_rocprim3tagENS8_11use_defaultESE_EEEENSA_INSB_IlSD_SE_SE_EEEEZNS1_13binary_searchIS3_S5_NSA_INS8_10device_ptrIfEEEESG_SI_NS1_21lower_bound_search_opENS9_16wrapped_functionINS8_7greaterIfEEbEEEE10hipError_tPvRmT1_T2_T3_mmT4_T5_P12ihipStream_tbEUlRKfE_EESS_SW_SX_mSY_S11_bEUlT_E_NS1_11comp_targetILNS1_3genE10ELNS1_11target_archE1200ELNS1_3gpuE4ELNS1_3repE0EEENS1_30default_config_static_selectorELNS0_4arch9wavefront6targetE0EEEvSV_
		.amdhsa_group_segment_fixed_size 0
		.amdhsa_private_segment_fixed_size 0
		.amdhsa_kernarg_size 56
		.amdhsa_user_sgpr_count 2
		.amdhsa_user_sgpr_dispatch_ptr 0
		.amdhsa_user_sgpr_queue_ptr 0
		.amdhsa_user_sgpr_kernarg_segment_ptr 1
		.amdhsa_user_sgpr_dispatch_id 0
		.amdhsa_user_sgpr_kernarg_preload_length 0
		.amdhsa_user_sgpr_kernarg_preload_offset 0
		.amdhsa_user_sgpr_private_segment_size 0
		.amdhsa_wavefront_size32 1
		.amdhsa_uses_dynamic_stack 0
		.amdhsa_enable_private_segment 0
		.amdhsa_system_sgpr_workgroup_id_x 1
		.amdhsa_system_sgpr_workgroup_id_y 0
		.amdhsa_system_sgpr_workgroup_id_z 0
		.amdhsa_system_sgpr_workgroup_info 0
		.amdhsa_system_vgpr_workitem_id 0
		.amdhsa_next_free_vgpr 1
		.amdhsa_next_free_sgpr 1
		.amdhsa_named_barrier_count 0
		.amdhsa_reserve_vcc 0
		.amdhsa_float_round_mode_32 0
		.amdhsa_float_round_mode_16_64 0
		.amdhsa_float_denorm_mode_32 3
		.amdhsa_float_denorm_mode_16_64 3
		.amdhsa_fp16_overflow 0
		.amdhsa_memory_ordered 1
		.amdhsa_forward_progress 1
		.amdhsa_inst_pref_size 0
		.amdhsa_round_robin_scheduling 0
		.amdhsa_exception_fp_ieee_invalid_op 0
		.amdhsa_exception_fp_denorm_src 0
		.amdhsa_exception_fp_ieee_div_zero 0
		.amdhsa_exception_fp_ieee_overflow 0
		.amdhsa_exception_fp_ieee_underflow 0
		.amdhsa_exception_fp_ieee_inexact 0
		.amdhsa_exception_int_div_zero 0
	.end_amdhsa_kernel
	.section	.text._ZN7rocprim17ROCPRIM_400000_NS6detail17trampoline_kernelINS0_14default_configENS1_27lower_bound_config_selectorIflEEZNS1_14transform_implILb0ES3_S5_N6thrust23THRUST_200600_302600_NS6detail15normal_iteratorINS8_7pointerIfNS8_11hip_rocprim3tagENS8_11use_defaultESE_EEEENSA_INSB_IlSD_SE_SE_EEEEZNS1_13binary_searchIS3_S5_NSA_INS8_10device_ptrIfEEEESG_SI_NS1_21lower_bound_search_opENS9_16wrapped_functionINS8_7greaterIfEEbEEEE10hipError_tPvRmT1_T2_T3_mmT4_T5_P12ihipStream_tbEUlRKfE_EESS_SW_SX_mSY_S11_bEUlT_E_NS1_11comp_targetILNS1_3genE10ELNS1_11target_archE1200ELNS1_3gpuE4ELNS1_3repE0EEENS1_30default_config_static_selectorELNS0_4arch9wavefront6targetE0EEEvSV_,"axG",@progbits,_ZN7rocprim17ROCPRIM_400000_NS6detail17trampoline_kernelINS0_14default_configENS1_27lower_bound_config_selectorIflEEZNS1_14transform_implILb0ES3_S5_N6thrust23THRUST_200600_302600_NS6detail15normal_iteratorINS8_7pointerIfNS8_11hip_rocprim3tagENS8_11use_defaultESE_EEEENSA_INSB_IlSD_SE_SE_EEEEZNS1_13binary_searchIS3_S5_NSA_INS8_10device_ptrIfEEEESG_SI_NS1_21lower_bound_search_opENS9_16wrapped_functionINS8_7greaterIfEEbEEEE10hipError_tPvRmT1_T2_T3_mmT4_T5_P12ihipStream_tbEUlRKfE_EESS_SW_SX_mSY_S11_bEUlT_E_NS1_11comp_targetILNS1_3genE10ELNS1_11target_archE1200ELNS1_3gpuE4ELNS1_3repE0EEENS1_30default_config_static_selectorELNS0_4arch9wavefront6targetE0EEEvSV_,comdat
.Lfunc_end37:
	.size	_ZN7rocprim17ROCPRIM_400000_NS6detail17trampoline_kernelINS0_14default_configENS1_27lower_bound_config_selectorIflEEZNS1_14transform_implILb0ES3_S5_N6thrust23THRUST_200600_302600_NS6detail15normal_iteratorINS8_7pointerIfNS8_11hip_rocprim3tagENS8_11use_defaultESE_EEEENSA_INSB_IlSD_SE_SE_EEEEZNS1_13binary_searchIS3_S5_NSA_INS8_10device_ptrIfEEEESG_SI_NS1_21lower_bound_search_opENS9_16wrapped_functionINS8_7greaterIfEEbEEEE10hipError_tPvRmT1_T2_T3_mmT4_T5_P12ihipStream_tbEUlRKfE_EESS_SW_SX_mSY_S11_bEUlT_E_NS1_11comp_targetILNS1_3genE10ELNS1_11target_archE1200ELNS1_3gpuE4ELNS1_3repE0EEENS1_30default_config_static_selectorELNS0_4arch9wavefront6targetE0EEEvSV_, .Lfunc_end37-_ZN7rocprim17ROCPRIM_400000_NS6detail17trampoline_kernelINS0_14default_configENS1_27lower_bound_config_selectorIflEEZNS1_14transform_implILb0ES3_S5_N6thrust23THRUST_200600_302600_NS6detail15normal_iteratorINS8_7pointerIfNS8_11hip_rocprim3tagENS8_11use_defaultESE_EEEENSA_INSB_IlSD_SE_SE_EEEEZNS1_13binary_searchIS3_S5_NSA_INS8_10device_ptrIfEEEESG_SI_NS1_21lower_bound_search_opENS9_16wrapped_functionINS8_7greaterIfEEbEEEE10hipError_tPvRmT1_T2_T3_mmT4_T5_P12ihipStream_tbEUlRKfE_EESS_SW_SX_mSY_S11_bEUlT_E_NS1_11comp_targetILNS1_3genE10ELNS1_11target_archE1200ELNS1_3gpuE4ELNS1_3repE0EEENS1_30default_config_static_selectorELNS0_4arch9wavefront6targetE0EEEvSV_
                                        ; -- End function
	.set _ZN7rocprim17ROCPRIM_400000_NS6detail17trampoline_kernelINS0_14default_configENS1_27lower_bound_config_selectorIflEEZNS1_14transform_implILb0ES3_S5_N6thrust23THRUST_200600_302600_NS6detail15normal_iteratorINS8_7pointerIfNS8_11hip_rocprim3tagENS8_11use_defaultESE_EEEENSA_INSB_IlSD_SE_SE_EEEEZNS1_13binary_searchIS3_S5_NSA_INS8_10device_ptrIfEEEESG_SI_NS1_21lower_bound_search_opENS9_16wrapped_functionINS8_7greaterIfEEbEEEE10hipError_tPvRmT1_T2_T3_mmT4_T5_P12ihipStream_tbEUlRKfE_EESS_SW_SX_mSY_S11_bEUlT_E_NS1_11comp_targetILNS1_3genE10ELNS1_11target_archE1200ELNS1_3gpuE4ELNS1_3repE0EEENS1_30default_config_static_selectorELNS0_4arch9wavefront6targetE0EEEvSV_.num_vgpr, 0
	.set _ZN7rocprim17ROCPRIM_400000_NS6detail17trampoline_kernelINS0_14default_configENS1_27lower_bound_config_selectorIflEEZNS1_14transform_implILb0ES3_S5_N6thrust23THRUST_200600_302600_NS6detail15normal_iteratorINS8_7pointerIfNS8_11hip_rocprim3tagENS8_11use_defaultESE_EEEENSA_INSB_IlSD_SE_SE_EEEEZNS1_13binary_searchIS3_S5_NSA_INS8_10device_ptrIfEEEESG_SI_NS1_21lower_bound_search_opENS9_16wrapped_functionINS8_7greaterIfEEbEEEE10hipError_tPvRmT1_T2_T3_mmT4_T5_P12ihipStream_tbEUlRKfE_EESS_SW_SX_mSY_S11_bEUlT_E_NS1_11comp_targetILNS1_3genE10ELNS1_11target_archE1200ELNS1_3gpuE4ELNS1_3repE0EEENS1_30default_config_static_selectorELNS0_4arch9wavefront6targetE0EEEvSV_.num_agpr, 0
	.set _ZN7rocprim17ROCPRIM_400000_NS6detail17trampoline_kernelINS0_14default_configENS1_27lower_bound_config_selectorIflEEZNS1_14transform_implILb0ES3_S5_N6thrust23THRUST_200600_302600_NS6detail15normal_iteratorINS8_7pointerIfNS8_11hip_rocprim3tagENS8_11use_defaultESE_EEEENSA_INSB_IlSD_SE_SE_EEEEZNS1_13binary_searchIS3_S5_NSA_INS8_10device_ptrIfEEEESG_SI_NS1_21lower_bound_search_opENS9_16wrapped_functionINS8_7greaterIfEEbEEEE10hipError_tPvRmT1_T2_T3_mmT4_T5_P12ihipStream_tbEUlRKfE_EESS_SW_SX_mSY_S11_bEUlT_E_NS1_11comp_targetILNS1_3genE10ELNS1_11target_archE1200ELNS1_3gpuE4ELNS1_3repE0EEENS1_30default_config_static_selectorELNS0_4arch9wavefront6targetE0EEEvSV_.numbered_sgpr, 0
	.set _ZN7rocprim17ROCPRIM_400000_NS6detail17trampoline_kernelINS0_14default_configENS1_27lower_bound_config_selectorIflEEZNS1_14transform_implILb0ES3_S5_N6thrust23THRUST_200600_302600_NS6detail15normal_iteratorINS8_7pointerIfNS8_11hip_rocprim3tagENS8_11use_defaultESE_EEEENSA_INSB_IlSD_SE_SE_EEEEZNS1_13binary_searchIS3_S5_NSA_INS8_10device_ptrIfEEEESG_SI_NS1_21lower_bound_search_opENS9_16wrapped_functionINS8_7greaterIfEEbEEEE10hipError_tPvRmT1_T2_T3_mmT4_T5_P12ihipStream_tbEUlRKfE_EESS_SW_SX_mSY_S11_bEUlT_E_NS1_11comp_targetILNS1_3genE10ELNS1_11target_archE1200ELNS1_3gpuE4ELNS1_3repE0EEENS1_30default_config_static_selectorELNS0_4arch9wavefront6targetE0EEEvSV_.num_named_barrier, 0
	.set _ZN7rocprim17ROCPRIM_400000_NS6detail17trampoline_kernelINS0_14default_configENS1_27lower_bound_config_selectorIflEEZNS1_14transform_implILb0ES3_S5_N6thrust23THRUST_200600_302600_NS6detail15normal_iteratorINS8_7pointerIfNS8_11hip_rocprim3tagENS8_11use_defaultESE_EEEENSA_INSB_IlSD_SE_SE_EEEEZNS1_13binary_searchIS3_S5_NSA_INS8_10device_ptrIfEEEESG_SI_NS1_21lower_bound_search_opENS9_16wrapped_functionINS8_7greaterIfEEbEEEE10hipError_tPvRmT1_T2_T3_mmT4_T5_P12ihipStream_tbEUlRKfE_EESS_SW_SX_mSY_S11_bEUlT_E_NS1_11comp_targetILNS1_3genE10ELNS1_11target_archE1200ELNS1_3gpuE4ELNS1_3repE0EEENS1_30default_config_static_selectorELNS0_4arch9wavefront6targetE0EEEvSV_.private_seg_size, 0
	.set _ZN7rocprim17ROCPRIM_400000_NS6detail17trampoline_kernelINS0_14default_configENS1_27lower_bound_config_selectorIflEEZNS1_14transform_implILb0ES3_S5_N6thrust23THRUST_200600_302600_NS6detail15normal_iteratorINS8_7pointerIfNS8_11hip_rocprim3tagENS8_11use_defaultESE_EEEENSA_INSB_IlSD_SE_SE_EEEEZNS1_13binary_searchIS3_S5_NSA_INS8_10device_ptrIfEEEESG_SI_NS1_21lower_bound_search_opENS9_16wrapped_functionINS8_7greaterIfEEbEEEE10hipError_tPvRmT1_T2_T3_mmT4_T5_P12ihipStream_tbEUlRKfE_EESS_SW_SX_mSY_S11_bEUlT_E_NS1_11comp_targetILNS1_3genE10ELNS1_11target_archE1200ELNS1_3gpuE4ELNS1_3repE0EEENS1_30default_config_static_selectorELNS0_4arch9wavefront6targetE0EEEvSV_.uses_vcc, 0
	.set _ZN7rocprim17ROCPRIM_400000_NS6detail17trampoline_kernelINS0_14default_configENS1_27lower_bound_config_selectorIflEEZNS1_14transform_implILb0ES3_S5_N6thrust23THRUST_200600_302600_NS6detail15normal_iteratorINS8_7pointerIfNS8_11hip_rocprim3tagENS8_11use_defaultESE_EEEENSA_INSB_IlSD_SE_SE_EEEEZNS1_13binary_searchIS3_S5_NSA_INS8_10device_ptrIfEEEESG_SI_NS1_21lower_bound_search_opENS9_16wrapped_functionINS8_7greaterIfEEbEEEE10hipError_tPvRmT1_T2_T3_mmT4_T5_P12ihipStream_tbEUlRKfE_EESS_SW_SX_mSY_S11_bEUlT_E_NS1_11comp_targetILNS1_3genE10ELNS1_11target_archE1200ELNS1_3gpuE4ELNS1_3repE0EEENS1_30default_config_static_selectorELNS0_4arch9wavefront6targetE0EEEvSV_.uses_flat_scratch, 0
	.set _ZN7rocprim17ROCPRIM_400000_NS6detail17trampoline_kernelINS0_14default_configENS1_27lower_bound_config_selectorIflEEZNS1_14transform_implILb0ES3_S5_N6thrust23THRUST_200600_302600_NS6detail15normal_iteratorINS8_7pointerIfNS8_11hip_rocprim3tagENS8_11use_defaultESE_EEEENSA_INSB_IlSD_SE_SE_EEEEZNS1_13binary_searchIS3_S5_NSA_INS8_10device_ptrIfEEEESG_SI_NS1_21lower_bound_search_opENS9_16wrapped_functionINS8_7greaterIfEEbEEEE10hipError_tPvRmT1_T2_T3_mmT4_T5_P12ihipStream_tbEUlRKfE_EESS_SW_SX_mSY_S11_bEUlT_E_NS1_11comp_targetILNS1_3genE10ELNS1_11target_archE1200ELNS1_3gpuE4ELNS1_3repE0EEENS1_30default_config_static_selectorELNS0_4arch9wavefront6targetE0EEEvSV_.has_dyn_sized_stack, 0
	.set _ZN7rocprim17ROCPRIM_400000_NS6detail17trampoline_kernelINS0_14default_configENS1_27lower_bound_config_selectorIflEEZNS1_14transform_implILb0ES3_S5_N6thrust23THRUST_200600_302600_NS6detail15normal_iteratorINS8_7pointerIfNS8_11hip_rocprim3tagENS8_11use_defaultESE_EEEENSA_INSB_IlSD_SE_SE_EEEEZNS1_13binary_searchIS3_S5_NSA_INS8_10device_ptrIfEEEESG_SI_NS1_21lower_bound_search_opENS9_16wrapped_functionINS8_7greaterIfEEbEEEE10hipError_tPvRmT1_T2_T3_mmT4_T5_P12ihipStream_tbEUlRKfE_EESS_SW_SX_mSY_S11_bEUlT_E_NS1_11comp_targetILNS1_3genE10ELNS1_11target_archE1200ELNS1_3gpuE4ELNS1_3repE0EEENS1_30default_config_static_selectorELNS0_4arch9wavefront6targetE0EEEvSV_.has_recursion, 0
	.set _ZN7rocprim17ROCPRIM_400000_NS6detail17trampoline_kernelINS0_14default_configENS1_27lower_bound_config_selectorIflEEZNS1_14transform_implILb0ES3_S5_N6thrust23THRUST_200600_302600_NS6detail15normal_iteratorINS8_7pointerIfNS8_11hip_rocprim3tagENS8_11use_defaultESE_EEEENSA_INSB_IlSD_SE_SE_EEEEZNS1_13binary_searchIS3_S5_NSA_INS8_10device_ptrIfEEEESG_SI_NS1_21lower_bound_search_opENS9_16wrapped_functionINS8_7greaterIfEEbEEEE10hipError_tPvRmT1_T2_T3_mmT4_T5_P12ihipStream_tbEUlRKfE_EESS_SW_SX_mSY_S11_bEUlT_E_NS1_11comp_targetILNS1_3genE10ELNS1_11target_archE1200ELNS1_3gpuE4ELNS1_3repE0EEENS1_30default_config_static_selectorELNS0_4arch9wavefront6targetE0EEEvSV_.has_indirect_call, 0
	.section	.AMDGPU.csdata,"",@progbits
; Kernel info:
; codeLenInByte = 0
; TotalNumSgprs: 0
; NumVgprs: 0
; ScratchSize: 0
; MemoryBound: 0
; FloatMode: 240
; IeeeMode: 1
; LDSByteSize: 0 bytes/workgroup (compile time only)
; SGPRBlocks: 0
; VGPRBlocks: 0
; NumSGPRsForWavesPerEU: 1
; NumVGPRsForWavesPerEU: 1
; NamedBarCnt: 0
; Occupancy: 16
; WaveLimiterHint : 0
; COMPUTE_PGM_RSRC2:SCRATCH_EN: 0
; COMPUTE_PGM_RSRC2:USER_SGPR: 2
; COMPUTE_PGM_RSRC2:TRAP_HANDLER: 0
; COMPUTE_PGM_RSRC2:TGID_X_EN: 1
; COMPUTE_PGM_RSRC2:TGID_Y_EN: 0
; COMPUTE_PGM_RSRC2:TGID_Z_EN: 0
; COMPUTE_PGM_RSRC2:TIDIG_COMP_CNT: 0
	.section	.text._ZN7rocprim17ROCPRIM_400000_NS6detail17trampoline_kernelINS0_14default_configENS1_27lower_bound_config_selectorIflEEZNS1_14transform_implILb0ES3_S5_N6thrust23THRUST_200600_302600_NS6detail15normal_iteratorINS8_7pointerIfNS8_11hip_rocprim3tagENS8_11use_defaultESE_EEEENSA_INSB_IlSD_SE_SE_EEEEZNS1_13binary_searchIS3_S5_NSA_INS8_10device_ptrIfEEEESG_SI_NS1_21lower_bound_search_opENS9_16wrapped_functionINS8_7greaterIfEEbEEEE10hipError_tPvRmT1_T2_T3_mmT4_T5_P12ihipStream_tbEUlRKfE_EESS_SW_SX_mSY_S11_bEUlT_E_NS1_11comp_targetILNS1_3genE9ELNS1_11target_archE1100ELNS1_3gpuE3ELNS1_3repE0EEENS1_30default_config_static_selectorELNS0_4arch9wavefront6targetE0EEEvSV_,"axG",@progbits,_ZN7rocprim17ROCPRIM_400000_NS6detail17trampoline_kernelINS0_14default_configENS1_27lower_bound_config_selectorIflEEZNS1_14transform_implILb0ES3_S5_N6thrust23THRUST_200600_302600_NS6detail15normal_iteratorINS8_7pointerIfNS8_11hip_rocprim3tagENS8_11use_defaultESE_EEEENSA_INSB_IlSD_SE_SE_EEEEZNS1_13binary_searchIS3_S5_NSA_INS8_10device_ptrIfEEEESG_SI_NS1_21lower_bound_search_opENS9_16wrapped_functionINS8_7greaterIfEEbEEEE10hipError_tPvRmT1_T2_T3_mmT4_T5_P12ihipStream_tbEUlRKfE_EESS_SW_SX_mSY_S11_bEUlT_E_NS1_11comp_targetILNS1_3genE9ELNS1_11target_archE1100ELNS1_3gpuE3ELNS1_3repE0EEENS1_30default_config_static_selectorELNS0_4arch9wavefront6targetE0EEEvSV_,comdat
	.protected	_ZN7rocprim17ROCPRIM_400000_NS6detail17trampoline_kernelINS0_14default_configENS1_27lower_bound_config_selectorIflEEZNS1_14transform_implILb0ES3_S5_N6thrust23THRUST_200600_302600_NS6detail15normal_iteratorINS8_7pointerIfNS8_11hip_rocprim3tagENS8_11use_defaultESE_EEEENSA_INSB_IlSD_SE_SE_EEEEZNS1_13binary_searchIS3_S5_NSA_INS8_10device_ptrIfEEEESG_SI_NS1_21lower_bound_search_opENS9_16wrapped_functionINS8_7greaterIfEEbEEEE10hipError_tPvRmT1_T2_T3_mmT4_T5_P12ihipStream_tbEUlRKfE_EESS_SW_SX_mSY_S11_bEUlT_E_NS1_11comp_targetILNS1_3genE9ELNS1_11target_archE1100ELNS1_3gpuE3ELNS1_3repE0EEENS1_30default_config_static_selectorELNS0_4arch9wavefront6targetE0EEEvSV_ ; -- Begin function _ZN7rocprim17ROCPRIM_400000_NS6detail17trampoline_kernelINS0_14default_configENS1_27lower_bound_config_selectorIflEEZNS1_14transform_implILb0ES3_S5_N6thrust23THRUST_200600_302600_NS6detail15normal_iteratorINS8_7pointerIfNS8_11hip_rocprim3tagENS8_11use_defaultESE_EEEENSA_INSB_IlSD_SE_SE_EEEEZNS1_13binary_searchIS3_S5_NSA_INS8_10device_ptrIfEEEESG_SI_NS1_21lower_bound_search_opENS9_16wrapped_functionINS8_7greaterIfEEbEEEE10hipError_tPvRmT1_T2_T3_mmT4_T5_P12ihipStream_tbEUlRKfE_EESS_SW_SX_mSY_S11_bEUlT_E_NS1_11comp_targetILNS1_3genE9ELNS1_11target_archE1100ELNS1_3gpuE3ELNS1_3repE0EEENS1_30default_config_static_selectorELNS0_4arch9wavefront6targetE0EEEvSV_
	.globl	_ZN7rocprim17ROCPRIM_400000_NS6detail17trampoline_kernelINS0_14default_configENS1_27lower_bound_config_selectorIflEEZNS1_14transform_implILb0ES3_S5_N6thrust23THRUST_200600_302600_NS6detail15normal_iteratorINS8_7pointerIfNS8_11hip_rocprim3tagENS8_11use_defaultESE_EEEENSA_INSB_IlSD_SE_SE_EEEEZNS1_13binary_searchIS3_S5_NSA_INS8_10device_ptrIfEEEESG_SI_NS1_21lower_bound_search_opENS9_16wrapped_functionINS8_7greaterIfEEbEEEE10hipError_tPvRmT1_T2_T3_mmT4_T5_P12ihipStream_tbEUlRKfE_EESS_SW_SX_mSY_S11_bEUlT_E_NS1_11comp_targetILNS1_3genE9ELNS1_11target_archE1100ELNS1_3gpuE3ELNS1_3repE0EEENS1_30default_config_static_selectorELNS0_4arch9wavefront6targetE0EEEvSV_
	.p2align	8
	.type	_ZN7rocprim17ROCPRIM_400000_NS6detail17trampoline_kernelINS0_14default_configENS1_27lower_bound_config_selectorIflEEZNS1_14transform_implILb0ES3_S5_N6thrust23THRUST_200600_302600_NS6detail15normal_iteratorINS8_7pointerIfNS8_11hip_rocprim3tagENS8_11use_defaultESE_EEEENSA_INSB_IlSD_SE_SE_EEEEZNS1_13binary_searchIS3_S5_NSA_INS8_10device_ptrIfEEEESG_SI_NS1_21lower_bound_search_opENS9_16wrapped_functionINS8_7greaterIfEEbEEEE10hipError_tPvRmT1_T2_T3_mmT4_T5_P12ihipStream_tbEUlRKfE_EESS_SW_SX_mSY_S11_bEUlT_E_NS1_11comp_targetILNS1_3genE9ELNS1_11target_archE1100ELNS1_3gpuE3ELNS1_3repE0EEENS1_30default_config_static_selectorELNS0_4arch9wavefront6targetE0EEEvSV_,@function
_ZN7rocprim17ROCPRIM_400000_NS6detail17trampoline_kernelINS0_14default_configENS1_27lower_bound_config_selectorIflEEZNS1_14transform_implILb0ES3_S5_N6thrust23THRUST_200600_302600_NS6detail15normal_iteratorINS8_7pointerIfNS8_11hip_rocprim3tagENS8_11use_defaultESE_EEEENSA_INSB_IlSD_SE_SE_EEEEZNS1_13binary_searchIS3_S5_NSA_INS8_10device_ptrIfEEEESG_SI_NS1_21lower_bound_search_opENS9_16wrapped_functionINS8_7greaterIfEEbEEEE10hipError_tPvRmT1_T2_T3_mmT4_T5_P12ihipStream_tbEUlRKfE_EESS_SW_SX_mSY_S11_bEUlT_E_NS1_11comp_targetILNS1_3genE9ELNS1_11target_archE1100ELNS1_3gpuE3ELNS1_3repE0EEENS1_30default_config_static_selectorELNS0_4arch9wavefront6targetE0EEEvSV_: ; @_ZN7rocprim17ROCPRIM_400000_NS6detail17trampoline_kernelINS0_14default_configENS1_27lower_bound_config_selectorIflEEZNS1_14transform_implILb0ES3_S5_N6thrust23THRUST_200600_302600_NS6detail15normal_iteratorINS8_7pointerIfNS8_11hip_rocprim3tagENS8_11use_defaultESE_EEEENSA_INSB_IlSD_SE_SE_EEEEZNS1_13binary_searchIS3_S5_NSA_INS8_10device_ptrIfEEEESG_SI_NS1_21lower_bound_search_opENS9_16wrapped_functionINS8_7greaterIfEEbEEEE10hipError_tPvRmT1_T2_T3_mmT4_T5_P12ihipStream_tbEUlRKfE_EESS_SW_SX_mSY_S11_bEUlT_E_NS1_11comp_targetILNS1_3genE9ELNS1_11target_archE1100ELNS1_3gpuE3ELNS1_3repE0EEENS1_30default_config_static_selectorELNS0_4arch9wavefront6targetE0EEEvSV_
; %bb.0:
	.section	.rodata,"a",@progbits
	.p2align	6, 0x0
	.amdhsa_kernel _ZN7rocprim17ROCPRIM_400000_NS6detail17trampoline_kernelINS0_14default_configENS1_27lower_bound_config_selectorIflEEZNS1_14transform_implILb0ES3_S5_N6thrust23THRUST_200600_302600_NS6detail15normal_iteratorINS8_7pointerIfNS8_11hip_rocprim3tagENS8_11use_defaultESE_EEEENSA_INSB_IlSD_SE_SE_EEEEZNS1_13binary_searchIS3_S5_NSA_INS8_10device_ptrIfEEEESG_SI_NS1_21lower_bound_search_opENS9_16wrapped_functionINS8_7greaterIfEEbEEEE10hipError_tPvRmT1_T2_T3_mmT4_T5_P12ihipStream_tbEUlRKfE_EESS_SW_SX_mSY_S11_bEUlT_E_NS1_11comp_targetILNS1_3genE9ELNS1_11target_archE1100ELNS1_3gpuE3ELNS1_3repE0EEENS1_30default_config_static_selectorELNS0_4arch9wavefront6targetE0EEEvSV_
		.amdhsa_group_segment_fixed_size 0
		.amdhsa_private_segment_fixed_size 0
		.amdhsa_kernarg_size 56
		.amdhsa_user_sgpr_count 2
		.amdhsa_user_sgpr_dispatch_ptr 0
		.amdhsa_user_sgpr_queue_ptr 0
		.amdhsa_user_sgpr_kernarg_segment_ptr 1
		.amdhsa_user_sgpr_dispatch_id 0
		.amdhsa_user_sgpr_kernarg_preload_length 0
		.amdhsa_user_sgpr_kernarg_preload_offset 0
		.amdhsa_user_sgpr_private_segment_size 0
		.amdhsa_wavefront_size32 1
		.amdhsa_uses_dynamic_stack 0
		.amdhsa_enable_private_segment 0
		.amdhsa_system_sgpr_workgroup_id_x 1
		.amdhsa_system_sgpr_workgroup_id_y 0
		.amdhsa_system_sgpr_workgroup_id_z 0
		.amdhsa_system_sgpr_workgroup_info 0
		.amdhsa_system_vgpr_workitem_id 0
		.amdhsa_next_free_vgpr 1
		.amdhsa_next_free_sgpr 1
		.amdhsa_named_barrier_count 0
		.amdhsa_reserve_vcc 0
		.amdhsa_float_round_mode_32 0
		.amdhsa_float_round_mode_16_64 0
		.amdhsa_float_denorm_mode_32 3
		.amdhsa_float_denorm_mode_16_64 3
		.amdhsa_fp16_overflow 0
		.amdhsa_memory_ordered 1
		.amdhsa_forward_progress 1
		.amdhsa_inst_pref_size 0
		.amdhsa_round_robin_scheduling 0
		.amdhsa_exception_fp_ieee_invalid_op 0
		.amdhsa_exception_fp_denorm_src 0
		.amdhsa_exception_fp_ieee_div_zero 0
		.amdhsa_exception_fp_ieee_overflow 0
		.amdhsa_exception_fp_ieee_underflow 0
		.amdhsa_exception_fp_ieee_inexact 0
		.amdhsa_exception_int_div_zero 0
	.end_amdhsa_kernel
	.section	.text._ZN7rocprim17ROCPRIM_400000_NS6detail17trampoline_kernelINS0_14default_configENS1_27lower_bound_config_selectorIflEEZNS1_14transform_implILb0ES3_S5_N6thrust23THRUST_200600_302600_NS6detail15normal_iteratorINS8_7pointerIfNS8_11hip_rocprim3tagENS8_11use_defaultESE_EEEENSA_INSB_IlSD_SE_SE_EEEEZNS1_13binary_searchIS3_S5_NSA_INS8_10device_ptrIfEEEESG_SI_NS1_21lower_bound_search_opENS9_16wrapped_functionINS8_7greaterIfEEbEEEE10hipError_tPvRmT1_T2_T3_mmT4_T5_P12ihipStream_tbEUlRKfE_EESS_SW_SX_mSY_S11_bEUlT_E_NS1_11comp_targetILNS1_3genE9ELNS1_11target_archE1100ELNS1_3gpuE3ELNS1_3repE0EEENS1_30default_config_static_selectorELNS0_4arch9wavefront6targetE0EEEvSV_,"axG",@progbits,_ZN7rocprim17ROCPRIM_400000_NS6detail17trampoline_kernelINS0_14default_configENS1_27lower_bound_config_selectorIflEEZNS1_14transform_implILb0ES3_S5_N6thrust23THRUST_200600_302600_NS6detail15normal_iteratorINS8_7pointerIfNS8_11hip_rocprim3tagENS8_11use_defaultESE_EEEENSA_INSB_IlSD_SE_SE_EEEEZNS1_13binary_searchIS3_S5_NSA_INS8_10device_ptrIfEEEESG_SI_NS1_21lower_bound_search_opENS9_16wrapped_functionINS8_7greaterIfEEbEEEE10hipError_tPvRmT1_T2_T3_mmT4_T5_P12ihipStream_tbEUlRKfE_EESS_SW_SX_mSY_S11_bEUlT_E_NS1_11comp_targetILNS1_3genE9ELNS1_11target_archE1100ELNS1_3gpuE3ELNS1_3repE0EEENS1_30default_config_static_selectorELNS0_4arch9wavefront6targetE0EEEvSV_,comdat
.Lfunc_end38:
	.size	_ZN7rocprim17ROCPRIM_400000_NS6detail17trampoline_kernelINS0_14default_configENS1_27lower_bound_config_selectorIflEEZNS1_14transform_implILb0ES3_S5_N6thrust23THRUST_200600_302600_NS6detail15normal_iteratorINS8_7pointerIfNS8_11hip_rocprim3tagENS8_11use_defaultESE_EEEENSA_INSB_IlSD_SE_SE_EEEEZNS1_13binary_searchIS3_S5_NSA_INS8_10device_ptrIfEEEESG_SI_NS1_21lower_bound_search_opENS9_16wrapped_functionINS8_7greaterIfEEbEEEE10hipError_tPvRmT1_T2_T3_mmT4_T5_P12ihipStream_tbEUlRKfE_EESS_SW_SX_mSY_S11_bEUlT_E_NS1_11comp_targetILNS1_3genE9ELNS1_11target_archE1100ELNS1_3gpuE3ELNS1_3repE0EEENS1_30default_config_static_selectorELNS0_4arch9wavefront6targetE0EEEvSV_, .Lfunc_end38-_ZN7rocprim17ROCPRIM_400000_NS6detail17trampoline_kernelINS0_14default_configENS1_27lower_bound_config_selectorIflEEZNS1_14transform_implILb0ES3_S5_N6thrust23THRUST_200600_302600_NS6detail15normal_iteratorINS8_7pointerIfNS8_11hip_rocprim3tagENS8_11use_defaultESE_EEEENSA_INSB_IlSD_SE_SE_EEEEZNS1_13binary_searchIS3_S5_NSA_INS8_10device_ptrIfEEEESG_SI_NS1_21lower_bound_search_opENS9_16wrapped_functionINS8_7greaterIfEEbEEEE10hipError_tPvRmT1_T2_T3_mmT4_T5_P12ihipStream_tbEUlRKfE_EESS_SW_SX_mSY_S11_bEUlT_E_NS1_11comp_targetILNS1_3genE9ELNS1_11target_archE1100ELNS1_3gpuE3ELNS1_3repE0EEENS1_30default_config_static_selectorELNS0_4arch9wavefront6targetE0EEEvSV_
                                        ; -- End function
	.set _ZN7rocprim17ROCPRIM_400000_NS6detail17trampoline_kernelINS0_14default_configENS1_27lower_bound_config_selectorIflEEZNS1_14transform_implILb0ES3_S5_N6thrust23THRUST_200600_302600_NS6detail15normal_iteratorINS8_7pointerIfNS8_11hip_rocprim3tagENS8_11use_defaultESE_EEEENSA_INSB_IlSD_SE_SE_EEEEZNS1_13binary_searchIS3_S5_NSA_INS8_10device_ptrIfEEEESG_SI_NS1_21lower_bound_search_opENS9_16wrapped_functionINS8_7greaterIfEEbEEEE10hipError_tPvRmT1_T2_T3_mmT4_T5_P12ihipStream_tbEUlRKfE_EESS_SW_SX_mSY_S11_bEUlT_E_NS1_11comp_targetILNS1_3genE9ELNS1_11target_archE1100ELNS1_3gpuE3ELNS1_3repE0EEENS1_30default_config_static_selectorELNS0_4arch9wavefront6targetE0EEEvSV_.num_vgpr, 0
	.set _ZN7rocprim17ROCPRIM_400000_NS6detail17trampoline_kernelINS0_14default_configENS1_27lower_bound_config_selectorIflEEZNS1_14transform_implILb0ES3_S5_N6thrust23THRUST_200600_302600_NS6detail15normal_iteratorINS8_7pointerIfNS8_11hip_rocprim3tagENS8_11use_defaultESE_EEEENSA_INSB_IlSD_SE_SE_EEEEZNS1_13binary_searchIS3_S5_NSA_INS8_10device_ptrIfEEEESG_SI_NS1_21lower_bound_search_opENS9_16wrapped_functionINS8_7greaterIfEEbEEEE10hipError_tPvRmT1_T2_T3_mmT4_T5_P12ihipStream_tbEUlRKfE_EESS_SW_SX_mSY_S11_bEUlT_E_NS1_11comp_targetILNS1_3genE9ELNS1_11target_archE1100ELNS1_3gpuE3ELNS1_3repE0EEENS1_30default_config_static_selectorELNS0_4arch9wavefront6targetE0EEEvSV_.num_agpr, 0
	.set _ZN7rocprim17ROCPRIM_400000_NS6detail17trampoline_kernelINS0_14default_configENS1_27lower_bound_config_selectorIflEEZNS1_14transform_implILb0ES3_S5_N6thrust23THRUST_200600_302600_NS6detail15normal_iteratorINS8_7pointerIfNS8_11hip_rocprim3tagENS8_11use_defaultESE_EEEENSA_INSB_IlSD_SE_SE_EEEEZNS1_13binary_searchIS3_S5_NSA_INS8_10device_ptrIfEEEESG_SI_NS1_21lower_bound_search_opENS9_16wrapped_functionINS8_7greaterIfEEbEEEE10hipError_tPvRmT1_T2_T3_mmT4_T5_P12ihipStream_tbEUlRKfE_EESS_SW_SX_mSY_S11_bEUlT_E_NS1_11comp_targetILNS1_3genE9ELNS1_11target_archE1100ELNS1_3gpuE3ELNS1_3repE0EEENS1_30default_config_static_selectorELNS0_4arch9wavefront6targetE0EEEvSV_.numbered_sgpr, 0
	.set _ZN7rocprim17ROCPRIM_400000_NS6detail17trampoline_kernelINS0_14default_configENS1_27lower_bound_config_selectorIflEEZNS1_14transform_implILb0ES3_S5_N6thrust23THRUST_200600_302600_NS6detail15normal_iteratorINS8_7pointerIfNS8_11hip_rocprim3tagENS8_11use_defaultESE_EEEENSA_INSB_IlSD_SE_SE_EEEEZNS1_13binary_searchIS3_S5_NSA_INS8_10device_ptrIfEEEESG_SI_NS1_21lower_bound_search_opENS9_16wrapped_functionINS8_7greaterIfEEbEEEE10hipError_tPvRmT1_T2_T3_mmT4_T5_P12ihipStream_tbEUlRKfE_EESS_SW_SX_mSY_S11_bEUlT_E_NS1_11comp_targetILNS1_3genE9ELNS1_11target_archE1100ELNS1_3gpuE3ELNS1_3repE0EEENS1_30default_config_static_selectorELNS0_4arch9wavefront6targetE0EEEvSV_.num_named_barrier, 0
	.set _ZN7rocprim17ROCPRIM_400000_NS6detail17trampoline_kernelINS0_14default_configENS1_27lower_bound_config_selectorIflEEZNS1_14transform_implILb0ES3_S5_N6thrust23THRUST_200600_302600_NS6detail15normal_iteratorINS8_7pointerIfNS8_11hip_rocprim3tagENS8_11use_defaultESE_EEEENSA_INSB_IlSD_SE_SE_EEEEZNS1_13binary_searchIS3_S5_NSA_INS8_10device_ptrIfEEEESG_SI_NS1_21lower_bound_search_opENS9_16wrapped_functionINS8_7greaterIfEEbEEEE10hipError_tPvRmT1_T2_T3_mmT4_T5_P12ihipStream_tbEUlRKfE_EESS_SW_SX_mSY_S11_bEUlT_E_NS1_11comp_targetILNS1_3genE9ELNS1_11target_archE1100ELNS1_3gpuE3ELNS1_3repE0EEENS1_30default_config_static_selectorELNS0_4arch9wavefront6targetE0EEEvSV_.private_seg_size, 0
	.set _ZN7rocprim17ROCPRIM_400000_NS6detail17trampoline_kernelINS0_14default_configENS1_27lower_bound_config_selectorIflEEZNS1_14transform_implILb0ES3_S5_N6thrust23THRUST_200600_302600_NS6detail15normal_iteratorINS8_7pointerIfNS8_11hip_rocprim3tagENS8_11use_defaultESE_EEEENSA_INSB_IlSD_SE_SE_EEEEZNS1_13binary_searchIS3_S5_NSA_INS8_10device_ptrIfEEEESG_SI_NS1_21lower_bound_search_opENS9_16wrapped_functionINS8_7greaterIfEEbEEEE10hipError_tPvRmT1_T2_T3_mmT4_T5_P12ihipStream_tbEUlRKfE_EESS_SW_SX_mSY_S11_bEUlT_E_NS1_11comp_targetILNS1_3genE9ELNS1_11target_archE1100ELNS1_3gpuE3ELNS1_3repE0EEENS1_30default_config_static_selectorELNS0_4arch9wavefront6targetE0EEEvSV_.uses_vcc, 0
	.set _ZN7rocprim17ROCPRIM_400000_NS6detail17trampoline_kernelINS0_14default_configENS1_27lower_bound_config_selectorIflEEZNS1_14transform_implILb0ES3_S5_N6thrust23THRUST_200600_302600_NS6detail15normal_iteratorINS8_7pointerIfNS8_11hip_rocprim3tagENS8_11use_defaultESE_EEEENSA_INSB_IlSD_SE_SE_EEEEZNS1_13binary_searchIS3_S5_NSA_INS8_10device_ptrIfEEEESG_SI_NS1_21lower_bound_search_opENS9_16wrapped_functionINS8_7greaterIfEEbEEEE10hipError_tPvRmT1_T2_T3_mmT4_T5_P12ihipStream_tbEUlRKfE_EESS_SW_SX_mSY_S11_bEUlT_E_NS1_11comp_targetILNS1_3genE9ELNS1_11target_archE1100ELNS1_3gpuE3ELNS1_3repE0EEENS1_30default_config_static_selectorELNS0_4arch9wavefront6targetE0EEEvSV_.uses_flat_scratch, 0
	.set _ZN7rocprim17ROCPRIM_400000_NS6detail17trampoline_kernelINS0_14default_configENS1_27lower_bound_config_selectorIflEEZNS1_14transform_implILb0ES3_S5_N6thrust23THRUST_200600_302600_NS6detail15normal_iteratorINS8_7pointerIfNS8_11hip_rocprim3tagENS8_11use_defaultESE_EEEENSA_INSB_IlSD_SE_SE_EEEEZNS1_13binary_searchIS3_S5_NSA_INS8_10device_ptrIfEEEESG_SI_NS1_21lower_bound_search_opENS9_16wrapped_functionINS8_7greaterIfEEbEEEE10hipError_tPvRmT1_T2_T3_mmT4_T5_P12ihipStream_tbEUlRKfE_EESS_SW_SX_mSY_S11_bEUlT_E_NS1_11comp_targetILNS1_3genE9ELNS1_11target_archE1100ELNS1_3gpuE3ELNS1_3repE0EEENS1_30default_config_static_selectorELNS0_4arch9wavefront6targetE0EEEvSV_.has_dyn_sized_stack, 0
	.set _ZN7rocprim17ROCPRIM_400000_NS6detail17trampoline_kernelINS0_14default_configENS1_27lower_bound_config_selectorIflEEZNS1_14transform_implILb0ES3_S5_N6thrust23THRUST_200600_302600_NS6detail15normal_iteratorINS8_7pointerIfNS8_11hip_rocprim3tagENS8_11use_defaultESE_EEEENSA_INSB_IlSD_SE_SE_EEEEZNS1_13binary_searchIS3_S5_NSA_INS8_10device_ptrIfEEEESG_SI_NS1_21lower_bound_search_opENS9_16wrapped_functionINS8_7greaterIfEEbEEEE10hipError_tPvRmT1_T2_T3_mmT4_T5_P12ihipStream_tbEUlRKfE_EESS_SW_SX_mSY_S11_bEUlT_E_NS1_11comp_targetILNS1_3genE9ELNS1_11target_archE1100ELNS1_3gpuE3ELNS1_3repE0EEENS1_30default_config_static_selectorELNS0_4arch9wavefront6targetE0EEEvSV_.has_recursion, 0
	.set _ZN7rocprim17ROCPRIM_400000_NS6detail17trampoline_kernelINS0_14default_configENS1_27lower_bound_config_selectorIflEEZNS1_14transform_implILb0ES3_S5_N6thrust23THRUST_200600_302600_NS6detail15normal_iteratorINS8_7pointerIfNS8_11hip_rocprim3tagENS8_11use_defaultESE_EEEENSA_INSB_IlSD_SE_SE_EEEEZNS1_13binary_searchIS3_S5_NSA_INS8_10device_ptrIfEEEESG_SI_NS1_21lower_bound_search_opENS9_16wrapped_functionINS8_7greaterIfEEbEEEE10hipError_tPvRmT1_T2_T3_mmT4_T5_P12ihipStream_tbEUlRKfE_EESS_SW_SX_mSY_S11_bEUlT_E_NS1_11comp_targetILNS1_3genE9ELNS1_11target_archE1100ELNS1_3gpuE3ELNS1_3repE0EEENS1_30default_config_static_selectorELNS0_4arch9wavefront6targetE0EEEvSV_.has_indirect_call, 0
	.section	.AMDGPU.csdata,"",@progbits
; Kernel info:
; codeLenInByte = 0
; TotalNumSgprs: 0
; NumVgprs: 0
; ScratchSize: 0
; MemoryBound: 0
; FloatMode: 240
; IeeeMode: 1
; LDSByteSize: 0 bytes/workgroup (compile time only)
; SGPRBlocks: 0
; VGPRBlocks: 0
; NumSGPRsForWavesPerEU: 1
; NumVGPRsForWavesPerEU: 1
; NamedBarCnt: 0
; Occupancy: 16
; WaveLimiterHint : 0
; COMPUTE_PGM_RSRC2:SCRATCH_EN: 0
; COMPUTE_PGM_RSRC2:USER_SGPR: 2
; COMPUTE_PGM_RSRC2:TRAP_HANDLER: 0
; COMPUTE_PGM_RSRC2:TGID_X_EN: 1
; COMPUTE_PGM_RSRC2:TGID_Y_EN: 0
; COMPUTE_PGM_RSRC2:TGID_Z_EN: 0
; COMPUTE_PGM_RSRC2:TIDIG_COMP_CNT: 0
	.section	.text._ZN7rocprim17ROCPRIM_400000_NS6detail17trampoline_kernelINS0_14default_configENS1_27lower_bound_config_selectorIflEEZNS1_14transform_implILb0ES3_S5_N6thrust23THRUST_200600_302600_NS6detail15normal_iteratorINS8_7pointerIfNS8_11hip_rocprim3tagENS8_11use_defaultESE_EEEENSA_INSB_IlSD_SE_SE_EEEEZNS1_13binary_searchIS3_S5_NSA_INS8_10device_ptrIfEEEESG_SI_NS1_21lower_bound_search_opENS9_16wrapped_functionINS8_7greaterIfEEbEEEE10hipError_tPvRmT1_T2_T3_mmT4_T5_P12ihipStream_tbEUlRKfE_EESS_SW_SX_mSY_S11_bEUlT_E_NS1_11comp_targetILNS1_3genE8ELNS1_11target_archE1030ELNS1_3gpuE2ELNS1_3repE0EEENS1_30default_config_static_selectorELNS0_4arch9wavefront6targetE0EEEvSV_,"axG",@progbits,_ZN7rocprim17ROCPRIM_400000_NS6detail17trampoline_kernelINS0_14default_configENS1_27lower_bound_config_selectorIflEEZNS1_14transform_implILb0ES3_S5_N6thrust23THRUST_200600_302600_NS6detail15normal_iteratorINS8_7pointerIfNS8_11hip_rocprim3tagENS8_11use_defaultESE_EEEENSA_INSB_IlSD_SE_SE_EEEEZNS1_13binary_searchIS3_S5_NSA_INS8_10device_ptrIfEEEESG_SI_NS1_21lower_bound_search_opENS9_16wrapped_functionINS8_7greaterIfEEbEEEE10hipError_tPvRmT1_T2_T3_mmT4_T5_P12ihipStream_tbEUlRKfE_EESS_SW_SX_mSY_S11_bEUlT_E_NS1_11comp_targetILNS1_3genE8ELNS1_11target_archE1030ELNS1_3gpuE2ELNS1_3repE0EEENS1_30default_config_static_selectorELNS0_4arch9wavefront6targetE0EEEvSV_,comdat
	.protected	_ZN7rocprim17ROCPRIM_400000_NS6detail17trampoline_kernelINS0_14default_configENS1_27lower_bound_config_selectorIflEEZNS1_14transform_implILb0ES3_S5_N6thrust23THRUST_200600_302600_NS6detail15normal_iteratorINS8_7pointerIfNS8_11hip_rocprim3tagENS8_11use_defaultESE_EEEENSA_INSB_IlSD_SE_SE_EEEEZNS1_13binary_searchIS3_S5_NSA_INS8_10device_ptrIfEEEESG_SI_NS1_21lower_bound_search_opENS9_16wrapped_functionINS8_7greaterIfEEbEEEE10hipError_tPvRmT1_T2_T3_mmT4_T5_P12ihipStream_tbEUlRKfE_EESS_SW_SX_mSY_S11_bEUlT_E_NS1_11comp_targetILNS1_3genE8ELNS1_11target_archE1030ELNS1_3gpuE2ELNS1_3repE0EEENS1_30default_config_static_selectorELNS0_4arch9wavefront6targetE0EEEvSV_ ; -- Begin function _ZN7rocprim17ROCPRIM_400000_NS6detail17trampoline_kernelINS0_14default_configENS1_27lower_bound_config_selectorIflEEZNS1_14transform_implILb0ES3_S5_N6thrust23THRUST_200600_302600_NS6detail15normal_iteratorINS8_7pointerIfNS8_11hip_rocprim3tagENS8_11use_defaultESE_EEEENSA_INSB_IlSD_SE_SE_EEEEZNS1_13binary_searchIS3_S5_NSA_INS8_10device_ptrIfEEEESG_SI_NS1_21lower_bound_search_opENS9_16wrapped_functionINS8_7greaterIfEEbEEEE10hipError_tPvRmT1_T2_T3_mmT4_T5_P12ihipStream_tbEUlRKfE_EESS_SW_SX_mSY_S11_bEUlT_E_NS1_11comp_targetILNS1_3genE8ELNS1_11target_archE1030ELNS1_3gpuE2ELNS1_3repE0EEENS1_30default_config_static_selectorELNS0_4arch9wavefront6targetE0EEEvSV_
	.globl	_ZN7rocprim17ROCPRIM_400000_NS6detail17trampoline_kernelINS0_14default_configENS1_27lower_bound_config_selectorIflEEZNS1_14transform_implILb0ES3_S5_N6thrust23THRUST_200600_302600_NS6detail15normal_iteratorINS8_7pointerIfNS8_11hip_rocprim3tagENS8_11use_defaultESE_EEEENSA_INSB_IlSD_SE_SE_EEEEZNS1_13binary_searchIS3_S5_NSA_INS8_10device_ptrIfEEEESG_SI_NS1_21lower_bound_search_opENS9_16wrapped_functionINS8_7greaterIfEEbEEEE10hipError_tPvRmT1_T2_T3_mmT4_T5_P12ihipStream_tbEUlRKfE_EESS_SW_SX_mSY_S11_bEUlT_E_NS1_11comp_targetILNS1_3genE8ELNS1_11target_archE1030ELNS1_3gpuE2ELNS1_3repE0EEENS1_30default_config_static_selectorELNS0_4arch9wavefront6targetE0EEEvSV_
	.p2align	8
	.type	_ZN7rocprim17ROCPRIM_400000_NS6detail17trampoline_kernelINS0_14default_configENS1_27lower_bound_config_selectorIflEEZNS1_14transform_implILb0ES3_S5_N6thrust23THRUST_200600_302600_NS6detail15normal_iteratorINS8_7pointerIfNS8_11hip_rocprim3tagENS8_11use_defaultESE_EEEENSA_INSB_IlSD_SE_SE_EEEEZNS1_13binary_searchIS3_S5_NSA_INS8_10device_ptrIfEEEESG_SI_NS1_21lower_bound_search_opENS9_16wrapped_functionINS8_7greaterIfEEbEEEE10hipError_tPvRmT1_T2_T3_mmT4_T5_P12ihipStream_tbEUlRKfE_EESS_SW_SX_mSY_S11_bEUlT_E_NS1_11comp_targetILNS1_3genE8ELNS1_11target_archE1030ELNS1_3gpuE2ELNS1_3repE0EEENS1_30default_config_static_selectorELNS0_4arch9wavefront6targetE0EEEvSV_,@function
_ZN7rocprim17ROCPRIM_400000_NS6detail17trampoline_kernelINS0_14default_configENS1_27lower_bound_config_selectorIflEEZNS1_14transform_implILb0ES3_S5_N6thrust23THRUST_200600_302600_NS6detail15normal_iteratorINS8_7pointerIfNS8_11hip_rocprim3tagENS8_11use_defaultESE_EEEENSA_INSB_IlSD_SE_SE_EEEEZNS1_13binary_searchIS3_S5_NSA_INS8_10device_ptrIfEEEESG_SI_NS1_21lower_bound_search_opENS9_16wrapped_functionINS8_7greaterIfEEbEEEE10hipError_tPvRmT1_T2_T3_mmT4_T5_P12ihipStream_tbEUlRKfE_EESS_SW_SX_mSY_S11_bEUlT_E_NS1_11comp_targetILNS1_3genE8ELNS1_11target_archE1030ELNS1_3gpuE2ELNS1_3repE0EEENS1_30default_config_static_selectorELNS0_4arch9wavefront6targetE0EEEvSV_: ; @_ZN7rocprim17ROCPRIM_400000_NS6detail17trampoline_kernelINS0_14default_configENS1_27lower_bound_config_selectorIflEEZNS1_14transform_implILb0ES3_S5_N6thrust23THRUST_200600_302600_NS6detail15normal_iteratorINS8_7pointerIfNS8_11hip_rocprim3tagENS8_11use_defaultESE_EEEENSA_INSB_IlSD_SE_SE_EEEEZNS1_13binary_searchIS3_S5_NSA_INS8_10device_ptrIfEEEESG_SI_NS1_21lower_bound_search_opENS9_16wrapped_functionINS8_7greaterIfEEbEEEE10hipError_tPvRmT1_T2_T3_mmT4_T5_P12ihipStream_tbEUlRKfE_EESS_SW_SX_mSY_S11_bEUlT_E_NS1_11comp_targetILNS1_3genE8ELNS1_11target_archE1030ELNS1_3gpuE2ELNS1_3repE0EEENS1_30default_config_static_selectorELNS0_4arch9wavefront6targetE0EEEvSV_
; %bb.0:
	.section	.rodata,"a",@progbits
	.p2align	6, 0x0
	.amdhsa_kernel _ZN7rocprim17ROCPRIM_400000_NS6detail17trampoline_kernelINS0_14default_configENS1_27lower_bound_config_selectorIflEEZNS1_14transform_implILb0ES3_S5_N6thrust23THRUST_200600_302600_NS6detail15normal_iteratorINS8_7pointerIfNS8_11hip_rocprim3tagENS8_11use_defaultESE_EEEENSA_INSB_IlSD_SE_SE_EEEEZNS1_13binary_searchIS3_S5_NSA_INS8_10device_ptrIfEEEESG_SI_NS1_21lower_bound_search_opENS9_16wrapped_functionINS8_7greaterIfEEbEEEE10hipError_tPvRmT1_T2_T3_mmT4_T5_P12ihipStream_tbEUlRKfE_EESS_SW_SX_mSY_S11_bEUlT_E_NS1_11comp_targetILNS1_3genE8ELNS1_11target_archE1030ELNS1_3gpuE2ELNS1_3repE0EEENS1_30default_config_static_selectorELNS0_4arch9wavefront6targetE0EEEvSV_
		.amdhsa_group_segment_fixed_size 0
		.amdhsa_private_segment_fixed_size 0
		.amdhsa_kernarg_size 56
		.amdhsa_user_sgpr_count 2
		.amdhsa_user_sgpr_dispatch_ptr 0
		.amdhsa_user_sgpr_queue_ptr 0
		.amdhsa_user_sgpr_kernarg_segment_ptr 1
		.amdhsa_user_sgpr_dispatch_id 0
		.amdhsa_user_sgpr_kernarg_preload_length 0
		.amdhsa_user_sgpr_kernarg_preload_offset 0
		.amdhsa_user_sgpr_private_segment_size 0
		.amdhsa_wavefront_size32 1
		.amdhsa_uses_dynamic_stack 0
		.amdhsa_enable_private_segment 0
		.amdhsa_system_sgpr_workgroup_id_x 1
		.amdhsa_system_sgpr_workgroup_id_y 0
		.amdhsa_system_sgpr_workgroup_id_z 0
		.amdhsa_system_sgpr_workgroup_info 0
		.amdhsa_system_vgpr_workitem_id 0
		.amdhsa_next_free_vgpr 1
		.amdhsa_next_free_sgpr 1
		.amdhsa_named_barrier_count 0
		.amdhsa_reserve_vcc 0
		.amdhsa_float_round_mode_32 0
		.amdhsa_float_round_mode_16_64 0
		.amdhsa_float_denorm_mode_32 3
		.amdhsa_float_denorm_mode_16_64 3
		.amdhsa_fp16_overflow 0
		.amdhsa_memory_ordered 1
		.amdhsa_forward_progress 1
		.amdhsa_inst_pref_size 0
		.amdhsa_round_robin_scheduling 0
		.amdhsa_exception_fp_ieee_invalid_op 0
		.amdhsa_exception_fp_denorm_src 0
		.amdhsa_exception_fp_ieee_div_zero 0
		.amdhsa_exception_fp_ieee_overflow 0
		.amdhsa_exception_fp_ieee_underflow 0
		.amdhsa_exception_fp_ieee_inexact 0
		.amdhsa_exception_int_div_zero 0
	.end_amdhsa_kernel
	.section	.text._ZN7rocprim17ROCPRIM_400000_NS6detail17trampoline_kernelINS0_14default_configENS1_27lower_bound_config_selectorIflEEZNS1_14transform_implILb0ES3_S5_N6thrust23THRUST_200600_302600_NS6detail15normal_iteratorINS8_7pointerIfNS8_11hip_rocprim3tagENS8_11use_defaultESE_EEEENSA_INSB_IlSD_SE_SE_EEEEZNS1_13binary_searchIS3_S5_NSA_INS8_10device_ptrIfEEEESG_SI_NS1_21lower_bound_search_opENS9_16wrapped_functionINS8_7greaterIfEEbEEEE10hipError_tPvRmT1_T2_T3_mmT4_T5_P12ihipStream_tbEUlRKfE_EESS_SW_SX_mSY_S11_bEUlT_E_NS1_11comp_targetILNS1_3genE8ELNS1_11target_archE1030ELNS1_3gpuE2ELNS1_3repE0EEENS1_30default_config_static_selectorELNS0_4arch9wavefront6targetE0EEEvSV_,"axG",@progbits,_ZN7rocprim17ROCPRIM_400000_NS6detail17trampoline_kernelINS0_14default_configENS1_27lower_bound_config_selectorIflEEZNS1_14transform_implILb0ES3_S5_N6thrust23THRUST_200600_302600_NS6detail15normal_iteratorINS8_7pointerIfNS8_11hip_rocprim3tagENS8_11use_defaultESE_EEEENSA_INSB_IlSD_SE_SE_EEEEZNS1_13binary_searchIS3_S5_NSA_INS8_10device_ptrIfEEEESG_SI_NS1_21lower_bound_search_opENS9_16wrapped_functionINS8_7greaterIfEEbEEEE10hipError_tPvRmT1_T2_T3_mmT4_T5_P12ihipStream_tbEUlRKfE_EESS_SW_SX_mSY_S11_bEUlT_E_NS1_11comp_targetILNS1_3genE8ELNS1_11target_archE1030ELNS1_3gpuE2ELNS1_3repE0EEENS1_30default_config_static_selectorELNS0_4arch9wavefront6targetE0EEEvSV_,comdat
.Lfunc_end39:
	.size	_ZN7rocprim17ROCPRIM_400000_NS6detail17trampoline_kernelINS0_14default_configENS1_27lower_bound_config_selectorIflEEZNS1_14transform_implILb0ES3_S5_N6thrust23THRUST_200600_302600_NS6detail15normal_iteratorINS8_7pointerIfNS8_11hip_rocprim3tagENS8_11use_defaultESE_EEEENSA_INSB_IlSD_SE_SE_EEEEZNS1_13binary_searchIS3_S5_NSA_INS8_10device_ptrIfEEEESG_SI_NS1_21lower_bound_search_opENS9_16wrapped_functionINS8_7greaterIfEEbEEEE10hipError_tPvRmT1_T2_T3_mmT4_T5_P12ihipStream_tbEUlRKfE_EESS_SW_SX_mSY_S11_bEUlT_E_NS1_11comp_targetILNS1_3genE8ELNS1_11target_archE1030ELNS1_3gpuE2ELNS1_3repE0EEENS1_30default_config_static_selectorELNS0_4arch9wavefront6targetE0EEEvSV_, .Lfunc_end39-_ZN7rocprim17ROCPRIM_400000_NS6detail17trampoline_kernelINS0_14default_configENS1_27lower_bound_config_selectorIflEEZNS1_14transform_implILb0ES3_S5_N6thrust23THRUST_200600_302600_NS6detail15normal_iteratorINS8_7pointerIfNS8_11hip_rocprim3tagENS8_11use_defaultESE_EEEENSA_INSB_IlSD_SE_SE_EEEEZNS1_13binary_searchIS3_S5_NSA_INS8_10device_ptrIfEEEESG_SI_NS1_21lower_bound_search_opENS9_16wrapped_functionINS8_7greaterIfEEbEEEE10hipError_tPvRmT1_T2_T3_mmT4_T5_P12ihipStream_tbEUlRKfE_EESS_SW_SX_mSY_S11_bEUlT_E_NS1_11comp_targetILNS1_3genE8ELNS1_11target_archE1030ELNS1_3gpuE2ELNS1_3repE0EEENS1_30default_config_static_selectorELNS0_4arch9wavefront6targetE0EEEvSV_
                                        ; -- End function
	.set _ZN7rocprim17ROCPRIM_400000_NS6detail17trampoline_kernelINS0_14default_configENS1_27lower_bound_config_selectorIflEEZNS1_14transform_implILb0ES3_S5_N6thrust23THRUST_200600_302600_NS6detail15normal_iteratorINS8_7pointerIfNS8_11hip_rocprim3tagENS8_11use_defaultESE_EEEENSA_INSB_IlSD_SE_SE_EEEEZNS1_13binary_searchIS3_S5_NSA_INS8_10device_ptrIfEEEESG_SI_NS1_21lower_bound_search_opENS9_16wrapped_functionINS8_7greaterIfEEbEEEE10hipError_tPvRmT1_T2_T3_mmT4_T5_P12ihipStream_tbEUlRKfE_EESS_SW_SX_mSY_S11_bEUlT_E_NS1_11comp_targetILNS1_3genE8ELNS1_11target_archE1030ELNS1_3gpuE2ELNS1_3repE0EEENS1_30default_config_static_selectorELNS0_4arch9wavefront6targetE0EEEvSV_.num_vgpr, 0
	.set _ZN7rocprim17ROCPRIM_400000_NS6detail17trampoline_kernelINS0_14default_configENS1_27lower_bound_config_selectorIflEEZNS1_14transform_implILb0ES3_S5_N6thrust23THRUST_200600_302600_NS6detail15normal_iteratorINS8_7pointerIfNS8_11hip_rocprim3tagENS8_11use_defaultESE_EEEENSA_INSB_IlSD_SE_SE_EEEEZNS1_13binary_searchIS3_S5_NSA_INS8_10device_ptrIfEEEESG_SI_NS1_21lower_bound_search_opENS9_16wrapped_functionINS8_7greaterIfEEbEEEE10hipError_tPvRmT1_T2_T3_mmT4_T5_P12ihipStream_tbEUlRKfE_EESS_SW_SX_mSY_S11_bEUlT_E_NS1_11comp_targetILNS1_3genE8ELNS1_11target_archE1030ELNS1_3gpuE2ELNS1_3repE0EEENS1_30default_config_static_selectorELNS0_4arch9wavefront6targetE0EEEvSV_.num_agpr, 0
	.set _ZN7rocprim17ROCPRIM_400000_NS6detail17trampoline_kernelINS0_14default_configENS1_27lower_bound_config_selectorIflEEZNS1_14transform_implILb0ES3_S5_N6thrust23THRUST_200600_302600_NS6detail15normal_iteratorINS8_7pointerIfNS8_11hip_rocprim3tagENS8_11use_defaultESE_EEEENSA_INSB_IlSD_SE_SE_EEEEZNS1_13binary_searchIS3_S5_NSA_INS8_10device_ptrIfEEEESG_SI_NS1_21lower_bound_search_opENS9_16wrapped_functionINS8_7greaterIfEEbEEEE10hipError_tPvRmT1_T2_T3_mmT4_T5_P12ihipStream_tbEUlRKfE_EESS_SW_SX_mSY_S11_bEUlT_E_NS1_11comp_targetILNS1_3genE8ELNS1_11target_archE1030ELNS1_3gpuE2ELNS1_3repE0EEENS1_30default_config_static_selectorELNS0_4arch9wavefront6targetE0EEEvSV_.numbered_sgpr, 0
	.set _ZN7rocprim17ROCPRIM_400000_NS6detail17trampoline_kernelINS0_14default_configENS1_27lower_bound_config_selectorIflEEZNS1_14transform_implILb0ES3_S5_N6thrust23THRUST_200600_302600_NS6detail15normal_iteratorINS8_7pointerIfNS8_11hip_rocprim3tagENS8_11use_defaultESE_EEEENSA_INSB_IlSD_SE_SE_EEEEZNS1_13binary_searchIS3_S5_NSA_INS8_10device_ptrIfEEEESG_SI_NS1_21lower_bound_search_opENS9_16wrapped_functionINS8_7greaterIfEEbEEEE10hipError_tPvRmT1_T2_T3_mmT4_T5_P12ihipStream_tbEUlRKfE_EESS_SW_SX_mSY_S11_bEUlT_E_NS1_11comp_targetILNS1_3genE8ELNS1_11target_archE1030ELNS1_3gpuE2ELNS1_3repE0EEENS1_30default_config_static_selectorELNS0_4arch9wavefront6targetE0EEEvSV_.num_named_barrier, 0
	.set _ZN7rocprim17ROCPRIM_400000_NS6detail17trampoline_kernelINS0_14default_configENS1_27lower_bound_config_selectorIflEEZNS1_14transform_implILb0ES3_S5_N6thrust23THRUST_200600_302600_NS6detail15normal_iteratorINS8_7pointerIfNS8_11hip_rocprim3tagENS8_11use_defaultESE_EEEENSA_INSB_IlSD_SE_SE_EEEEZNS1_13binary_searchIS3_S5_NSA_INS8_10device_ptrIfEEEESG_SI_NS1_21lower_bound_search_opENS9_16wrapped_functionINS8_7greaterIfEEbEEEE10hipError_tPvRmT1_T2_T3_mmT4_T5_P12ihipStream_tbEUlRKfE_EESS_SW_SX_mSY_S11_bEUlT_E_NS1_11comp_targetILNS1_3genE8ELNS1_11target_archE1030ELNS1_3gpuE2ELNS1_3repE0EEENS1_30default_config_static_selectorELNS0_4arch9wavefront6targetE0EEEvSV_.private_seg_size, 0
	.set _ZN7rocprim17ROCPRIM_400000_NS6detail17trampoline_kernelINS0_14default_configENS1_27lower_bound_config_selectorIflEEZNS1_14transform_implILb0ES3_S5_N6thrust23THRUST_200600_302600_NS6detail15normal_iteratorINS8_7pointerIfNS8_11hip_rocprim3tagENS8_11use_defaultESE_EEEENSA_INSB_IlSD_SE_SE_EEEEZNS1_13binary_searchIS3_S5_NSA_INS8_10device_ptrIfEEEESG_SI_NS1_21lower_bound_search_opENS9_16wrapped_functionINS8_7greaterIfEEbEEEE10hipError_tPvRmT1_T2_T3_mmT4_T5_P12ihipStream_tbEUlRKfE_EESS_SW_SX_mSY_S11_bEUlT_E_NS1_11comp_targetILNS1_3genE8ELNS1_11target_archE1030ELNS1_3gpuE2ELNS1_3repE0EEENS1_30default_config_static_selectorELNS0_4arch9wavefront6targetE0EEEvSV_.uses_vcc, 0
	.set _ZN7rocprim17ROCPRIM_400000_NS6detail17trampoline_kernelINS0_14default_configENS1_27lower_bound_config_selectorIflEEZNS1_14transform_implILb0ES3_S5_N6thrust23THRUST_200600_302600_NS6detail15normal_iteratorINS8_7pointerIfNS8_11hip_rocprim3tagENS8_11use_defaultESE_EEEENSA_INSB_IlSD_SE_SE_EEEEZNS1_13binary_searchIS3_S5_NSA_INS8_10device_ptrIfEEEESG_SI_NS1_21lower_bound_search_opENS9_16wrapped_functionINS8_7greaterIfEEbEEEE10hipError_tPvRmT1_T2_T3_mmT4_T5_P12ihipStream_tbEUlRKfE_EESS_SW_SX_mSY_S11_bEUlT_E_NS1_11comp_targetILNS1_3genE8ELNS1_11target_archE1030ELNS1_3gpuE2ELNS1_3repE0EEENS1_30default_config_static_selectorELNS0_4arch9wavefront6targetE0EEEvSV_.uses_flat_scratch, 0
	.set _ZN7rocprim17ROCPRIM_400000_NS6detail17trampoline_kernelINS0_14default_configENS1_27lower_bound_config_selectorIflEEZNS1_14transform_implILb0ES3_S5_N6thrust23THRUST_200600_302600_NS6detail15normal_iteratorINS8_7pointerIfNS8_11hip_rocprim3tagENS8_11use_defaultESE_EEEENSA_INSB_IlSD_SE_SE_EEEEZNS1_13binary_searchIS3_S5_NSA_INS8_10device_ptrIfEEEESG_SI_NS1_21lower_bound_search_opENS9_16wrapped_functionINS8_7greaterIfEEbEEEE10hipError_tPvRmT1_T2_T3_mmT4_T5_P12ihipStream_tbEUlRKfE_EESS_SW_SX_mSY_S11_bEUlT_E_NS1_11comp_targetILNS1_3genE8ELNS1_11target_archE1030ELNS1_3gpuE2ELNS1_3repE0EEENS1_30default_config_static_selectorELNS0_4arch9wavefront6targetE0EEEvSV_.has_dyn_sized_stack, 0
	.set _ZN7rocprim17ROCPRIM_400000_NS6detail17trampoline_kernelINS0_14default_configENS1_27lower_bound_config_selectorIflEEZNS1_14transform_implILb0ES3_S5_N6thrust23THRUST_200600_302600_NS6detail15normal_iteratorINS8_7pointerIfNS8_11hip_rocprim3tagENS8_11use_defaultESE_EEEENSA_INSB_IlSD_SE_SE_EEEEZNS1_13binary_searchIS3_S5_NSA_INS8_10device_ptrIfEEEESG_SI_NS1_21lower_bound_search_opENS9_16wrapped_functionINS8_7greaterIfEEbEEEE10hipError_tPvRmT1_T2_T3_mmT4_T5_P12ihipStream_tbEUlRKfE_EESS_SW_SX_mSY_S11_bEUlT_E_NS1_11comp_targetILNS1_3genE8ELNS1_11target_archE1030ELNS1_3gpuE2ELNS1_3repE0EEENS1_30default_config_static_selectorELNS0_4arch9wavefront6targetE0EEEvSV_.has_recursion, 0
	.set _ZN7rocprim17ROCPRIM_400000_NS6detail17trampoline_kernelINS0_14default_configENS1_27lower_bound_config_selectorIflEEZNS1_14transform_implILb0ES3_S5_N6thrust23THRUST_200600_302600_NS6detail15normal_iteratorINS8_7pointerIfNS8_11hip_rocprim3tagENS8_11use_defaultESE_EEEENSA_INSB_IlSD_SE_SE_EEEEZNS1_13binary_searchIS3_S5_NSA_INS8_10device_ptrIfEEEESG_SI_NS1_21lower_bound_search_opENS9_16wrapped_functionINS8_7greaterIfEEbEEEE10hipError_tPvRmT1_T2_T3_mmT4_T5_P12ihipStream_tbEUlRKfE_EESS_SW_SX_mSY_S11_bEUlT_E_NS1_11comp_targetILNS1_3genE8ELNS1_11target_archE1030ELNS1_3gpuE2ELNS1_3repE0EEENS1_30default_config_static_selectorELNS0_4arch9wavefront6targetE0EEEvSV_.has_indirect_call, 0
	.section	.AMDGPU.csdata,"",@progbits
; Kernel info:
; codeLenInByte = 0
; TotalNumSgprs: 0
; NumVgprs: 0
; ScratchSize: 0
; MemoryBound: 0
; FloatMode: 240
; IeeeMode: 1
; LDSByteSize: 0 bytes/workgroup (compile time only)
; SGPRBlocks: 0
; VGPRBlocks: 0
; NumSGPRsForWavesPerEU: 1
; NumVGPRsForWavesPerEU: 1
; NamedBarCnt: 0
; Occupancy: 16
; WaveLimiterHint : 0
; COMPUTE_PGM_RSRC2:SCRATCH_EN: 0
; COMPUTE_PGM_RSRC2:USER_SGPR: 2
; COMPUTE_PGM_RSRC2:TRAP_HANDLER: 0
; COMPUTE_PGM_RSRC2:TGID_X_EN: 1
; COMPUTE_PGM_RSRC2:TGID_Y_EN: 0
; COMPUTE_PGM_RSRC2:TGID_Z_EN: 0
; COMPUTE_PGM_RSRC2:TIDIG_COMP_CNT: 0
	.section	.text._ZN6thrust23THRUST_200600_302600_NS11hip_rocprim14__parallel_for6kernelILj256ENS1_10for_each_fINS0_10device_ptrI14custom_numericEENS0_6detail16wrapped_functionINS8_23allocator_traits_detail24construct1_via_allocatorINS0_16device_allocatorIS6_EEEEvEEEEmLj1EEEvT0_T1_SI_,"axG",@progbits,_ZN6thrust23THRUST_200600_302600_NS11hip_rocprim14__parallel_for6kernelILj256ENS1_10for_each_fINS0_10device_ptrI14custom_numericEENS0_6detail16wrapped_functionINS8_23allocator_traits_detail24construct1_via_allocatorINS0_16device_allocatorIS6_EEEEvEEEEmLj1EEEvT0_T1_SI_,comdat
	.protected	_ZN6thrust23THRUST_200600_302600_NS11hip_rocprim14__parallel_for6kernelILj256ENS1_10for_each_fINS0_10device_ptrI14custom_numericEENS0_6detail16wrapped_functionINS8_23allocator_traits_detail24construct1_via_allocatorINS0_16device_allocatorIS6_EEEEvEEEEmLj1EEEvT0_T1_SI_ ; -- Begin function _ZN6thrust23THRUST_200600_302600_NS11hip_rocprim14__parallel_for6kernelILj256ENS1_10for_each_fINS0_10device_ptrI14custom_numericEENS0_6detail16wrapped_functionINS8_23allocator_traits_detail24construct1_via_allocatorINS0_16device_allocatorIS6_EEEEvEEEEmLj1EEEvT0_T1_SI_
	.globl	_ZN6thrust23THRUST_200600_302600_NS11hip_rocprim14__parallel_for6kernelILj256ENS1_10for_each_fINS0_10device_ptrI14custom_numericEENS0_6detail16wrapped_functionINS8_23allocator_traits_detail24construct1_via_allocatorINS0_16device_allocatorIS6_EEEEvEEEEmLj1EEEvT0_T1_SI_
	.p2align	8
	.type	_ZN6thrust23THRUST_200600_302600_NS11hip_rocprim14__parallel_for6kernelILj256ENS1_10for_each_fINS0_10device_ptrI14custom_numericEENS0_6detail16wrapped_functionINS8_23allocator_traits_detail24construct1_via_allocatorINS0_16device_allocatorIS6_EEEEvEEEEmLj1EEEvT0_T1_SI_,@function
_ZN6thrust23THRUST_200600_302600_NS11hip_rocprim14__parallel_for6kernelILj256ENS1_10for_each_fINS0_10device_ptrI14custom_numericEENS0_6detail16wrapped_functionINS8_23allocator_traits_detail24construct1_via_allocatorINS0_16device_allocatorIS6_EEEEvEEEEmLj1EEEvT0_T1_SI_: ; @_ZN6thrust23THRUST_200600_302600_NS11hip_rocprim14__parallel_for6kernelILj256ENS1_10for_each_fINS0_10device_ptrI14custom_numericEENS0_6detail16wrapped_functionINS8_23allocator_traits_detail24construct1_via_allocatorINS0_16device_allocatorIS6_EEEEvEEEEmLj1EEEvT0_T1_SI_
; %bb.0:
	s_load_b128 s[4:7], s[0:1], 0x10
	s_bfe_u32 s2, ttmp6, 0x4000c
	s_and_b32 s3, ttmp6, 15
	s_add_co_i32 s2, s2, 1
	s_getreg_b32 s8, hwreg(HW_REG_IB_STS2, 6, 4)
	s_mul_i32 s2, ttmp9, s2
	s_wait_xcnt 0x0
	s_load_b64 s[0:1], s[0:1], 0x0
	s_add_co_i32 s3, s3, s2
	s_cmp_eq_u32 s8, 0
	s_cselect_b32 s2, ttmp9, s3
	s_mov_b32 s3, 0
	s_lshl_b32 s2, s2, 8
	s_wait_kmcnt 0x0
	s_add_nc_u64 s[2:3], s[6:7], s[2:3]
	s_delay_alu instid0(SALU_CYCLE_1) | instskip(NEXT) | instid1(SALU_CYCLE_1)
	s_sub_nc_u64 s[4:5], s[4:5], s[2:3]
	v_cmp_lt_u64_e64 s5, 0xff, s[4:5]
	s_and_b32 vcc_lo, exec_lo, s5
	s_mov_b32 s5, -1
	s_cbranch_vccz .LBB40_3
; %bb.1:
	s_and_not1_b32 vcc_lo, exec_lo, s5
	s_cbranch_vccz .LBB40_6
.LBB40_2:
	s_endpgm
.LBB40_3:
	v_cmp_gt_u32_e32 vcc_lo, s4, v0
	s_and_saveexec_b32 s4, vcc_lo
	s_cbranch_execz .LBB40_5
; %bb.4:
	s_mul_u64 s[6:7], s[2:3], 20
	v_mov_b32_e32 v2, 0
	s_add_nc_u64 s[6:7], s[0:1], s[6:7]
	s_delay_alu instid0(SALU_CYCLE_1) | instskip(NEXT) | instid1(VALU_DEP_2)
	v_mad_nc_u64_u32 v[6:7], v0, 20, s[6:7]
	v_dual_mov_b32 v3, v2 :: v_dual_mov_b32 v4, v2
	v_mov_b32_e32 v5, v2
	s_clause 0x1
	flat_store_b128 v[6:7], v[2:5]
	flat_store_b32 v[6:7], v2 offset:16
.LBB40_5:
	s_wait_xcnt 0x0
	s_or_b32 exec_lo, exec_lo, s4
	s_cbranch_execnz .LBB40_2
.LBB40_6:
	s_mul_u64 s[2:3], s[2:3], 20
	v_mov_b32_e32 v2, 0
	s_add_nc_u64 s[0:1], s[0:1], s[2:3]
	s_delay_alu instid0(SALU_CYCLE_1) | instskip(NEXT) | instid1(VALU_DEP_2)
	v_mad_nc_u64_u32 v[0:1], v0, 20, s[0:1]
	v_dual_mov_b32 v3, v2 :: v_dual_mov_b32 v4, v2
	v_mov_b32_e32 v5, v2
	s_clause 0x1
	flat_store_b128 v[0:1], v[2:5]
	flat_store_b32 v[0:1], v2 offset:16
	s_endpgm
	.section	.rodata,"a",@progbits
	.p2align	6, 0x0
	.amdhsa_kernel _ZN6thrust23THRUST_200600_302600_NS11hip_rocprim14__parallel_for6kernelILj256ENS1_10for_each_fINS0_10device_ptrI14custom_numericEENS0_6detail16wrapped_functionINS8_23allocator_traits_detail24construct1_via_allocatorINS0_16device_allocatorIS6_EEEEvEEEEmLj1EEEvT0_T1_SI_
		.amdhsa_group_segment_fixed_size 0
		.amdhsa_private_segment_fixed_size 0
		.amdhsa_kernarg_size 32
		.amdhsa_user_sgpr_count 2
		.amdhsa_user_sgpr_dispatch_ptr 0
		.amdhsa_user_sgpr_queue_ptr 0
		.amdhsa_user_sgpr_kernarg_segment_ptr 1
		.amdhsa_user_sgpr_dispatch_id 0
		.amdhsa_user_sgpr_kernarg_preload_length 0
		.amdhsa_user_sgpr_kernarg_preload_offset 0
		.amdhsa_user_sgpr_private_segment_size 0
		.amdhsa_wavefront_size32 1
		.amdhsa_uses_dynamic_stack 0
		.amdhsa_enable_private_segment 0
		.amdhsa_system_sgpr_workgroup_id_x 1
		.amdhsa_system_sgpr_workgroup_id_y 0
		.amdhsa_system_sgpr_workgroup_id_z 0
		.amdhsa_system_sgpr_workgroup_info 0
		.amdhsa_system_vgpr_workitem_id 0
		.amdhsa_next_free_vgpr 8
		.amdhsa_next_free_sgpr 9
		.amdhsa_named_barrier_count 0
		.amdhsa_reserve_vcc 1
		.amdhsa_float_round_mode_32 0
		.amdhsa_float_round_mode_16_64 0
		.amdhsa_float_denorm_mode_32 3
		.amdhsa_float_denorm_mode_16_64 3
		.amdhsa_fp16_overflow 0
		.amdhsa_memory_ordered 1
		.amdhsa_forward_progress 1
		.amdhsa_inst_pref_size 3
		.amdhsa_round_robin_scheduling 0
		.amdhsa_exception_fp_ieee_invalid_op 0
		.amdhsa_exception_fp_denorm_src 0
		.amdhsa_exception_fp_ieee_div_zero 0
		.amdhsa_exception_fp_ieee_overflow 0
		.amdhsa_exception_fp_ieee_underflow 0
		.amdhsa_exception_fp_ieee_inexact 0
		.amdhsa_exception_int_div_zero 0
	.end_amdhsa_kernel
	.section	.text._ZN6thrust23THRUST_200600_302600_NS11hip_rocprim14__parallel_for6kernelILj256ENS1_10for_each_fINS0_10device_ptrI14custom_numericEENS0_6detail16wrapped_functionINS8_23allocator_traits_detail24construct1_via_allocatorINS0_16device_allocatorIS6_EEEEvEEEEmLj1EEEvT0_T1_SI_,"axG",@progbits,_ZN6thrust23THRUST_200600_302600_NS11hip_rocprim14__parallel_for6kernelILj256ENS1_10for_each_fINS0_10device_ptrI14custom_numericEENS0_6detail16wrapped_functionINS8_23allocator_traits_detail24construct1_via_allocatorINS0_16device_allocatorIS6_EEEEvEEEEmLj1EEEvT0_T1_SI_,comdat
.Lfunc_end40:
	.size	_ZN6thrust23THRUST_200600_302600_NS11hip_rocprim14__parallel_for6kernelILj256ENS1_10for_each_fINS0_10device_ptrI14custom_numericEENS0_6detail16wrapped_functionINS8_23allocator_traits_detail24construct1_via_allocatorINS0_16device_allocatorIS6_EEEEvEEEEmLj1EEEvT0_T1_SI_, .Lfunc_end40-_ZN6thrust23THRUST_200600_302600_NS11hip_rocprim14__parallel_for6kernelILj256ENS1_10for_each_fINS0_10device_ptrI14custom_numericEENS0_6detail16wrapped_functionINS8_23allocator_traits_detail24construct1_via_allocatorINS0_16device_allocatorIS6_EEEEvEEEEmLj1EEEvT0_T1_SI_
                                        ; -- End function
	.set _ZN6thrust23THRUST_200600_302600_NS11hip_rocprim14__parallel_for6kernelILj256ENS1_10for_each_fINS0_10device_ptrI14custom_numericEENS0_6detail16wrapped_functionINS8_23allocator_traits_detail24construct1_via_allocatorINS0_16device_allocatorIS6_EEEEvEEEEmLj1EEEvT0_T1_SI_.num_vgpr, 8
	.set _ZN6thrust23THRUST_200600_302600_NS11hip_rocprim14__parallel_for6kernelILj256ENS1_10for_each_fINS0_10device_ptrI14custom_numericEENS0_6detail16wrapped_functionINS8_23allocator_traits_detail24construct1_via_allocatorINS0_16device_allocatorIS6_EEEEvEEEEmLj1EEEvT0_T1_SI_.num_agpr, 0
	.set _ZN6thrust23THRUST_200600_302600_NS11hip_rocprim14__parallel_for6kernelILj256ENS1_10for_each_fINS0_10device_ptrI14custom_numericEENS0_6detail16wrapped_functionINS8_23allocator_traits_detail24construct1_via_allocatorINS0_16device_allocatorIS6_EEEEvEEEEmLj1EEEvT0_T1_SI_.numbered_sgpr, 9
	.set _ZN6thrust23THRUST_200600_302600_NS11hip_rocprim14__parallel_for6kernelILj256ENS1_10for_each_fINS0_10device_ptrI14custom_numericEENS0_6detail16wrapped_functionINS8_23allocator_traits_detail24construct1_via_allocatorINS0_16device_allocatorIS6_EEEEvEEEEmLj1EEEvT0_T1_SI_.num_named_barrier, 0
	.set _ZN6thrust23THRUST_200600_302600_NS11hip_rocprim14__parallel_for6kernelILj256ENS1_10for_each_fINS0_10device_ptrI14custom_numericEENS0_6detail16wrapped_functionINS8_23allocator_traits_detail24construct1_via_allocatorINS0_16device_allocatorIS6_EEEEvEEEEmLj1EEEvT0_T1_SI_.private_seg_size, 0
	.set _ZN6thrust23THRUST_200600_302600_NS11hip_rocprim14__parallel_for6kernelILj256ENS1_10for_each_fINS0_10device_ptrI14custom_numericEENS0_6detail16wrapped_functionINS8_23allocator_traits_detail24construct1_via_allocatorINS0_16device_allocatorIS6_EEEEvEEEEmLj1EEEvT0_T1_SI_.uses_vcc, 1
	.set _ZN6thrust23THRUST_200600_302600_NS11hip_rocprim14__parallel_for6kernelILj256ENS1_10for_each_fINS0_10device_ptrI14custom_numericEENS0_6detail16wrapped_functionINS8_23allocator_traits_detail24construct1_via_allocatorINS0_16device_allocatorIS6_EEEEvEEEEmLj1EEEvT0_T1_SI_.uses_flat_scratch, 1
	.set _ZN6thrust23THRUST_200600_302600_NS11hip_rocprim14__parallel_for6kernelILj256ENS1_10for_each_fINS0_10device_ptrI14custom_numericEENS0_6detail16wrapped_functionINS8_23allocator_traits_detail24construct1_via_allocatorINS0_16device_allocatorIS6_EEEEvEEEEmLj1EEEvT0_T1_SI_.has_dyn_sized_stack, 0
	.set _ZN6thrust23THRUST_200600_302600_NS11hip_rocprim14__parallel_for6kernelILj256ENS1_10for_each_fINS0_10device_ptrI14custom_numericEENS0_6detail16wrapped_functionINS8_23allocator_traits_detail24construct1_via_allocatorINS0_16device_allocatorIS6_EEEEvEEEEmLj1EEEvT0_T1_SI_.has_recursion, 0
	.set _ZN6thrust23THRUST_200600_302600_NS11hip_rocprim14__parallel_for6kernelILj256ENS1_10for_each_fINS0_10device_ptrI14custom_numericEENS0_6detail16wrapped_functionINS8_23allocator_traits_detail24construct1_via_allocatorINS0_16device_allocatorIS6_EEEEvEEEEmLj1EEEvT0_T1_SI_.has_indirect_call, 0
	.section	.AMDGPU.csdata,"",@progbits
; Kernel info:
; codeLenInByte = 272
; TotalNumSgprs: 11
; NumVgprs: 8
; ScratchSize: 0
; MemoryBound: 0
; FloatMode: 240
; IeeeMode: 1
; LDSByteSize: 0 bytes/workgroup (compile time only)
; SGPRBlocks: 0
; VGPRBlocks: 0
; NumSGPRsForWavesPerEU: 11
; NumVGPRsForWavesPerEU: 8
; NamedBarCnt: 0
; Occupancy: 16
; WaveLimiterHint : 0
; COMPUTE_PGM_RSRC2:SCRATCH_EN: 0
; COMPUTE_PGM_RSRC2:USER_SGPR: 2
; COMPUTE_PGM_RSRC2:TRAP_HANDLER: 0
; COMPUTE_PGM_RSRC2:TGID_X_EN: 1
; COMPUTE_PGM_RSRC2:TGID_Y_EN: 0
; COMPUTE_PGM_RSRC2:TGID_Z_EN: 0
; COMPUTE_PGM_RSRC2:TIDIG_COMP_CNT: 0
	.section	.text._ZN6thrust23THRUST_200600_302600_NS11hip_rocprim14__parallel_for6kernelILj256ENS1_10for_each_fINS0_10device_ptrI14custom_numericEENS0_6detail16wrapped_functionINS8_23allocator_traits_detail5gozerEvEEEElLj1EEEvT0_T1_SF_,"axG",@progbits,_ZN6thrust23THRUST_200600_302600_NS11hip_rocprim14__parallel_for6kernelILj256ENS1_10for_each_fINS0_10device_ptrI14custom_numericEENS0_6detail16wrapped_functionINS8_23allocator_traits_detail5gozerEvEEEElLj1EEEvT0_T1_SF_,comdat
	.protected	_ZN6thrust23THRUST_200600_302600_NS11hip_rocprim14__parallel_for6kernelILj256ENS1_10for_each_fINS0_10device_ptrI14custom_numericEENS0_6detail16wrapped_functionINS8_23allocator_traits_detail5gozerEvEEEElLj1EEEvT0_T1_SF_ ; -- Begin function _ZN6thrust23THRUST_200600_302600_NS11hip_rocprim14__parallel_for6kernelILj256ENS1_10for_each_fINS0_10device_ptrI14custom_numericEENS0_6detail16wrapped_functionINS8_23allocator_traits_detail5gozerEvEEEElLj1EEEvT0_T1_SF_
	.globl	_ZN6thrust23THRUST_200600_302600_NS11hip_rocprim14__parallel_for6kernelILj256ENS1_10for_each_fINS0_10device_ptrI14custom_numericEENS0_6detail16wrapped_functionINS8_23allocator_traits_detail5gozerEvEEEElLj1EEEvT0_T1_SF_
	.p2align	8
	.type	_ZN6thrust23THRUST_200600_302600_NS11hip_rocprim14__parallel_for6kernelILj256ENS1_10for_each_fINS0_10device_ptrI14custom_numericEENS0_6detail16wrapped_functionINS8_23allocator_traits_detail5gozerEvEEEElLj1EEEvT0_T1_SF_,@function
_ZN6thrust23THRUST_200600_302600_NS11hip_rocprim14__parallel_for6kernelILj256ENS1_10for_each_fINS0_10device_ptrI14custom_numericEENS0_6detail16wrapped_functionINS8_23allocator_traits_detail5gozerEvEEEElLj1EEEvT0_T1_SF_: ; @_ZN6thrust23THRUST_200600_302600_NS11hip_rocprim14__parallel_for6kernelILj256ENS1_10for_each_fINS0_10device_ptrI14custom_numericEENS0_6detail16wrapped_functionINS8_23allocator_traits_detail5gozerEvEEEElLj1EEEvT0_T1_SF_
; %bb.0:
	s_endpgm
	.section	.rodata,"a",@progbits
	.p2align	6, 0x0
	.amdhsa_kernel _ZN6thrust23THRUST_200600_302600_NS11hip_rocprim14__parallel_for6kernelILj256ENS1_10for_each_fINS0_10device_ptrI14custom_numericEENS0_6detail16wrapped_functionINS8_23allocator_traits_detail5gozerEvEEEElLj1EEEvT0_T1_SF_
		.amdhsa_group_segment_fixed_size 0
		.amdhsa_private_segment_fixed_size 0
		.amdhsa_kernarg_size 32
		.amdhsa_user_sgpr_count 2
		.amdhsa_user_sgpr_dispatch_ptr 0
		.amdhsa_user_sgpr_queue_ptr 0
		.amdhsa_user_sgpr_kernarg_segment_ptr 1
		.amdhsa_user_sgpr_dispatch_id 0
		.amdhsa_user_sgpr_kernarg_preload_length 0
		.amdhsa_user_sgpr_kernarg_preload_offset 0
		.amdhsa_user_sgpr_private_segment_size 0
		.amdhsa_wavefront_size32 1
		.amdhsa_uses_dynamic_stack 0
		.amdhsa_enable_private_segment 0
		.amdhsa_system_sgpr_workgroup_id_x 1
		.amdhsa_system_sgpr_workgroup_id_y 0
		.amdhsa_system_sgpr_workgroup_id_z 0
		.amdhsa_system_sgpr_workgroup_info 0
		.amdhsa_system_vgpr_workitem_id 0
		.amdhsa_next_free_vgpr 1
		.amdhsa_next_free_sgpr 1
		.amdhsa_named_barrier_count 0
		.amdhsa_reserve_vcc 0
		.amdhsa_float_round_mode_32 0
		.amdhsa_float_round_mode_16_64 0
		.amdhsa_float_denorm_mode_32 3
		.amdhsa_float_denorm_mode_16_64 3
		.amdhsa_fp16_overflow 0
		.amdhsa_memory_ordered 1
		.amdhsa_forward_progress 1
		.amdhsa_inst_pref_size 1
		.amdhsa_round_robin_scheduling 0
		.amdhsa_exception_fp_ieee_invalid_op 0
		.amdhsa_exception_fp_denorm_src 0
		.amdhsa_exception_fp_ieee_div_zero 0
		.amdhsa_exception_fp_ieee_overflow 0
		.amdhsa_exception_fp_ieee_underflow 0
		.amdhsa_exception_fp_ieee_inexact 0
		.amdhsa_exception_int_div_zero 0
	.end_amdhsa_kernel
	.section	.text._ZN6thrust23THRUST_200600_302600_NS11hip_rocprim14__parallel_for6kernelILj256ENS1_10for_each_fINS0_10device_ptrI14custom_numericEENS0_6detail16wrapped_functionINS8_23allocator_traits_detail5gozerEvEEEElLj1EEEvT0_T1_SF_,"axG",@progbits,_ZN6thrust23THRUST_200600_302600_NS11hip_rocprim14__parallel_for6kernelILj256ENS1_10for_each_fINS0_10device_ptrI14custom_numericEENS0_6detail16wrapped_functionINS8_23allocator_traits_detail5gozerEvEEEElLj1EEEvT0_T1_SF_,comdat
.Lfunc_end41:
	.size	_ZN6thrust23THRUST_200600_302600_NS11hip_rocprim14__parallel_for6kernelILj256ENS1_10for_each_fINS0_10device_ptrI14custom_numericEENS0_6detail16wrapped_functionINS8_23allocator_traits_detail5gozerEvEEEElLj1EEEvT0_T1_SF_, .Lfunc_end41-_ZN6thrust23THRUST_200600_302600_NS11hip_rocprim14__parallel_for6kernelILj256ENS1_10for_each_fINS0_10device_ptrI14custom_numericEENS0_6detail16wrapped_functionINS8_23allocator_traits_detail5gozerEvEEEElLj1EEEvT0_T1_SF_
                                        ; -- End function
	.set _ZN6thrust23THRUST_200600_302600_NS11hip_rocprim14__parallel_for6kernelILj256ENS1_10for_each_fINS0_10device_ptrI14custom_numericEENS0_6detail16wrapped_functionINS8_23allocator_traits_detail5gozerEvEEEElLj1EEEvT0_T1_SF_.num_vgpr, 0
	.set _ZN6thrust23THRUST_200600_302600_NS11hip_rocprim14__parallel_for6kernelILj256ENS1_10for_each_fINS0_10device_ptrI14custom_numericEENS0_6detail16wrapped_functionINS8_23allocator_traits_detail5gozerEvEEEElLj1EEEvT0_T1_SF_.num_agpr, 0
	.set _ZN6thrust23THRUST_200600_302600_NS11hip_rocprim14__parallel_for6kernelILj256ENS1_10for_each_fINS0_10device_ptrI14custom_numericEENS0_6detail16wrapped_functionINS8_23allocator_traits_detail5gozerEvEEEElLj1EEEvT0_T1_SF_.numbered_sgpr, 0
	.set _ZN6thrust23THRUST_200600_302600_NS11hip_rocprim14__parallel_for6kernelILj256ENS1_10for_each_fINS0_10device_ptrI14custom_numericEENS0_6detail16wrapped_functionINS8_23allocator_traits_detail5gozerEvEEEElLj1EEEvT0_T1_SF_.num_named_barrier, 0
	.set _ZN6thrust23THRUST_200600_302600_NS11hip_rocprim14__parallel_for6kernelILj256ENS1_10for_each_fINS0_10device_ptrI14custom_numericEENS0_6detail16wrapped_functionINS8_23allocator_traits_detail5gozerEvEEEElLj1EEEvT0_T1_SF_.private_seg_size, 0
	.set _ZN6thrust23THRUST_200600_302600_NS11hip_rocprim14__parallel_for6kernelILj256ENS1_10for_each_fINS0_10device_ptrI14custom_numericEENS0_6detail16wrapped_functionINS8_23allocator_traits_detail5gozerEvEEEElLj1EEEvT0_T1_SF_.uses_vcc, 0
	.set _ZN6thrust23THRUST_200600_302600_NS11hip_rocprim14__parallel_for6kernelILj256ENS1_10for_each_fINS0_10device_ptrI14custom_numericEENS0_6detail16wrapped_functionINS8_23allocator_traits_detail5gozerEvEEEElLj1EEEvT0_T1_SF_.uses_flat_scratch, 0
	.set _ZN6thrust23THRUST_200600_302600_NS11hip_rocprim14__parallel_for6kernelILj256ENS1_10for_each_fINS0_10device_ptrI14custom_numericEENS0_6detail16wrapped_functionINS8_23allocator_traits_detail5gozerEvEEEElLj1EEEvT0_T1_SF_.has_dyn_sized_stack, 0
	.set _ZN6thrust23THRUST_200600_302600_NS11hip_rocprim14__parallel_for6kernelILj256ENS1_10for_each_fINS0_10device_ptrI14custom_numericEENS0_6detail16wrapped_functionINS8_23allocator_traits_detail5gozerEvEEEElLj1EEEvT0_T1_SF_.has_recursion, 0
	.set _ZN6thrust23THRUST_200600_302600_NS11hip_rocprim14__parallel_for6kernelILj256ENS1_10for_each_fINS0_10device_ptrI14custom_numericEENS0_6detail16wrapped_functionINS8_23allocator_traits_detail5gozerEvEEEElLj1EEEvT0_T1_SF_.has_indirect_call, 0
	.section	.AMDGPU.csdata,"",@progbits
; Kernel info:
; codeLenInByte = 4
; TotalNumSgprs: 0
; NumVgprs: 0
; ScratchSize: 0
; MemoryBound: 0
; FloatMode: 240
; IeeeMode: 1
; LDSByteSize: 0 bytes/workgroup (compile time only)
; SGPRBlocks: 0
; VGPRBlocks: 0
; NumSGPRsForWavesPerEU: 1
; NumVGPRsForWavesPerEU: 1
; NamedBarCnt: 0
; Occupancy: 16
; WaveLimiterHint : 0
; COMPUTE_PGM_RSRC2:SCRATCH_EN: 0
; COMPUTE_PGM_RSRC2:USER_SGPR: 2
; COMPUTE_PGM_RSRC2:TRAP_HANDLER: 0
; COMPUTE_PGM_RSRC2:TGID_X_EN: 1
; COMPUTE_PGM_RSRC2:TGID_Y_EN: 0
; COMPUTE_PGM_RSRC2:TGID_Z_EN: 0
; COMPUTE_PGM_RSRC2:TIDIG_COMP_CNT: 0
	.section	.text._ZN6thrust23THRUST_200600_302600_NS11hip_rocprim14__parallel_for6kernelILj256ENS1_10for_each_fINS0_7pointerI14custom_numericNS1_3tagENS0_11use_defaultES8_EENS0_6detail16wrapped_functionINSA_23allocator_traits_detail24construct1_via_allocatorINSA_18no_throw_allocatorINSA_19temporary_allocatorIS6_S7_EEEEEEvEEEEmLj1EEEvT0_T1_SM_,"axG",@progbits,_ZN6thrust23THRUST_200600_302600_NS11hip_rocprim14__parallel_for6kernelILj256ENS1_10for_each_fINS0_7pointerI14custom_numericNS1_3tagENS0_11use_defaultES8_EENS0_6detail16wrapped_functionINSA_23allocator_traits_detail24construct1_via_allocatorINSA_18no_throw_allocatorINSA_19temporary_allocatorIS6_S7_EEEEEEvEEEEmLj1EEEvT0_T1_SM_,comdat
	.protected	_ZN6thrust23THRUST_200600_302600_NS11hip_rocprim14__parallel_for6kernelILj256ENS1_10for_each_fINS0_7pointerI14custom_numericNS1_3tagENS0_11use_defaultES8_EENS0_6detail16wrapped_functionINSA_23allocator_traits_detail24construct1_via_allocatorINSA_18no_throw_allocatorINSA_19temporary_allocatorIS6_S7_EEEEEEvEEEEmLj1EEEvT0_T1_SM_ ; -- Begin function _ZN6thrust23THRUST_200600_302600_NS11hip_rocprim14__parallel_for6kernelILj256ENS1_10for_each_fINS0_7pointerI14custom_numericNS1_3tagENS0_11use_defaultES8_EENS0_6detail16wrapped_functionINSA_23allocator_traits_detail24construct1_via_allocatorINSA_18no_throw_allocatorINSA_19temporary_allocatorIS6_S7_EEEEEEvEEEEmLj1EEEvT0_T1_SM_
	.globl	_ZN6thrust23THRUST_200600_302600_NS11hip_rocprim14__parallel_for6kernelILj256ENS1_10for_each_fINS0_7pointerI14custom_numericNS1_3tagENS0_11use_defaultES8_EENS0_6detail16wrapped_functionINSA_23allocator_traits_detail24construct1_via_allocatorINSA_18no_throw_allocatorINSA_19temporary_allocatorIS6_S7_EEEEEEvEEEEmLj1EEEvT0_T1_SM_
	.p2align	8
	.type	_ZN6thrust23THRUST_200600_302600_NS11hip_rocprim14__parallel_for6kernelILj256ENS1_10for_each_fINS0_7pointerI14custom_numericNS1_3tagENS0_11use_defaultES8_EENS0_6detail16wrapped_functionINSA_23allocator_traits_detail24construct1_via_allocatorINSA_18no_throw_allocatorINSA_19temporary_allocatorIS6_S7_EEEEEEvEEEEmLj1EEEvT0_T1_SM_,@function
_ZN6thrust23THRUST_200600_302600_NS11hip_rocprim14__parallel_for6kernelILj256ENS1_10for_each_fINS0_7pointerI14custom_numericNS1_3tagENS0_11use_defaultES8_EENS0_6detail16wrapped_functionINSA_23allocator_traits_detail24construct1_via_allocatorINSA_18no_throw_allocatorINSA_19temporary_allocatorIS6_S7_EEEEEEvEEEEmLj1EEEvT0_T1_SM_: ; @_ZN6thrust23THRUST_200600_302600_NS11hip_rocprim14__parallel_for6kernelILj256ENS1_10for_each_fINS0_7pointerI14custom_numericNS1_3tagENS0_11use_defaultES8_EENS0_6detail16wrapped_functionINSA_23allocator_traits_detail24construct1_via_allocatorINSA_18no_throw_allocatorINSA_19temporary_allocatorIS6_S7_EEEEEEvEEEEmLj1EEEvT0_T1_SM_
; %bb.0:
	s_load_b128 s[4:7], s[0:1], 0x10
	s_bfe_u32 s2, ttmp6, 0x4000c
	s_and_b32 s3, ttmp6, 15
	s_add_co_i32 s2, s2, 1
	s_getreg_b32 s8, hwreg(HW_REG_IB_STS2, 6, 4)
	s_mul_i32 s2, ttmp9, s2
	s_wait_xcnt 0x0
	s_load_b64 s[0:1], s[0:1], 0x0
	s_add_co_i32 s3, s3, s2
	s_cmp_eq_u32 s8, 0
	s_cselect_b32 s2, ttmp9, s3
	s_mov_b32 s3, 0
	s_lshl_b32 s2, s2, 8
	s_wait_kmcnt 0x0
	s_add_nc_u64 s[2:3], s[6:7], s[2:3]
	s_delay_alu instid0(SALU_CYCLE_1) | instskip(NEXT) | instid1(SALU_CYCLE_1)
	s_sub_nc_u64 s[4:5], s[4:5], s[2:3]
	v_cmp_lt_u64_e64 s5, 0xff, s[4:5]
	s_and_b32 vcc_lo, exec_lo, s5
	s_mov_b32 s5, -1
	s_cbranch_vccz .LBB42_3
; %bb.1:
	s_and_not1_b32 vcc_lo, exec_lo, s5
	s_cbranch_vccz .LBB42_6
.LBB42_2:
	s_endpgm
.LBB42_3:
	v_cmp_gt_u32_e32 vcc_lo, s4, v0
	s_and_saveexec_b32 s4, vcc_lo
	s_cbranch_execz .LBB42_5
; %bb.4:
	s_mul_u64 s[6:7], s[2:3], 20
	v_mov_b32_e32 v2, 0
	s_add_nc_u64 s[6:7], s[0:1], s[6:7]
	s_delay_alu instid0(SALU_CYCLE_1) | instskip(NEXT) | instid1(VALU_DEP_2)
	v_mad_nc_u64_u32 v[6:7], v0, 20, s[6:7]
	v_dual_mov_b32 v3, v2 :: v_dual_mov_b32 v4, v2
	v_mov_b32_e32 v5, v2
	s_clause 0x1
	flat_store_b128 v[6:7], v[2:5]
	flat_store_b32 v[6:7], v2 offset:16
.LBB42_5:
	s_wait_xcnt 0x0
	s_or_b32 exec_lo, exec_lo, s4
	s_cbranch_execnz .LBB42_2
.LBB42_6:
	s_mul_u64 s[2:3], s[2:3], 20
	v_mov_b32_e32 v2, 0
	s_add_nc_u64 s[0:1], s[0:1], s[2:3]
	s_delay_alu instid0(SALU_CYCLE_1) | instskip(NEXT) | instid1(VALU_DEP_2)
	v_mad_nc_u64_u32 v[0:1], v0, 20, s[0:1]
	v_dual_mov_b32 v3, v2 :: v_dual_mov_b32 v4, v2
	v_mov_b32_e32 v5, v2
	s_clause 0x1
	flat_store_b128 v[0:1], v[2:5]
	flat_store_b32 v[0:1], v2 offset:16
	s_endpgm
	.section	.rodata,"a",@progbits
	.p2align	6, 0x0
	.amdhsa_kernel _ZN6thrust23THRUST_200600_302600_NS11hip_rocprim14__parallel_for6kernelILj256ENS1_10for_each_fINS0_7pointerI14custom_numericNS1_3tagENS0_11use_defaultES8_EENS0_6detail16wrapped_functionINSA_23allocator_traits_detail24construct1_via_allocatorINSA_18no_throw_allocatorINSA_19temporary_allocatorIS6_S7_EEEEEEvEEEEmLj1EEEvT0_T1_SM_
		.amdhsa_group_segment_fixed_size 0
		.amdhsa_private_segment_fixed_size 0
		.amdhsa_kernarg_size 32
		.amdhsa_user_sgpr_count 2
		.amdhsa_user_sgpr_dispatch_ptr 0
		.amdhsa_user_sgpr_queue_ptr 0
		.amdhsa_user_sgpr_kernarg_segment_ptr 1
		.amdhsa_user_sgpr_dispatch_id 0
		.amdhsa_user_sgpr_kernarg_preload_length 0
		.amdhsa_user_sgpr_kernarg_preload_offset 0
		.amdhsa_user_sgpr_private_segment_size 0
		.amdhsa_wavefront_size32 1
		.amdhsa_uses_dynamic_stack 0
		.amdhsa_enable_private_segment 0
		.amdhsa_system_sgpr_workgroup_id_x 1
		.amdhsa_system_sgpr_workgroup_id_y 0
		.amdhsa_system_sgpr_workgroup_id_z 0
		.amdhsa_system_sgpr_workgroup_info 0
		.amdhsa_system_vgpr_workitem_id 0
		.amdhsa_next_free_vgpr 8
		.amdhsa_next_free_sgpr 9
		.amdhsa_named_barrier_count 0
		.amdhsa_reserve_vcc 1
		.amdhsa_float_round_mode_32 0
		.amdhsa_float_round_mode_16_64 0
		.amdhsa_float_denorm_mode_32 3
		.amdhsa_float_denorm_mode_16_64 3
		.amdhsa_fp16_overflow 0
		.amdhsa_memory_ordered 1
		.amdhsa_forward_progress 1
		.amdhsa_inst_pref_size 3
		.amdhsa_round_robin_scheduling 0
		.amdhsa_exception_fp_ieee_invalid_op 0
		.amdhsa_exception_fp_denorm_src 0
		.amdhsa_exception_fp_ieee_div_zero 0
		.amdhsa_exception_fp_ieee_overflow 0
		.amdhsa_exception_fp_ieee_underflow 0
		.amdhsa_exception_fp_ieee_inexact 0
		.amdhsa_exception_int_div_zero 0
	.end_amdhsa_kernel
	.section	.text._ZN6thrust23THRUST_200600_302600_NS11hip_rocprim14__parallel_for6kernelILj256ENS1_10for_each_fINS0_7pointerI14custom_numericNS1_3tagENS0_11use_defaultES8_EENS0_6detail16wrapped_functionINSA_23allocator_traits_detail24construct1_via_allocatorINSA_18no_throw_allocatorINSA_19temporary_allocatorIS6_S7_EEEEEEvEEEEmLj1EEEvT0_T1_SM_,"axG",@progbits,_ZN6thrust23THRUST_200600_302600_NS11hip_rocprim14__parallel_for6kernelILj256ENS1_10for_each_fINS0_7pointerI14custom_numericNS1_3tagENS0_11use_defaultES8_EENS0_6detail16wrapped_functionINSA_23allocator_traits_detail24construct1_via_allocatorINSA_18no_throw_allocatorINSA_19temporary_allocatorIS6_S7_EEEEEEvEEEEmLj1EEEvT0_T1_SM_,comdat
.Lfunc_end42:
	.size	_ZN6thrust23THRUST_200600_302600_NS11hip_rocprim14__parallel_for6kernelILj256ENS1_10for_each_fINS0_7pointerI14custom_numericNS1_3tagENS0_11use_defaultES8_EENS0_6detail16wrapped_functionINSA_23allocator_traits_detail24construct1_via_allocatorINSA_18no_throw_allocatorINSA_19temporary_allocatorIS6_S7_EEEEEEvEEEEmLj1EEEvT0_T1_SM_, .Lfunc_end42-_ZN6thrust23THRUST_200600_302600_NS11hip_rocprim14__parallel_for6kernelILj256ENS1_10for_each_fINS0_7pointerI14custom_numericNS1_3tagENS0_11use_defaultES8_EENS0_6detail16wrapped_functionINSA_23allocator_traits_detail24construct1_via_allocatorINSA_18no_throw_allocatorINSA_19temporary_allocatorIS6_S7_EEEEEEvEEEEmLj1EEEvT0_T1_SM_
                                        ; -- End function
	.set _ZN6thrust23THRUST_200600_302600_NS11hip_rocprim14__parallel_for6kernelILj256ENS1_10for_each_fINS0_7pointerI14custom_numericNS1_3tagENS0_11use_defaultES8_EENS0_6detail16wrapped_functionINSA_23allocator_traits_detail24construct1_via_allocatorINSA_18no_throw_allocatorINSA_19temporary_allocatorIS6_S7_EEEEEEvEEEEmLj1EEEvT0_T1_SM_.num_vgpr, 8
	.set _ZN6thrust23THRUST_200600_302600_NS11hip_rocprim14__parallel_for6kernelILj256ENS1_10for_each_fINS0_7pointerI14custom_numericNS1_3tagENS0_11use_defaultES8_EENS0_6detail16wrapped_functionINSA_23allocator_traits_detail24construct1_via_allocatorINSA_18no_throw_allocatorINSA_19temporary_allocatorIS6_S7_EEEEEEvEEEEmLj1EEEvT0_T1_SM_.num_agpr, 0
	.set _ZN6thrust23THRUST_200600_302600_NS11hip_rocprim14__parallel_for6kernelILj256ENS1_10for_each_fINS0_7pointerI14custom_numericNS1_3tagENS0_11use_defaultES8_EENS0_6detail16wrapped_functionINSA_23allocator_traits_detail24construct1_via_allocatorINSA_18no_throw_allocatorINSA_19temporary_allocatorIS6_S7_EEEEEEvEEEEmLj1EEEvT0_T1_SM_.numbered_sgpr, 9
	.set _ZN6thrust23THRUST_200600_302600_NS11hip_rocprim14__parallel_for6kernelILj256ENS1_10for_each_fINS0_7pointerI14custom_numericNS1_3tagENS0_11use_defaultES8_EENS0_6detail16wrapped_functionINSA_23allocator_traits_detail24construct1_via_allocatorINSA_18no_throw_allocatorINSA_19temporary_allocatorIS6_S7_EEEEEEvEEEEmLj1EEEvT0_T1_SM_.num_named_barrier, 0
	.set _ZN6thrust23THRUST_200600_302600_NS11hip_rocprim14__parallel_for6kernelILj256ENS1_10for_each_fINS0_7pointerI14custom_numericNS1_3tagENS0_11use_defaultES8_EENS0_6detail16wrapped_functionINSA_23allocator_traits_detail24construct1_via_allocatorINSA_18no_throw_allocatorINSA_19temporary_allocatorIS6_S7_EEEEEEvEEEEmLj1EEEvT0_T1_SM_.private_seg_size, 0
	.set _ZN6thrust23THRUST_200600_302600_NS11hip_rocprim14__parallel_for6kernelILj256ENS1_10for_each_fINS0_7pointerI14custom_numericNS1_3tagENS0_11use_defaultES8_EENS0_6detail16wrapped_functionINSA_23allocator_traits_detail24construct1_via_allocatorINSA_18no_throw_allocatorINSA_19temporary_allocatorIS6_S7_EEEEEEvEEEEmLj1EEEvT0_T1_SM_.uses_vcc, 1
	.set _ZN6thrust23THRUST_200600_302600_NS11hip_rocprim14__parallel_for6kernelILj256ENS1_10for_each_fINS0_7pointerI14custom_numericNS1_3tagENS0_11use_defaultES8_EENS0_6detail16wrapped_functionINSA_23allocator_traits_detail24construct1_via_allocatorINSA_18no_throw_allocatorINSA_19temporary_allocatorIS6_S7_EEEEEEvEEEEmLj1EEEvT0_T1_SM_.uses_flat_scratch, 1
	.set _ZN6thrust23THRUST_200600_302600_NS11hip_rocprim14__parallel_for6kernelILj256ENS1_10for_each_fINS0_7pointerI14custom_numericNS1_3tagENS0_11use_defaultES8_EENS0_6detail16wrapped_functionINSA_23allocator_traits_detail24construct1_via_allocatorINSA_18no_throw_allocatorINSA_19temporary_allocatorIS6_S7_EEEEEEvEEEEmLj1EEEvT0_T1_SM_.has_dyn_sized_stack, 0
	.set _ZN6thrust23THRUST_200600_302600_NS11hip_rocprim14__parallel_for6kernelILj256ENS1_10for_each_fINS0_7pointerI14custom_numericNS1_3tagENS0_11use_defaultES8_EENS0_6detail16wrapped_functionINSA_23allocator_traits_detail24construct1_via_allocatorINSA_18no_throw_allocatorINSA_19temporary_allocatorIS6_S7_EEEEEEvEEEEmLj1EEEvT0_T1_SM_.has_recursion, 0
	.set _ZN6thrust23THRUST_200600_302600_NS11hip_rocprim14__parallel_for6kernelILj256ENS1_10for_each_fINS0_7pointerI14custom_numericNS1_3tagENS0_11use_defaultES8_EENS0_6detail16wrapped_functionINSA_23allocator_traits_detail24construct1_via_allocatorINSA_18no_throw_allocatorINSA_19temporary_allocatorIS6_S7_EEEEEEvEEEEmLj1EEEvT0_T1_SM_.has_indirect_call, 0
	.section	.AMDGPU.csdata,"",@progbits
; Kernel info:
; codeLenInByte = 272
; TotalNumSgprs: 11
; NumVgprs: 8
; ScratchSize: 0
; MemoryBound: 0
; FloatMode: 240
; IeeeMode: 1
; LDSByteSize: 0 bytes/workgroup (compile time only)
; SGPRBlocks: 0
; VGPRBlocks: 0
; NumSGPRsForWavesPerEU: 11
; NumVGPRsForWavesPerEU: 8
; NamedBarCnt: 0
; Occupancy: 16
; WaveLimiterHint : 0
; COMPUTE_PGM_RSRC2:SCRATCH_EN: 0
; COMPUTE_PGM_RSRC2:USER_SGPR: 2
; COMPUTE_PGM_RSRC2:TRAP_HANDLER: 0
; COMPUTE_PGM_RSRC2:TGID_X_EN: 1
; COMPUTE_PGM_RSRC2:TGID_Y_EN: 0
; COMPUTE_PGM_RSRC2:TGID_Z_EN: 0
; COMPUTE_PGM_RSRC2:TIDIG_COMP_CNT: 0
	.section	.text._ZN6thrust23THRUST_200600_302600_NS11hip_rocprim14__parallel_for6kernelILj256ENS1_10for_each_fINS0_7pointerI14custom_numericNS1_3tagENS0_11use_defaultES8_EENS0_6detail16wrapped_functionINSA_23allocator_traits_detail5gozerEvEEEElLj1EEEvT0_T1_SH_,"axG",@progbits,_ZN6thrust23THRUST_200600_302600_NS11hip_rocprim14__parallel_for6kernelILj256ENS1_10for_each_fINS0_7pointerI14custom_numericNS1_3tagENS0_11use_defaultES8_EENS0_6detail16wrapped_functionINSA_23allocator_traits_detail5gozerEvEEEElLj1EEEvT0_T1_SH_,comdat
	.protected	_ZN6thrust23THRUST_200600_302600_NS11hip_rocprim14__parallel_for6kernelILj256ENS1_10for_each_fINS0_7pointerI14custom_numericNS1_3tagENS0_11use_defaultES8_EENS0_6detail16wrapped_functionINSA_23allocator_traits_detail5gozerEvEEEElLj1EEEvT0_T1_SH_ ; -- Begin function _ZN6thrust23THRUST_200600_302600_NS11hip_rocprim14__parallel_for6kernelILj256ENS1_10for_each_fINS0_7pointerI14custom_numericNS1_3tagENS0_11use_defaultES8_EENS0_6detail16wrapped_functionINSA_23allocator_traits_detail5gozerEvEEEElLj1EEEvT0_T1_SH_
	.globl	_ZN6thrust23THRUST_200600_302600_NS11hip_rocprim14__parallel_for6kernelILj256ENS1_10for_each_fINS0_7pointerI14custom_numericNS1_3tagENS0_11use_defaultES8_EENS0_6detail16wrapped_functionINSA_23allocator_traits_detail5gozerEvEEEElLj1EEEvT0_T1_SH_
	.p2align	8
	.type	_ZN6thrust23THRUST_200600_302600_NS11hip_rocprim14__parallel_for6kernelILj256ENS1_10for_each_fINS0_7pointerI14custom_numericNS1_3tagENS0_11use_defaultES8_EENS0_6detail16wrapped_functionINSA_23allocator_traits_detail5gozerEvEEEElLj1EEEvT0_T1_SH_,@function
_ZN6thrust23THRUST_200600_302600_NS11hip_rocprim14__parallel_for6kernelILj256ENS1_10for_each_fINS0_7pointerI14custom_numericNS1_3tagENS0_11use_defaultES8_EENS0_6detail16wrapped_functionINSA_23allocator_traits_detail5gozerEvEEEElLj1EEEvT0_T1_SH_: ; @_ZN6thrust23THRUST_200600_302600_NS11hip_rocprim14__parallel_for6kernelILj256ENS1_10for_each_fINS0_7pointerI14custom_numericNS1_3tagENS0_11use_defaultES8_EENS0_6detail16wrapped_functionINSA_23allocator_traits_detail5gozerEvEEEElLj1EEEvT0_T1_SH_
; %bb.0:
	s_endpgm
	.section	.rodata,"a",@progbits
	.p2align	6, 0x0
	.amdhsa_kernel _ZN6thrust23THRUST_200600_302600_NS11hip_rocprim14__parallel_for6kernelILj256ENS1_10for_each_fINS0_7pointerI14custom_numericNS1_3tagENS0_11use_defaultES8_EENS0_6detail16wrapped_functionINSA_23allocator_traits_detail5gozerEvEEEElLj1EEEvT0_T1_SH_
		.amdhsa_group_segment_fixed_size 0
		.amdhsa_private_segment_fixed_size 0
		.amdhsa_kernarg_size 32
		.amdhsa_user_sgpr_count 2
		.amdhsa_user_sgpr_dispatch_ptr 0
		.amdhsa_user_sgpr_queue_ptr 0
		.amdhsa_user_sgpr_kernarg_segment_ptr 1
		.amdhsa_user_sgpr_dispatch_id 0
		.amdhsa_user_sgpr_kernarg_preload_length 0
		.amdhsa_user_sgpr_kernarg_preload_offset 0
		.amdhsa_user_sgpr_private_segment_size 0
		.amdhsa_wavefront_size32 1
		.amdhsa_uses_dynamic_stack 0
		.amdhsa_enable_private_segment 0
		.amdhsa_system_sgpr_workgroup_id_x 1
		.amdhsa_system_sgpr_workgroup_id_y 0
		.amdhsa_system_sgpr_workgroup_id_z 0
		.amdhsa_system_sgpr_workgroup_info 0
		.amdhsa_system_vgpr_workitem_id 0
		.amdhsa_next_free_vgpr 1
		.amdhsa_next_free_sgpr 1
		.amdhsa_named_barrier_count 0
		.amdhsa_reserve_vcc 0
		.amdhsa_float_round_mode_32 0
		.amdhsa_float_round_mode_16_64 0
		.amdhsa_float_denorm_mode_32 3
		.amdhsa_float_denorm_mode_16_64 3
		.amdhsa_fp16_overflow 0
		.amdhsa_memory_ordered 1
		.amdhsa_forward_progress 1
		.amdhsa_inst_pref_size 1
		.amdhsa_round_robin_scheduling 0
		.amdhsa_exception_fp_ieee_invalid_op 0
		.amdhsa_exception_fp_denorm_src 0
		.amdhsa_exception_fp_ieee_div_zero 0
		.amdhsa_exception_fp_ieee_overflow 0
		.amdhsa_exception_fp_ieee_underflow 0
		.amdhsa_exception_fp_ieee_inexact 0
		.amdhsa_exception_int_div_zero 0
	.end_amdhsa_kernel
	.section	.text._ZN6thrust23THRUST_200600_302600_NS11hip_rocprim14__parallel_for6kernelILj256ENS1_10for_each_fINS0_7pointerI14custom_numericNS1_3tagENS0_11use_defaultES8_EENS0_6detail16wrapped_functionINSA_23allocator_traits_detail5gozerEvEEEElLj1EEEvT0_T1_SH_,"axG",@progbits,_ZN6thrust23THRUST_200600_302600_NS11hip_rocprim14__parallel_for6kernelILj256ENS1_10for_each_fINS0_7pointerI14custom_numericNS1_3tagENS0_11use_defaultES8_EENS0_6detail16wrapped_functionINSA_23allocator_traits_detail5gozerEvEEEElLj1EEEvT0_T1_SH_,comdat
.Lfunc_end43:
	.size	_ZN6thrust23THRUST_200600_302600_NS11hip_rocprim14__parallel_for6kernelILj256ENS1_10for_each_fINS0_7pointerI14custom_numericNS1_3tagENS0_11use_defaultES8_EENS0_6detail16wrapped_functionINSA_23allocator_traits_detail5gozerEvEEEElLj1EEEvT0_T1_SH_, .Lfunc_end43-_ZN6thrust23THRUST_200600_302600_NS11hip_rocprim14__parallel_for6kernelILj256ENS1_10for_each_fINS0_7pointerI14custom_numericNS1_3tagENS0_11use_defaultES8_EENS0_6detail16wrapped_functionINSA_23allocator_traits_detail5gozerEvEEEElLj1EEEvT0_T1_SH_
                                        ; -- End function
	.set _ZN6thrust23THRUST_200600_302600_NS11hip_rocprim14__parallel_for6kernelILj256ENS1_10for_each_fINS0_7pointerI14custom_numericNS1_3tagENS0_11use_defaultES8_EENS0_6detail16wrapped_functionINSA_23allocator_traits_detail5gozerEvEEEElLj1EEEvT0_T1_SH_.num_vgpr, 0
	.set _ZN6thrust23THRUST_200600_302600_NS11hip_rocprim14__parallel_for6kernelILj256ENS1_10for_each_fINS0_7pointerI14custom_numericNS1_3tagENS0_11use_defaultES8_EENS0_6detail16wrapped_functionINSA_23allocator_traits_detail5gozerEvEEEElLj1EEEvT0_T1_SH_.num_agpr, 0
	.set _ZN6thrust23THRUST_200600_302600_NS11hip_rocprim14__parallel_for6kernelILj256ENS1_10for_each_fINS0_7pointerI14custom_numericNS1_3tagENS0_11use_defaultES8_EENS0_6detail16wrapped_functionINSA_23allocator_traits_detail5gozerEvEEEElLj1EEEvT0_T1_SH_.numbered_sgpr, 0
	.set _ZN6thrust23THRUST_200600_302600_NS11hip_rocprim14__parallel_for6kernelILj256ENS1_10for_each_fINS0_7pointerI14custom_numericNS1_3tagENS0_11use_defaultES8_EENS0_6detail16wrapped_functionINSA_23allocator_traits_detail5gozerEvEEEElLj1EEEvT0_T1_SH_.num_named_barrier, 0
	.set _ZN6thrust23THRUST_200600_302600_NS11hip_rocprim14__parallel_for6kernelILj256ENS1_10for_each_fINS0_7pointerI14custom_numericNS1_3tagENS0_11use_defaultES8_EENS0_6detail16wrapped_functionINSA_23allocator_traits_detail5gozerEvEEEElLj1EEEvT0_T1_SH_.private_seg_size, 0
	.set _ZN6thrust23THRUST_200600_302600_NS11hip_rocprim14__parallel_for6kernelILj256ENS1_10for_each_fINS0_7pointerI14custom_numericNS1_3tagENS0_11use_defaultES8_EENS0_6detail16wrapped_functionINSA_23allocator_traits_detail5gozerEvEEEElLj1EEEvT0_T1_SH_.uses_vcc, 0
	.set _ZN6thrust23THRUST_200600_302600_NS11hip_rocprim14__parallel_for6kernelILj256ENS1_10for_each_fINS0_7pointerI14custom_numericNS1_3tagENS0_11use_defaultES8_EENS0_6detail16wrapped_functionINSA_23allocator_traits_detail5gozerEvEEEElLj1EEEvT0_T1_SH_.uses_flat_scratch, 0
	.set _ZN6thrust23THRUST_200600_302600_NS11hip_rocprim14__parallel_for6kernelILj256ENS1_10for_each_fINS0_7pointerI14custom_numericNS1_3tagENS0_11use_defaultES8_EENS0_6detail16wrapped_functionINSA_23allocator_traits_detail5gozerEvEEEElLj1EEEvT0_T1_SH_.has_dyn_sized_stack, 0
	.set _ZN6thrust23THRUST_200600_302600_NS11hip_rocprim14__parallel_for6kernelILj256ENS1_10for_each_fINS0_7pointerI14custom_numericNS1_3tagENS0_11use_defaultES8_EENS0_6detail16wrapped_functionINSA_23allocator_traits_detail5gozerEvEEEElLj1EEEvT0_T1_SH_.has_recursion, 0
	.set _ZN6thrust23THRUST_200600_302600_NS11hip_rocprim14__parallel_for6kernelILj256ENS1_10for_each_fINS0_7pointerI14custom_numericNS1_3tagENS0_11use_defaultES8_EENS0_6detail16wrapped_functionINSA_23allocator_traits_detail5gozerEvEEEElLj1EEEvT0_T1_SH_.has_indirect_call, 0
	.section	.AMDGPU.csdata,"",@progbits
; Kernel info:
; codeLenInByte = 4
; TotalNumSgprs: 0
; NumVgprs: 0
; ScratchSize: 0
; MemoryBound: 0
; FloatMode: 240
; IeeeMode: 1
; LDSByteSize: 0 bytes/workgroup (compile time only)
; SGPRBlocks: 0
; VGPRBlocks: 0
; NumSGPRsForWavesPerEU: 1
; NumVGPRsForWavesPerEU: 1
; NamedBarCnt: 0
; Occupancy: 16
; WaveLimiterHint : 0
; COMPUTE_PGM_RSRC2:SCRATCH_EN: 0
; COMPUTE_PGM_RSRC2:USER_SGPR: 2
; COMPUTE_PGM_RSRC2:TRAP_HANDLER: 0
; COMPUTE_PGM_RSRC2:TGID_X_EN: 1
; COMPUTE_PGM_RSRC2:TGID_Y_EN: 0
; COMPUTE_PGM_RSRC2:TGID_Z_EN: 0
; COMPUTE_PGM_RSRC2:TIDIG_COMP_CNT: 0
	.section	.text._ZN6thrust23THRUST_200600_302600_NS11hip_rocprim14__parallel_for6kernelILj256ENS1_11__transform17unary_transform_fINS0_7pointerI14custom_numericNS1_3tagENS0_11use_defaultES9_EENS0_10device_ptrIS7_EENS4_14no_stencil_tagENS0_8identityIS7_EENS4_21always_true_predicateEEElLj1EEEvT0_T1_SJ_,"axG",@progbits,_ZN6thrust23THRUST_200600_302600_NS11hip_rocprim14__parallel_for6kernelILj256ENS1_11__transform17unary_transform_fINS0_7pointerI14custom_numericNS1_3tagENS0_11use_defaultES9_EENS0_10device_ptrIS7_EENS4_14no_stencil_tagENS0_8identityIS7_EENS4_21always_true_predicateEEElLj1EEEvT0_T1_SJ_,comdat
	.protected	_ZN6thrust23THRUST_200600_302600_NS11hip_rocprim14__parallel_for6kernelILj256ENS1_11__transform17unary_transform_fINS0_7pointerI14custom_numericNS1_3tagENS0_11use_defaultES9_EENS0_10device_ptrIS7_EENS4_14no_stencil_tagENS0_8identityIS7_EENS4_21always_true_predicateEEElLj1EEEvT0_T1_SJ_ ; -- Begin function _ZN6thrust23THRUST_200600_302600_NS11hip_rocprim14__parallel_for6kernelILj256ENS1_11__transform17unary_transform_fINS0_7pointerI14custom_numericNS1_3tagENS0_11use_defaultES9_EENS0_10device_ptrIS7_EENS4_14no_stencil_tagENS0_8identityIS7_EENS4_21always_true_predicateEEElLj1EEEvT0_T1_SJ_
	.globl	_ZN6thrust23THRUST_200600_302600_NS11hip_rocprim14__parallel_for6kernelILj256ENS1_11__transform17unary_transform_fINS0_7pointerI14custom_numericNS1_3tagENS0_11use_defaultES9_EENS0_10device_ptrIS7_EENS4_14no_stencil_tagENS0_8identityIS7_EENS4_21always_true_predicateEEElLj1EEEvT0_T1_SJ_
	.p2align	8
	.type	_ZN6thrust23THRUST_200600_302600_NS11hip_rocprim14__parallel_for6kernelILj256ENS1_11__transform17unary_transform_fINS0_7pointerI14custom_numericNS1_3tagENS0_11use_defaultES9_EENS0_10device_ptrIS7_EENS4_14no_stencil_tagENS0_8identityIS7_EENS4_21always_true_predicateEEElLj1EEEvT0_T1_SJ_,@function
_ZN6thrust23THRUST_200600_302600_NS11hip_rocprim14__parallel_for6kernelILj256ENS1_11__transform17unary_transform_fINS0_7pointerI14custom_numericNS1_3tagENS0_11use_defaultES9_EENS0_10device_ptrIS7_EENS4_14no_stencil_tagENS0_8identityIS7_EENS4_21always_true_predicateEEElLj1EEEvT0_T1_SJ_: ; @_ZN6thrust23THRUST_200600_302600_NS11hip_rocprim14__parallel_for6kernelILj256ENS1_11__transform17unary_transform_fINS0_7pointerI14custom_numericNS1_3tagENS0_11use_defaultES9_EENS0_10device_ptrIS7_EENS4_14no_stencil_tagENS0_8identityIS7_EENS4_21always_true_predicateEEElLj1EEEvT0_T1_SJ_
; %bb.0:
	s_load_b128 s[4:7], s[0:1], 0x18
	s_bfe_u32 s2, ttmp6, 0x4000c
	s_and_b32 s3, ttmp6, 15
	s_add_co_i32 s2, s2, 1
	s_getreg_b32 s8, hwreg(HW_REG_IB_STS2, 6, 4)
	s_mul_i32 s2, ttmp9, s2
	s_delay_alu instid0(SALU_CYCLE_1)
	s_add_co_i32 s3, s3, s2
	s_cmp_eq_u32 s8, 0
	s_cselect_b32 s2, ttmp9, s3
	s_mov_b32 s3, 0
	s_lshl_b32 s2, s2, 8
	s_wait_kmcnt 0x0
	s_add_nc_u64 s[2:3], s[6:7], s[2:3]
	s_delay_alu instid0(SALU_CYCLE_1) | instskip(NEXT) | instid1(SALU_CYCLE_1)
	s_sub_nc_u64 s[4:5], s[4:5], s[2:3]
	v_min_i64 v[2:3], 0x100, s[4:5]
	s_load_b128 s[4:7], s[0:1], 0x0
	s_wait_xcnt 0x0
	s_mov_b32 s0, -1
	s_delay_alu instid0(VALU_DEP_1)
	v_cmp_eq_u32_e32 vcc_lo, 0x100, v2
	s_cbranch_vccz .LBB44_3
; %bb.1:
	s_and_not1_b32 vcc_lo, exec_lo, s0
	s_cbranch_vccz .LBB44_6
.LBB44_2:
	s_endpgm
.LBB44_3:
	s_mov_b32 s0, exec_lo
	v_cmpx_lt_u32_e64 v0, v2
	s_cbranch_execz .LBB44_5
; %bb.4:
	v_mov_b32_e32 v1, 0
	s_delay_alu instid0(VALU_DEP_1) | instskip(NEXT) | instid1(VALU_DEP_1)
	v_add_nc_u64_e32 v[4:5], s[2:3], v[0:1]
	v_mul_lo_u32 v1, v5, 20
	s_wait_kmcnt 0x0
	s_delay_alu instid0(VALU_DEP_2) | instskip(SKIP_1) | instid1(VALU_DEP_2)
	v_mad_nc_u64_u32 v[2:3], v4, 20, s[4:5]
	v_mad_nc_u64_u32 v[6:7], v4, 20, s[6:7]
	v_add_nc_u32_e32 v3, v1, v3
	flat_load_b32 v2, v[2:3]
	s_wait_loadcnt_dscnt 0x0
	v_dual_add_nc_u32 v7, v1, v7 :: v_dual_mov_b32 v5, v2
	v_dual_mov_b32 v3, v2 :: v_dual_mov_b32 v4, v2
	s_clause 0x1
	flat_store_b128 v[6:7], v[2:5]
	flat_store_b32 v[6:7], v2 offset:16
.LBB44_5:
	s_wait_xcnt 0x0
	s_or_b32 exec_lo, exec_lo, s0
	s_cbranch_execnz .LBB44_2
.LBB44_6:
	v_mov_b32_e32 v1, 0
	s_delay_alu instid0(VALU_DEP_1) | instskip(SKIP_1) | instid1(VALU_DEP_1)
	v_add_nc_u64_e32 v[2:3], s[2:3], v[0:1]
	s_wait_kmcnt 0x0
	v_mad_nc_u64_u32 v[0:1], v2, 20, s[4:5]
	s_delay_alu instid0(VALU_DEP_2) | instskip(SKIP_1) | instid1(VALU_DEP_2)
	v_mul_lo_u32 v3, v3, 20
	v_mad_nc_u64_u32 v[4:5], v2, 20, s[6:7]
	v_add_nc_u32_e32 v1, v3, v1
	s_delay_alu instid0(VALU_DEP_2)
	v_add_nc_u32_e32 v5, v3, v5
	flat_load_b32 v0, v[0:1]
	s_wait_loadcnt_dscnt 0x0
	v_dual_mov_b32 v1, v0 :: v_dual_mov_b32 v3, v0
	v_mov_b32_e32 v2, v0
	s_clause 0x1
	flat_store_b128 v[4:5], v[0:3]
	flat_store_b32 v[4:5], v0 offset:16
	s_endpgm
	.section	.rodata,"a",@progbits
	.p2align	6, 0x0
	.amdhsa_kernel _ZN6thrust23THRUST_200600_302600_NS11hip_rocprim14__parallel_for6kernelILj256ENS1_11__transform17unary_transform_fINS0_7pointerI14custom_numericNS1_3tagENS0_11use_defaultES9_EENS0_10device_ptrIS7_EENS4_14no_stencil_tagENS0_8identityIS7_EENS4_21always_true_predicateEEElLj1EEEvT0_T1_SJ_
		.amdhsa_group_segment_fixed_size 0
		.amdhsa_private_segment_fixed_size 0
		.amdhsa_kernarg_size 40
		.amdhsa_user_sgpr_count 2
		.amdhsa_user_sgpr_dispatch_ptr 0
		.amdhsa_user_sgpr_queue_ptr 0
		.amdhsa_user_sgpr_kernarg_segment_ptr 1
		.amdhsa_user_sgpr_dispatch_id 0
		.amdhsa_user_sgpr_kernarg_preload_length 0
		.amdhsa_user_sgpr_kernarg_preload_offset 0
		.amdhsa_user_sgpr_private_segment_size 0
		.amdhsa_wavefront_size32 1
		.amdhsa_uses_dynamic_stack 0
		.amdhsa_enable_private_segment 0
		.amdhsa_system_sgpr_workgroup_id_x 1
		.amdhsa_system_sgpr_workgroup_id_y 0
		.amdhsa_system_sgpr_workgroup_id_z 0
		.amdhsa_system_sgpr_workgroup_info 0
		.amdhsa_system_vgpr_workitem_id 0
		.amdhsa_next_free_vgpr 8
		.amdhsa_next_free_sgpr 9
		.amdhsa_named_barrier_count 0
		.amdhsa_reserve_vcc 1
		.amdhsa_float_round_mode_32 0
		.amdhsa_float_round_mode_16_64 0
		.amdhsa_float_denorm_mode_32 3
		.amdhsa_float_denorm_mode_16_64 3
		.amdhsa_fp16_overflow 0
		.amdhsa_memory_ordered 1
		.amdhsa_forward_progress 1
		.amdhsa_inst_pref_size 4
		.amdhsa_round_robin_scheduling 0
		.amdhsa_exception_fp_ieee_invalid_op 0
		.amdhsa_exception_fp_denorm_src 0
		.amdhsa_exception_fp_ieee_div_zero 0
		.amdhsa_exception_fp_ieee_overflow 0
		.amdhsa_exception_fp_ieee_underflow 0
		.amdhsa_exception_fp_ieee_inexact 0
		.amdhsa_exception_int_div_zero 0
	.end_amdhsa_kernel
	.section	.text._ZN6thrust23THRUST_200600_302600_NS11hip_rocprim14__parallel_for6kernelILj256ENS1_11__transform17unary_transform_fINS0_7pointerI14custom_numericNS1_3tagENS0_11use_defaultES9_EENS0_10device_ptrIS7_EENS4_14no_stencil_tagENS0_8identityIS7_EENS4_21always_true_predicateEEElLj1EEEvT0_T1_SJ_,"axG",@progbits,_ZN6thrust23THRUST_200600_302600_NS11hip_rocprim14__parallel_for6kernelILj256ENS1_11__transform17unary_transform_fINS0_7pointerI14custom_numericNS1_3tagENS0_11use_defaultES9_EENS0_10device_ptrIS7_EENS4_14no_stencil_tagENS0_8identityIS7_EENS4_21always_true_predicateEEElLj1EEEvT0_T1_SJ_,comdat
.Lfunc_end44:
	.size	_ZN6thrust23THRUST_200600_302600_NS11hip_rocprim14__parallel_for6kernelILj256ENS1_11__transform17unary_transform_fINS0_7pointerI14custom_numericNS1_3tagENS0_11use_defaultES9_EENS0_10device_ptrIS7_EENS4_14no_stencil_tagENS0_8identityIS7_EENS4_21always_true_predicateEEElLj1EEEvT0_T1_SJ_, .Lfunc_end44-_ZN6thrust23THRUST_200600_302600_NS11hip_rocprim14__parallel_for6kernelILj256ENS1_11__transform17unary_transform_fINS0_7pointerI14custom_numericNS1_3tagENS0_11use_defaultES9_EENS0_10device_ptrIS7_EENS4_14no_stencil_tagENS0_8identityIS7_EENS4_21always_true_predicateEEElLj1EEEvT0_T1_SJ_
                                        ; -- End function
	.set _ZN6thrust23THRUST_200600_302600_NS11hip_rocprim14__parallel_for6kernelILj256ENS1_11__transform17unary_transform_fINS0_7pointerI14custom_numericNS1_3tagENS0_11use_defaultES9_EENS0_10device_ptrIS7_EENS4_14no_stencil_tagENS0_8identityIS7_EENS4_21always_true_predicateEEElLj1EEEvT0_T1_SJ_.num_vgpr, 8
	.set _ZN6thrust23THRUST_200600_302600_NS11hip_rocprim14__parallel_for6kernelILj256ENS1_11__transform17unary_transform_fINS0_7pointerI14custom_numericNS1_3tagENS0_11use_defaultES9_EENS0_10device_ptrIS7_EENS4_14no_stencil_tagENS0_8identityIS7_EENS4_21always_true_predicateEEElLj1EEEvT0_T1_SJ_.num_agpr, 0
	.set _ZN6thrust23THRUST_200600_302600_NS11hip_rocprim14__parallel_for6kernelILj256ENS1_11__transform17unary_transform_fINS0_7pointerI14custom_numericNS1_3tagENS0_11use_defaultES9_EENS0_10device_ptrIS7_EENS4_14no_stencil_tagENS0_8identityIS7_EENS4_21always_true_predicateEEElLj1EEEvT0_T1_SJ_.numbered_sgpr, 9
	.set _ZN6thrust23THRUST_200600_302600_NS11hip_rocprim14__parallel_for6kernelILj256ENS1_11__transform17unary_transform_fINS0_7pointerI14custom_numericNS1_3tagENS0_11use_defaultES9_EENS0_10device_ptrIS7_EENS4_14no_stencil_tagENS0_8identityIS7_EENS4_21always_true_predicateEEElLj1EEEvT0_T1_SJ_.num_named_barrier, 0
	.set _ZN6thrust23THRUST_200600_302600_NS11hip_rocprim14__parallel_for6kernelILj256ENS1_11__transform17unary_transform_fINS0_7pointerI14custom_numericNS1_3tagENS0_11use_defaultES9_EENS0_10device_ptrIS7_EENS4_14no_stencil_tagENS0_8identityIS7_EENS4_21always_true_predicateEEElLj1EEEvT0_T1_SJ_.private_seg_size, 0
	.set _ZN6thrust23THRUST_200600_302600_NS11hip_rocprim14__parallel_for6kernelILj256ENS1_11__transform17unary_transform_fINS0_7pointerI14custom_numericNS1_3tagENS0_11use_defaultES9_EENS0_10device_ptrIS7_EENS4_14no_stencil_tagENS0_8identityIS7_EENS4_21always_true_predicateEEElLj1EEEvT0_T1_SJ_.uses_vcc, 1
	.set _ZN6thrust23THRUST_200600_302600_NS11hip_rocprim14__parallel_for6kernelILj256ENS1_11__transform17unary_transform_fINS0_7pointerI14custom_numericNS1_3tagENS0_11use_defaultES9_EENS0_10device_ptrIS7_EENS4_14no_stencil_tagENS0_8identityIS7_EENS4_21always_true_predicateEEElLj1EEEvT0_T1_SJ_.uses_flat_scratch, 1
	.set _ZN6thrust23THRUST_200600_302600_NS11hip_rocprim14__parallel_for6kernelILj256ENS1_11__transform17unary_transform_fINS0_7pointerI14custom_numericNS1_3tagENS0_11use_defaultES9_EENS0_10device_ptrIS7_EENS4_14no_stencil_tagENS0_8identityIS7_EENS4_21always_true_predicateEEElLj1EEEvT0_T1_SJ_.has_dyn_sized_stack, 0
	.set _ZN6thrust23THRUST_200600_302600_NS11hip_rocprim14__parallel_for6kernelILj256ENS1_11__transform17unary_transform_fINS0_7pointerI14custom_numericNS1_3tagENS0_11use_defaultES9_EENS0_10device_ptrIS7_EENS4_14no_stencil_tagENS0_8identityIS7_EENS4_21always_true_predicateEEElLj1EEEvT0_T1_SJ_.has_recursion, 0
	.set _ZN6thrust23THRUST_200600_302600_NS11hip_rocprim14__parallel_for6kernelILj256ENS1_11__transform17unary_transform_fINS0_7pointerI14custom_numericNS1_3tagENS0_11use_defaultES9_EENS0_10device_ptrIS7_EENS4_14no_stencil_tagENS0_8identityIS7_EENS4_21always_true_predicateEEElLj1EEEvT0_T1_SJ_.has_indirect_call, 0
	.section	.AMDGPU.csdata,"",@progbits
; Kernel info:
; codeLenInByte = 388
; TotalNumSgprs: 11
; NumVgprs: 8
; ScratchSize: 0
; MemoryBound: 0
; FloatMode: 240
; IeeeMode: 1
; LDSByteSize: 0 bytes/workgroup (compile time only)
; SGPRBlocks: 0
; VGPRBlocks: 0
; NumSGPRsForWavesPerEU: 11
; NumVGPRsForWavesPerEU: 8
; NamedBarCnt: 0
; Occupancy: 16
; WaveLimiterHint : 0
; COMPUTE_PGM_RSRC2:SCRATCH_EN: 0
; COMPUTE_PGM_RSRC2:USER_SGPR: 2
; COMPUTE_PGM_RSRC2:TRAP_HANDLER: 0
; COMPUTE_PGM_RSRC2:TGID_X_EN: 1
; COMPUTE_PGM_RSRC2:TGID_Y_EN: 0
; COMPUTE_PGM_RSRC2:TGID_Z_EN: 0
; COMPUTE_PGM_RSRC2:TIDIG_COMP_CNT: 0
	.section	.text._ZN6thrust23THRUST_200600_302600_NS11hip_rocprim14__parallel_for6kernelILj256ENS1_20__uninitialized_copy7functorINS0_7pointerI14custom_numericNS1_3tagENS0_11use_defaultES9_EESA_EEmLj1EEEvT0_T1_SD_,"axG",@progbits,_ZN6thrust23THRUST_200600_302600_NS11hip_rocprim14__parallel_for6kernelILj256ENS1_20__uninitialized_copy7functorINS0_7pointerI14custom_numericNS1_3tagENS0_11use_defaultES9_EESA_EEmLj1EEEvT0_T1_SD_,comdat
	.protected	_ZN6thrust23THRUST_200600_302600_NS11hip_rocprim14__parallel_for6kernelILj256ENS1_20__uninitialized_copy7functorINS0_7pointerI14custom_numericNS1_3tagENS0_11use_defaultES9_EESA_EEmLj1EEEvT0_T1_SD_ ; -- Begin function _ZN6thrust23THRUST_200600_302600_NS11hip_rocprim14__parallel_for6kernelILj256ENS1_20__uninitialized_copy7functorINS0_7pointerI14custom_numericNS1_3tagENS0_11use_defaultES9_EESA_EEmLj1EEEvT0_T1_SD_
	.globl	_ZN6thrust23THRUST_200600_302600_NS11hip_rocprim14__parallel_for6kernelILj256ENS1_20__uninitialized_copy7functorINS0_7pointerI14custom_numericNS1_3tagENS0_11use_defaultES9_EESA_EEmLj1EEEvT0_T1_SD_
	.p2align	8
	.type	_ZN6thrust23THRUST_200600_302600_NS11hip_rocprim14__parallel_for6kernelILj256ENS1_20__uninitialized_copy7functorINS0_7pointerI14custom_numericNS1_3tagENS0_11use_defaultES9_EESA_EEmLj1EEEvT0_T1_SD_,@function
_ZN6thrust23THRUST_200600_302600_NS11hip_rocprim14__parallel_for6kernelILj256ENS1_20__uninitialized_copy7functorINS0_7pointerI14custom_numericNS1_3tagENS0_11use_defaultES9_EESA_EEmLj1EEEvT0_T1_SD_: ; @_ZN6thrust23THRUST_200600_302600_NS11hip_rocprim14__parallel_for6kernelILj256ENS1_20__uninitialized_copy7functorINS0_7pointerI14custom_numericNS1_3tagENS0_11use_defaultES9_EESA_EEmLj1EEEvT0_T1_SD_
; %bb.0:
	s_load_b256 s[4:11], s[0:1], 0x0
	s_wait_xcnt 0x0
	s_bfe_u32 s0, ttmp6, 0x4000c
	s_and_b32 s1, ttmp6, 15
	s_add_co_i32 s0, s0, 1
	s_getreg_b32 s2, hwreg(HW_REG_IB_STS2, 6, 4)
	s_mul_i32 s0, ttmp9, s0
	s_delay_alu instid0(SALU_CYCLE_1)
	s_add_co_i32 s1, s1, s0
	s_cmp_eq_u32 s2, 0
	s_cselect_b32 s0, ttmp9, s1
	s_mov_b32 s1, 0
	s_lshl_b32 s0, s0, 8
	s_wait_kmcnt 0x0
	s_add_nc_u64 s[0:1], s[10:11], s[0:1]
	s_delay_alu instid0(SALU_CYCLE_1) | instskip(NEXT) | instid1(SALU_CYCLE_1)
	s_sub_nc_u64 s[2:3], s[8:9], s[0:1]
	v_cmp_lt_u64_e64 s3, 0xff, s[2:3]
	s_and_b32 vcc_lo, exec_lo, s3
	s_mov_b32 s3, -1
	s_cbranch_vccz .LBB45_3
; %bb.1:
	s_and_not1_b32 vcc_lo, exec_lo, s3
	s_cbranch_vccz .LBB45_6
.LBB45_2:
	s_endpgm
.LBB45_3:
	v_cmp_gt_u32_e32 vcc_lo, s2, v0
	s_and_saveexec_b32 s2, vcc_lo
	s_cbranch_execz .LBB45_5
; %bb.4:
	v_mov_b32_e32 v1, 0
	s_delay_alu instid0(VALU_DEP_1) | instskip(NEXT) | instid1(VALU_DEP_1)
	v_add_nc_u64_e32 v[4:5], s[0:1], v[0:1]
	v_mul_lo_u32 v1, v5, 20
	s_delay_alu instid0(VALU_DEP_2) | instskip(SKIP_1) | instid1(VALU_DEP_2)
	v_mad_nc_u64_u32 v[2:3], v4, 20, s[4:5]
	v_mad_nc_u64_u32 v[6:7], v4, 20, s[6:7]
	v_add_nc_u32_e32 v3, v1, v3
	flat_load_b32 v2, v[2:3]
	s_wait_loadcnt_dscnt 0x0
	v_dual_add_nc_u32 v7, v1, v7 :: v_dual_mov_b32 v5, v2
	v_dual_mov_b32 v3, v2 :: v_dual_mov_b32 v4, v2
	s_clause 0x1
	flat_store_b128 v[6:7], v[2:5]
	flat_store_b32 v[6:7], v2 offset:16
.LBB45_5:
	s_wait_xcnt 0x0
	s_or_b32 exec_lo, exec_lo, s2
	s_cbranch_execnz .LBB45_2
.LBB45_6:
	v_mov_b32_e32 v1, 0
	s_delay_alu instid0(VALU_DEP_1) | instskip(NEXT) | instid1(VALU_DEP_1)
	v_add_nc_u64_e32 v[2:3], s[0:1], v[0:1]
	v_mad_nc_u64_u32 v[0:1], v2, 20, s[4:5]
	s_delay_alu instid0(VALU_DEP_2) | instskip(SKIP_1) | instid1(VALU_DEP_2)
	v_mul_lo_u32 v3, v3, 20
	v_mad_nc_u64_u32 v[4:5], v2, 20, s[6:7]
	v_add_nc_u32_e32 v1, v3, v1
	s_delay_alu instid0(VALU_DEP_2)
	v_add_nc_u32_e32 v5, v3, v5
	flat_load_b32 v0, v[0:1]
	s_wait_loadcnt_dscnt 0x0
	v_dual_mov_b32 v1, v0 :: v_dual_mov_b32 v3, v0
	v_mov_b32_e32 v2, v0
	s_clause 0x1
	flat_store_b128 v[4:5], v[0:3]
	flat_store_b32 v[4:5], v0 offset:16
	s_endpgm
	.section	.rodata,"a",@progbits
	.p2align	6, 0x0
	.amdhsa_kernel _ZN6thrust23THRUST_200600_302600_NS11hip_rocprim14__parallel_for6kernelILj256ENS1_20__uninitialized_copy7functorINS0_7pointerI14custom_numericNS1_3tagENS0_11use_defaultES9_EESA_EEmLj1EEEvT0_T1_SD_
		.amdhsa_group_segment_fixed_size 0
		.amdhsa_private_segment_fixed_size 0
		.amdhsa_kernarg_size 32
		.amdhsa_user_sgpr_count 2
		.amdhsa_user_sgpr_dispatch_ptr 0
		.amdhsa_user_sgpr_queue_ptr 0
		.amdhsa_user_sgpr_kernarg_segment_ptr 1
		.amdhsa_user_sgpr_dispatch_id 0
		.amdhsa_user_sgpr_kernarg_preload_length 0
		.amdhsa_user_sgpr_kernarg_preload_offset 0
		.amdhsa_user_sgpr_private_segment_size 0
		.amdhsa_wavefront_size32 1
		.amdhsa_uses_dynamic_stack 0
		.amdhsa_enable_private_segment 0
		.amdhsa_system_sgpr_workgroup_id_x 1
		.amdhsa_system_sgpr_workgroup_id_y 0
		.amdhsa_system_sgpr_workgroup_id_z 0
		.amdhsa_system_sgpr_workgroup_info 0
		.amdhsa_system_vgpr_workitem_id 0
		.amdhsa_next_free_vgpr 8
		.amdhsa_next_free_sgpr 12
		.amdhsa_named_barrier_count 0
		.amdhsa_reserve_vcc 1
		.amdhsa_float_round_mode_32 0
		.amdhsa_float_round_mode_16_64 0
		.amdhsa_float_denorm_mode_32 3
		.amdhsa_float_denorm_mode_16_64 3
		.amdhsa_fp16_overflow 0
		.amdhsa_memory_ordered 1
		.amdhsa_forward_progress 1
		.amdhsa_inst_pref_size 3
		.amdhsa_round_robin_scheduling 0
		.amdhsa_exception_fp_ieee_invalid_op 0
		.amdhsa_exception_fp_denorm_src 0
		.amdhsa_exception_fp_ieee_div_zero 0
		.amdhsa_exception_fp_ieee_overflow 0
		.amdhsa_exception_fp_ieee_underflow 0
		.amdhsa_exception_fp_ieee_inexact 0
		.amdhsa_exception_int_div_zero 0
	.end_amdhsa_kernel
	.section	.text._ZN6thrust23THRUST_200600_302600_NS11hip_rocprim14__parallel_for6kernelILj256ENS1_20__uninitialized_copy7functorINS0_7pointerI14custom_numericNS1_3tagENS0_11use_defaultES9_EESA_EEmLj1EEEvT0_T1_SD_,"axG",@progbits,_ZN6thrust23THRUST_200600_302600_NS11hip_rocprim14__parallel_for6kernelILj256ENS1_20__uninitialized_copy7functorINS0_7pointerI14custom_numericNS1_3tagENS0_11use_defaultES9_EESA_EEmLj1EEEvT0_T1_SD_,comdat
.Lfunc_end45:
	.size	_ZN6thrust23THRUST_200600_302600_NS11hip_rocprim14__parallel_for6kernelILj256ENS1_20__uninitialized_copy7functorINS0_7pointerI14custom_numericNS1_3tagENS0_11use_defaultES9_EESA_EEmLj1EEEvT0_T1_SD_, .Lfunc_end45-_ZN6thrust23THRUST_200600_302600_NS11hip_rocprim14__parallel_for6kernelILj256ENS1_20__uninitialized_copy7functorINS0_7pointerI14custom_numericNS1_3tagENS0_11use_defaultES9_EESA_EEmLj1EEEvT0_T1_SD_
                                        ; -- End function
	.set _ZN6thrust23THRUST_200600_302600_NS11hip_rocprim14__parallel_for6kernelILj256ENS1_20__uninitialized_copy7functorINS0_7pointerI14custom_numericNS1_3tagENS0_11use_defaultES9_EESA_EEmLj1EEEvT0_T1_SD_.num_vgpr, 8
	.set _ZN6thrust23THRUST_200600_302600_NS11hip_rocprim14__parallel_for6kernelILj256ENS1_20__uninitialized_copy7functorINS0_7pointerI14custom_numericNS1_3tagENS0_11use_defaultES9_EESA_EEmLj1EEEvT0_T1_SD_.num_agpr, 0
	.set _ZN6thrust23THRUST_200600_302600_NS11hip_rocprim14__parallel_for6kernelILj256ENS1_20__uninitialized_copy7functorINS0_7pointerI14custom_numericNS1_3tagENS0_11use_defaultES9_EESA_EEmLj1EEEvT0_T1_SD_.numbered_sgpr, 12
	.set _ZN6thrust23THRUST_200600_302600_NS11hip_rocprim14__parallel_for6kernelILj256ENS1_20__uninitialized_copy7functorINS0_7pointerI14custom_numericNS1_3tagENS0_11use_defaultES9_EESA_EEmLj1EEEvT0_T1_SD_.num_named_barrier, 0
	.set _ZN6thrust23THRUST_200600_302600_NS11hip_rocprim14__parallel_for6kernelILj256ENS1_20__uninitialized_copy7functorINS0_7pointerI14custom_numericNS1_3tagENS0_11use_defaultES9_EESA_EEmLj1EEEvT0_T1_SD_.private_seg_size, 0
	.set _ZN6thrust23THRUST_200600_302600_NS11hip_rocprim14__parallel_for6kernelILj256ENS1_20__uninitialized_copy7functorINS0_7pointerI14custom_numericNS1_3tagENS0_11use_defaultES9_EESA_EEmLj1EEEvT0_T1_SD_.uses_vcc, 1
	.set _ZN6thrust23THRUST_200600_302600_NS11hip_rocprim14__parallel_for6kernelILj256ENS1_20__uninitialized_copy7functorINS0_7pointerI14custom_numericNS1_3tagENS0_11use_defaultES9_EESA_EEmLj1EEEvT0_T1_SD_.uses_flat_scratch, 1
	.set _ZN6thrust23THRUST_200600_302600_NS11hip_rocprim14__parallel_for6kernelILj256ENS1_20__uninitialized_copy7functorINS0_7pointerI14custom_numericNS1_3tagENS0_11use_defaultES9_EESA_EEmLj1EEEvT0_T1_SD_.has_dyn_sized_stack, 0
	.set _ZN6thrust23THRUST_200600_302600_NS11hip_rocprim14__parallel_for6kernelILj256ENS1_20__uninitialized_copy7functorINS0_7pointerI14custom_numericNS1_3tagENS0_11use_defaultES9_EESA_EEmLj1EEEvT0_T1_SD_.has_recursion, 0
	.set _ZN6thrust23THRUST_200600_302600_NS11hip_rocprim14__parallel_for6kernelILj256ENS1_20__uninitialized_copy7functorINS0_7pointerI14custom_numericNS1_3tagENS0_11use_defaultES9_EESA_EEmLj1EEEvT0_T1_SD_.has_indirect_call, 0
	.section	.AMDGPU.csdata,"",@progbits
; Kernel info:
; codeLenInByte = 360
; TotalNumSgprs: 14
; NumVgprs: 8
; ScratchSize: 0
; MemoryBound: 0
; FloatMode: 240
; IeeeMode: 1
; LDSByteSize: 0 bytes/workgroup (compile time only)
; SGPRBlocks: 0
; VGPRBlocks: 0
; NumSGPRsForWavesPerEU: 14
; NumVGPRsForWavesPerEU: 8
; NamedBarCnt: 0
; Occupancy: 16
; WaveLimiterHint : 0
; COMPUTE_PGM_RSRC2:SCRATCH_EN: 0
; COMPUTE_PGM_RSRC2:USER_SGPR: 2
; COMPUTE_PGM_RSRC2:TRAP_HANDLER: 0
; COMPUTE_PGM_RSRC2:TGID_X_EN: 1
; COMPUTE_PGM_RSRC2:TGID_Y_EN: 0
; COMPUTE_PGM_RSRC2:TGID_Z_EN: 0
; COMPUTE_PGM_RSRC2:TIDIG_COMP_CNT: 0
	.section	.text._ZN6thrust23THRUST_200600_302600_NS11hip_rocprim14__parallel_for6kernelILj256ENS1_11__transform17unary_transform_fINS0_7pointerI14custom_numericNS1_3tagENS0_11use_defaultES9_EENS0_6detail15normal_iteratorISA_EENS4_14no_stencil_tagENS0_8identityIS7_EENS4_21always_true_predicateEEElLj1EEEvT0_T1_SK_,"axG",@progbits,_ZN6thrust23THRUST_200600_302600_NS11hip_rocprim14__parallel_for6kernelILj256ENS1_11__transform17unary_transform_fINS0_7pointerI14custom_numericNS1_3tagENS0_11use_defaultES9_EENS0_6detail15normal_iteratorISA_EENS4_14no_stencil_tagENS0_8identityIS7_EENS4_21always_true_predicateEEElLj1EEEvT0_T1_SK_,comdat
	.protected	_ZN6thrust23THRUST_200600_302600_NS11hip_rocprim14__parallel_for6kernelILj256ENS1_11__transform17unary_transform_fINS0_7pointerI14custom_numericNS1_3tagENS0_11use_defaultES9_EENS0_6detail15normal_iteratorISA_EENS4_14no_stencil_tagENS0_8identityIS7_EENS4_21always_true_predicateEEElLj1EEEvT0_T1_SK_ ; -- Begin function _ZN6thrust23THRUST_200600_302600_NS11hip_rocprim14__parallel_for6kernelILj256ENS1_11__transform17unary_transform_fINS0_7pointerI14custom_numericNS1_3tagENS0_11use_defaultES9_EENS0_6detail15normal_iteratorISA_EENS4_14no_stencil_tagENS0_8identityIS7_EENS4_21always_true_predicateEEElLj1EEEvT0_T1_SK_
	.globl	_ZN6thrust23THRUST_200600_302600_NS11hip_rocprim14__parallel_for6kernelILj256ENS1_11__transform17unary_transform_fINS0_7pointerI14custom_numericNS1_3tagENS0_11use_defaultES9_EENS0_6detail15normal_iteratorISA_EENS4_14no_stencil_tagENS0_8identityIS7_EENS4_21always_true_predicateEEElLj1EEEvT0_T1_SK_
	.p2align	8
	.type	_ZN6thrust23THRUST_200600_302600_NS11hip_rocprim14__parallel_for6kernelILj256ENS1_11__transform17unary_transform_fINS0_7pointerI14custom_numericNS1_3tagENS0_11use_defaultES9_EENS0_6detail15normal_iteratorISA_EENS4_14no_stencil_tagENS0_8identityIS7_EENS4_21always_true_predicateEEElLj1EEEvT0_T1_SK_,@function
_ZN6thrust23THRUST_200600_302600_NS11hip_rocprim14__parallel_for6kernelILj256ENS1_11__transform17unary_transform_fINS0_7pointerI14custom_numericNS1_3tagENS0_11use_defaultES9_EENS0_6detail15normal_iteratorISA_EENS4_14no_stencil_tagENS0_8identityIS7_EENS4_21always_true_predicateEEElLj1EEEvT0_T1_SK_: ; @_ZN6thrust23THRUST_200600_302600_NS11hip_rocprim14__parallel_for6kernelILj256ENS1_11__transform17unary_transform_fINS0_7pointerI14custom_numericNS1_3tagENS0_11use_defaultES9_EENS0_6detail15normal_iteratorISA_EENS4_14no_stencil_tagENS0_8identityIS7_EENS4_21always_true_predicateEEElLj1EEEvT0_T1_SK_
; %bb.0:
	s_load_b128 s[4:7], s[0:1], 0x18
	s_bfe_u32 s2, ttmp6, 0x4000c
	s_and_b32 s3, ttmp6, 15
	s_add_co_i32 s2, s2, 1
	s_getreg_b32 s8, hwreg(HW_REG_IB_STS2, 6, 4)
	s_mul_i32 s2, ttmp9, s2
	s_delay_alu instid0(SALU_CYCLE_1)
	s_add_co_i32 s3, s3, s2
	s_cmp_eq_u32 s8, 0
	s_cselect_b32 s2, ttmp9, s3
	s_mov_b32 s3, 0
	s_lshl_b32 s2, s2, 8
	s_wait_kmcnt 0x0
	s_add_nc_u64 s[2:3], s[6:7], s[2:3]
	s_delay_alu instid0(SALU_CYCLE_1) | instskip(NEXT) | instid1(SALU_CYCLE_1)
	s_sub_nc_u64 s[4:5], s[4:5], s[2:3]
	v_min_i64 v[2:3], 0x100, s[4:5]
	s_load_b128 s[4:7], s[0:1], 0x0
	s_wait_xcnt 0x0
	s_mov_b32 s0, -1
	s_delay_alu instid0(VALU_DEP_1)
	v_cmp_eq_u32_e32 vcc_lo, 0x100, v2
	s_cbranch_vccz .LBB46_3
; %bb.1:
	s_and_not1_b32 vcc_lo, exec_lo, s0
	s_cbranch_vccz .LBB46_6
.LBB46_2:
	s_endpgm
.LBB46_3:
	s_mov_b32 s0, exec_lo
	v_cmpx_lt_u32_e64 v0, v2
	s_cbranch_execz .LBB46_5
; %bb.4:
	v_mov_b32_e32 v1, 0
	s_delay_alu instid0(VALU_DEP_1) | instskip(NEXT) | instid1(VALU_DEP_1)
	v_add_nc_u64_e32 v[4:5], s[2:3], v[0:1]
	v_mul_lo_u32 v1, v5, 20
	s_wait_kmcnt 0x0
	s_delay_alu instid0(VALU_DEP_2) | instskip(SKIP_1) | instid1(VALU_DEP_2)
	v_mad_nc_u64_u32 v[2:3], v4, 20, s[4:5]
	v_mad_nc_u64_u32 v[6:7], v4, 20, s[6:7]
	v_add_nc_u32_e32 v3, v1, v3
	flat_load_b32 v2, v[2:3]
	s_wait_loadcnt_dscnt 0x0
	v_dual_add_nc_u32 v7, v1, v7 :: v_dual_mov_b32 v5, v2
	v_dual_mov_b32 v3, v2 :: v_dual_mov_b32 v4, v2
	s_clause 0x1
	flat_store_b128 v[6:7], v[2:5]
	flat_store_b32 v[6:7], v2 offset:16
.LBB46_5:
	s_wait_xcnt 0x0
	s_or_b32 exec_lo, exec_lo, s0
	s_cbranch_execnz .LBB46_2
.LBB46_6:
	v_mov_b32_e32 v1, 0
	s_delay_alu instid0(VALU_DEP_1) | instskip(SKIP_1) | instid1(VALU_DEP_1)
	v_add_nc_u64_e32 v[2:3], s[2:3], v[0:1]
	s_wait_kmcnt 0x0
	v_mad_nc_u64_u32 v[0:1], v2, 20, s[4:5]
	s_delay_alu instid0(VALU_DEP_2) | instskip(SKIP_1) | instid1(VALU_DEP_2)
	v_mul_lo_u32 v3, v3, 20
	v_mad_nc_u64_u32 v[4:5], v2, 20, s[6:7]
	v_add_nc_u32_e32 v1, v3, v1
	s_delay_alu instid0(VALU_DEP_2)
	v_add_nc_u32_e32 v5, v3, v5
	flat_load_b32 v0, v[0:1]
	s_wait_loadcnt_dscnt 0x0
	v_dual_mov_b32 v1, v0 :: v_dual_mov_b32 v3, v0
	v_mov_b32_e32 v2, v0
	s_clause 0x1
	flat_store_b128 v[4:5], v[0:3]
	flat_store_b32 v[4:5], v0 offset:16
	s_endpgm
	.section	.rodata,"a",@progbits
	.p2align	6, 0x0
	.amdhsa_kernel _ZN6thrust23THRUST_200600_302600_NS11hip_rocprim14__parallel_for6kernelILj256ENS1_11__transform17unary_transform_fINS0_7pointerI14custom_numericNS1_3tagENS0_11use_defaultES9_EENS0_6detail15normal_iteratorISA_EENS4_14no_stencil_tagENS0_8identityIS7_EENS4_21always_true_predicateEEElLj1EEEvT0_T1_SK_
		.amdhsa_group_segment_fixed_size 0
		.amdhsa_private_segment_fixed_size 0
		.amdhsa_kernarg_size 40
		.amdhsa_user_sgpr_count 2
		.amdhsa_user_sgpr_dispatch_ptr 0
		.amdhsa_user_sgpr_queue_ptr 0
		.amdhsa_user_sgpr_kernarg_segment_ptr 1
		.amdhsa_user_sgpr_dispatch_id 0
		.amdhsa_user_sgpr_kernarg_preload_length 0
		.amdhsa_user_sgpr_kernarg_preload_offset 0
		.amdhsa_user_sgpr_private_segment_size 0
		.amdhsa_wavefront_size32 1
		.amdhsa_uses_dynamic_stack 0
		.amdhsa_enable_private_segment 0
		.amdhsa_system_sgpr_workgroup_id_x 1
		.amdhsa_system_sgpr_workgroup_id_y 0
		.amdhsa_system_sgpr_workgroup_id_z 0
		.amdhsa_system_sgpr_workgroup_info 0
		.amdhsa_system_vgpr_workitem_id 0
		.amdhsa_next_free_vgpr 8
		.amdhsa_next_free_sgpr 9
		.amdhsa_named_barrier_count 0
		.amdhsa_reserve_vcc 1
		.amdhsa_float_round_mode_32 0
		.amdhsa_float_round_mode_16_64 0
		.amdhsa_float_denorm_mode_32 3
		.amdhsa_float_denorm_mode_16_64 3
		.amdhsa_fp16_overflow 0
		.amdhsa_memory_ordered 1
		.amdhsa_forward_progress 1
		.amdhsa_inst_pref_size 4
		.amdhsa_round_robin_scheduling 0
		.amdhsa_exception_fp_ieee_invalid_op 0
		.amdhsa_exception_fp_denorm_src 0
		.amdhsa_exception_fp_ieee_div_zero 0
		.amdhsa_exception_fp_ieee_overflow 0
		.amdhsa_exception_fp_ieee_underflow 0
		.amdhsa_exception_fp_ieee_inexact 0
		.amdhsa_exception_int_div_zero 0
	.end_amdhsa_kernel
	.section	.text._ZN6thrust23THRUST_200600_302600_NS11hip_rocprim14__parallel_for6kernelILj256ENS1_11__transform17unary_transform_fINS0_7pointerI14custom_numericNS1_3tagENS0_11use_defaultES9_EENS0_6detail15normal_iteratorISA_EENS4_14no_stencil_tagENS0_8identityIS7_EENS4_21always_true_predicateEEElLj1EEEvT0_T1_SK_,"axG",@progbits,_ZN6thrust23THRUST_200600_302600_NS11hip_rocprim14__parallel_for6kernelILj256ENS1_11__transform17unary_transform_fINS0_7pointerI14custom_numericNS1_3tagENS0_11use_defaultES9_EENS0_6detail15normal_iteratorISA_EENS4_14no_stencil_tagENS0_8identityIS7_EENS4_21always_true_predicateEEElLj1EEEvT0_T1_SK_,comdat
.Lfunc_end46:
	.size	_ZN6thrust23THRUST_200600_302600_NS11hip_rocprim14__parallel_for6kernelILj256ENS1_11__transform17unary_transform_fINS0_7pointerI14custom_numericNS1_3tagENS0_11use_defaultES9_EENS0_6detail15normal_iteratorISA_EENS4_14no_stencil_tagENS0_8identityIS7_EENS4_21always_true_predicateEEElLj1EEEvT0_T1_SK_, .Lfunc_end46-_ZN6thrust23THRUST_200600_302600_NS11hip_rocprim14__parallel_for6kernelILj256ENS1_11__transform17unary_transform_fINS0_7pointerI14custom_numericNS1_3tagENS0_11use_defaultES9_EENS0_6detail15normal_iteratorISA_EENS4_14no_stencil_tagENS0_8identityIS7_EENS4_21always_true_predicateEEElLj1EEEvT0_T1_SK_
                                        ; -- End function
	.set _ZN6thrust23THRUST_200600_302600_NS11hip_rocprim14__parallel_for6kernelILj256ENS1_11__transform17unary_transform_fINS0_7pointerI14custom_numericNS1_3tagENS0_11use_defaultES9_EENS0_6detail15normal_iteratorISA_EENS4_14no_stencil_tagENS0_8identityIS7_EENS4_21always_true_predicateEEElLj1EEEvT0_T1_SK_.num_vgpr, 8
	.set _ZN6thrust23THRUST_200600_302600_NS11hip_rocprim14__parallel_for6kernelILj256ENS1_11__transform17unary_transform_fINS0_7pointerI14custom_numericNS1_3tagENS0_11use_defaultES9_EENS0_6detail15normal_iteratorISA_EENS4_14no_stencil_tagENS0_8identityIS7_EENS4_21always_true_predicateEEElLj1EEEvT0_T1_SK_.num_agpr, 0
	.set _ZN6thrust23THRUST_200600_302600_NS11hip_rocprim14__parallel_for6kernelILj256ENS1_11__transform17unary_transform_fINS0_7pointerI14custom_numericNS1_3tagENS0_11use_defaultES9_EENS0_6detail15normal_iteratorISA_EENS4_14no_stencil_tagENS0_8identityIS7_EENS4_21always_true_predicateEEElLj1EEEvT0_T1_SK_.numbered_sgpr, 9
	.set _ZN6thrust23THRUST_200600_302600_NS11hip_rocprim14__parallel_for6kernelILj256ENS1_11__transform17unary_transform_fINS0_7pointerI14custom_numericNS1_3tagENS0_11use_defaultES9_EENS0_6detail15normal_iteratorISA_EENS4_14no_stencil_tagENS0_8identityIS7_EENS4_21always_true_predicateEEElLj1EEEvT0_T1_SK_.num_named_barrier, 0
	.set _ZN6thrust23THRUST_200600_302600_NS11hip_rocprim14__parallel_for6kernelILj256ENS1_11__transform17unary_transform_fINS0_7pointerI14custom_numericNS1_3tagENS0_11use_defaultES9_EENS0_6detail15normal_iteratorISA_EENS4_14no_stencil_tagENS0_8identityIS7_EENS4_21always_true_predicateEEElLj1EEEvT0_T1_SK_.private_seg_size, 0
	.set _ZN6thrust23THRUST_200600_302600_NS11hip_rocprim14__parallel_for6kernelILj256ENS1_11__transform17unary_transform_fINS0_7pointerI14custom_numericNS1_3tagENS0_11use_defaultES9_EENS0_6detail15normal_iteratorISA_EENS4_14no_stencil_tagENS0_8identityIS7_EENS4_21always_true_predicateEEElLj1EEEvT0_T1_SK_.uses_vcc, 1
	.set _ZN6thrust23THRUST_200600_302600_NS11hip_rocprim14__parallel_for6kernelILj256ENS1_11__transform17unary_transform_fINS0_7pointerI14custom_numericNS1_3tagENS0_11use_defaultES9_EENS0_6detail15normal_iteratorISA_EENS4_14no_stencil_tagENS0_8identityIS7_EENS4_21always_true_predicateEEElLj1EEEvT0_T1_SK_.uses_flat_scratch, 1
	.set _ZN6thrust23THRUST_200600_302600_NS11hip_rocprim14__parallel_for6kernelILj256ENS1_11__transform17unary_transform_fINS0_7pointerI14custom_numericNS1_3tagENS0_11use_defaultES9_EENS0_6detail15normal_iteratorISA_EENS4_14no_stencil_tagENS0_8identityIS7_EENS4_21always_true_predicateEEElLj1EEEvT0_T1_SK_.has_dyn_sized_stack, 0
	.set _ZN6thrust23THRUST_200600_302600_NS11hip_rocprim14__parallel_for6kernelILj256ENS1_11__transform17unary_transform_fINS0_7pointerI14custom_numericNS1_3tagENS0_11use_defaultES9_EENS0_6detail15normal_iteratorISA_EENS4_14no_stencil_tagENS0_8identityIS7_EENS4_21always_true_predicateEEElLj1EEEvT0_T1_SK_.has_recursion, 0
	.set _ZN6thrust23THRUST_200600_302600_NS11hip_rocprim14__parallel_for6kernelILj256ENS1_11__transform17unary_transform_fINS0_7pointerI14custom_numericNS1_3tagENS0_11use_defaultES9_EENS0_6detail15normal_iteratorISA_EENS4_14no_stencil_tagENS0_8identityIS7_EENS4_21always_true_predicateEEElLj1EEEvT0_T1_SK_.has_indirect_call, 0
	.section	.AMDGPU.csdata,"",@progbits
; Kernel info:
; codeLenInByte = 388
; TotalNumSgprs: 11
; NumVgprs: 8
; ScratchSize: 0
; MemoryBound: 0
; FloatMode: 240
; IeeeMode: 1
; LDSByteSize: 0 bytes/workgroup (compile time only)
; SGPRBlocks: 0
; VGPRBlocks: 0
; NumSGPRsForWavesPerEU: 11
; NumVGPRsForWavesPerEU: 8
; NamedBarCnt: 0
; Occupancy: 16
; WaveLimiterHint : 0
; COMPUTE_PGM_RSRC2:SCRATCH_EN: 0
; COMPUTE_PGM_RSRC2:USER_SGPR: 2
; COMPUTE_PGM_RSRC2:TRAP_HANDLER: 0
; COMPUTE_PGM_RSRC2:TGID_X_EN: 1
; COMPUTE_PGM_RSRC2:TGID_Y_EN: 0
; COMPUTE_PGM_RSRC2:TGID_Z_EN: 0
; COMPUTE_PGM_RSRC2:TIDIG_COMP_CNT: 0
	.section	.text._ZN6thrust23THRUST_200600_302600_NS11hip_rocprim14__parallel_for6kernelILj256ENS1_11__transform17unary_transform_fINS0_7pointerI14custom_numericNS1_3tagENS0_11use_defaultES9_EESA_NS4_14no_stencil_tagENS0_8identityIS7_EENS4_21always_true_predicateEEElLj1EEEvT0_T1_SH_,"axG",@progbits,_ZN6thrust23THRUST_200600_302600_NS11hip_rocprim14__parallel_for6kernelILj256ENS1_11__transform17unary_transform_fINS0_7pointerI14custom_numericNS1_3tagENS0_11use_defaultES9_EESA_NS4_14no_stencil_tagENS0_8identityIS7_EENS4_21always_true_predicateEEElLj1EEEvT0_T1_SH_,comdat
	.protected	_ZN6thrust23THRUST_200600_302600_NS11hip_rocprim14__parallel_for6kernelILj256ENS1_11__transform17unary_transform_fINS0_7pointerI14custom_numericNS1_3tagENS0_11use_defaultES9_EESA_NS4_14no_stencil_tagENS0_8identityIS7_EENS4_21always_true_predicateEEElLj1EEEvT0_T1_SH_ ; -- Begin function _ZN6thrust23THRUST_200600_302600_NS11hip_rocprim14__parallel_for6kernelILj256ENS1_11__transform17unary_transform_fINS0_7pointerI14custom_numericNS1_3tagENS0_11use_defaultES9_EESA_NS4_14no_stencil_tagENS0_8identityIS7_EENS4_21always_true_predicateEEElLj1EEEvT0_T1_SH_
	.globl	_ZN6thrust23THRUST_200600_302600_NS11hip_rocprim14__parallel_for6kernelILj256ENS1_11__transform17unary_transform_fINS0_7pointerI14custom_numericNS1_3tagENS0_11use_defaultES9_EESA_NS4_14no_stencil_tagENS0_8identityIS7_EENS4_21always_true_predicateEEElLj1EEEvT0_T1_SH_
	.p2align	8
	.type	_ZN6thrust23THRUST_200600_302600_NS11hip_rocprim14__parallel_for6kernelILj256ENS1_11__transform17unary_transform_fINS0_7pointerI14custom_numericNS1_3tagENS0_11use_defaultES9_EESA_NS4_14no_stencil_tagENS0_8identityIS7_EENS4_21always_true_predicateEEElLj1EEEvT0_T1_SH_,@function
_ZN6thrust23THRUST_200600_302600_NS11hip_rocprim14__parallel_for6kernelILj256ENS1_11__transform17unary_transform_fINS0_7pointerI14custom_numericNS1_3tagENS0_11use_defaultES9_EESA_NS4_14no_stencil_tagENS0_8identityIS7_EENS4_21always_true_predicateEEElLj1EEEvT0_T1_SH_: ; @_ZN6thrust23THRUST_200600_302600_NS11hip_rocprim14__parallel_for6kernelILj256ENS1_11__transform17unary_transform_fINS0_7pointerI14custom_numericNS1_3tagENS0_11use_defaultES9_EESA_NS4_14no_stencil_tagENS0_8identityIS7_EENS4_21always_true_predicateEEElLj1EEEvT0_T1_SH_
; %bb.0:
	s_load_b128 s[4:7], s[0:1], 0x18
	s_bfe_u32 s2, ttmp6, 0x4000c
	s_and_b32 s3, ttmp6, 15
	s_add_co_i32 s2, s2, 1
	s_getreg_b32 s8, hwreg(HW_REG_IB_STS2, 6, 4)
	s_mul_i32 s2, ttmp9, s2
	s_delay_alu instid0(SALU_CYCLE_1)
	s_add_co_i32 s3, s3, s2
	s_cmp_eq_u32 s8, 0
	s_cselect_b32 s2, ttmp9, s3
	s_mov_b32 s3, 0
	s_lshl_b32 s2, s2, 8
	s_wait_kmcnt 0x0
	s_add_nc_u64 s[2:3], s[6:7], s[2:3]
	s_delay_alu instid0(SALU_CYCLE_1) | instskip(NEXT) | instid1(SALU_CYCLE_1)
	s_sub_nc_u64 s[4:5], s[4:5], s[2:3]
	v_min_i64 v[2:3], 0x100, s[4:5]
	s_load_b128 s[4:7], s[0:1], 0x0
	s_wait_xcnt 0x0
	s_mov_b32 s0, -1
	s_delay_alu instid0(VALU_DEP_1)
	v_cmp_eq_u32_e32 vcc_lo, 0x100, v2
	s_cbranch_vccz .LBB47_3
; %bb.1:
	s_and_not1_b32 vcc_lo, exec_lo, s0
	s_cbranch_vccz .LBB47_6
.LBB47_2:
	s_endpgm
.LBB47_3:
	s_mov_b32 s0, exec_lo
	v_cmpx_lt_u32_e64 v0, v2
	s_cbranch_execz .LBB47_5
; %bb.4:
	v_mov_b32_e32 v1, 0
	s_delay_alu instid0(VALU_DEP_1) | instskip(NEXT) | instid1(VALU_DEP_1)
	v_add_nc_u64_e32 v[4:5], s[2:3], v[0:1]
	v_mul_lo_u32 v1, v5, 20
	s_wait_kmcnt 0x0
	s_delay_alu instid0(VALU_DEP_2) | instskip(SKIP_1) | instid1(VALU_DEP_2)
	v_mad_nc_u64_u32 v[2:3], v4, 20, s[4:5]
	v_mad_nc_u64_u32 v[6:7], v4, 20, s[6:7]
	v_add_nc_u32_e32 v3, v1, v3
	flat_load_b32 v2, v[2:3]
	s_wait_loadcnt_dscnt 0x0
	v_dual_add_nc_u32 v7, v1, v7 :: v_dual_mov_b32 v5, v2
	v_dual_mov_b32 v3, v2 :: v_dual_mov_b32 v4, v2
	s_clause 0x1
	flat_store_b128 v[6:7], v[2:5]
	flat_store_b32 v[6:7], v2 offset:16
.LBB47_5:
	s_wait_xcnt 0x0
	s_or_b32 exec_lo, exec_lo, s0
	s_cbranch_execnz .LBB47_2
.LBB47_6:
	v_mov_b32_e32 v1, 0
	s_delay_alu instid0(VALU_DEP_1) | instskip(SKIP_1) | instid1(VALU_DEP_1)
	v_add_nc_u64_e32 v[2:3], s[2:3], v[0:1]
	s_wait_kmcnt 0x0
	v_mad_nc_u64_u32 v[0:1], v2, 20, s[4:5]
	s_delay_alu instid0(VALU_DEP_2) | instskip(SKIP_1) | instid1(VALU_DEP_2)
	v_mul_lo_u32 v3, v3, 20
	v_mad_nc_u64_u32 v[4:5], v2, 20, s[6:7]
	v_add_nc_u32_e32 v1, v3, v1
	s_delay_alu instid0(VALU_DEP_2)
	v_add_nc_u32_e32 v5, v3, v5
	flat_load_b32 v0, v[0:1]
	s_wait_loadcnt_dscnt 0x0
	v_dual_mov_b32 v1, v0 :: v_dual_mov_b32 v3, v0
	v_mov_b32_e32 v2, v0
	s_clause 0x1
	flat_store_b128 v[4:5], v[0:3]
	flat_store_b32 v[4:5], v0 offset:16
	s_endpgm
	.section	.rodata,"a",@progbits
	.p2align	6, 0x0
	.amdhsa_kernel _ZN6thrust23THRUST_200600_302600_NS11hip_rocprim14__parallel_for6kernelILj256ENS1_11__transform17unary_transform_fINS0_7pointerI14custom_numericNS1_3tagENS0_11use_defaultES9_EESA_NS4_14no_stencil_tagENS0_8identityIS7_EENS4_21always_true_predicateEEElLj1EEEvT0_T1_SH_
		.amdhsa_group_segment_fixed_size 0
		.amdhsa_private_segment_fixed_size 0
		.amdhsa_kernarg_size 40
		.amdhsa_user_sgpr_count 2
		.amdhsa_user_sgpr_dispatch_ptr 0
		.amdhsa_user_sgpr_queue_ptr 0
		.amdhsa_user_sgpr_kernarg_segment_ptr 1
		.amdhsa_user_sgpr_dispatch_id 0
		.amdhsa_user_sgpr_kernarg_preload_length 0
		.amdhsa_user_sgpr_kernarg_preload_offset 0
		.amdhsa_user_sgpr_private_segment_size 0
		.amdhsa_wavefront_size32 1
		.amdhsa_uses_dynamic_stack 0
		.amdhsa_enable_private_segment 0
		.amdhsa_system_sgpr_workgroup_id_x 1
		.amdhsa_system_sgpr_workgroup_id_y 0
		.amdhsa_system_sgpr_workgroup_id_z 0
		.amdhsa_system_sgpr_workgroup_info 0
		.amdhsa_system_vgpr_workitem_id 0
		.amdhsa_next_free_vgpr 8
		.amdhsa_next_free_sgpr 9
		.amdhsa_named_barrier_count 0
		.amdhsa_reserve_vcc 1
		.amdhsa_float_round_mode_32 0
		.amdhsa_float_round_mode_16_64 0
		.amdhsa_float_denorm_mode_32 3
		.amdhsa_float_denorm_mode_16_64 3
		.amdhsa_fp16_overflow 0
		.amdhsa_memory_ordered 1
		.amdhsa_forward_progress 1
		.amdhsa_inst_pref_size 4
		.amdhsa_round_robin_scheduling 0
		.amdhsa_exception_fp_ieee_invalid_op 0
		.amdhsa_exception_fp_denorm_src 0
		.amdhsa_exception_fp_ieee_div_zero 0
		.amdhsa_exception_fp_ieee_overflow 0
		.amdhsa_exception_fp_ieee_underflow 0
		.amdhsa_exception_fp_ieee_inexact 0
		.amdhsa_exception_int_div_zero 0
	.end_amdhsa_kernel
	.section	.text._ZN6thrust23THRUST_200600_302600_NS11hip_rocprim14__parallel_for6kernelILj256ENS1_11__transform17unary_transform_fINS0_7pointerI14custom_numericNS1_3tagENS0_11use_defaultES9_EESA_NS4_14no_stencil_tagENS0_8identityIS7_EENS4_21always_true_predicateEEElLj1EEEvT0_T1_SH_,"axG",@progbits,_ZN6thrust23THRUST_200600_302600_NS11hip_rocprim14__parallel_for6kernelILj256ENS1_11__transform17unary_transform_fINS0_7pointerI14custom_numericNS1_3tagENS0_11use_defaultES9_EESA_NS4_14no_stencil_tagENS0_8identityIS7_EENS4_21always_true_predicateEEElLj1EEEvT0_T1_SH_,comdat
.Lfunc_end47:
	.size	_ZN6thrust23THRUST_200600_302600_NS11hip_rocprim14__parallel_for6kernelILj256ENS1_11__transform17unary_transform_fINS0_7pointerI14custom_numericNS1_3tagENS0_11use_defaultES9_EESA_NS4_14no_stencil_tagENS0_8identityIS7_EENS4_21always_true_predicateEEElLj1EEEvT0_T1_SH_, .Lfunc_end47-_ZN6thrust23THRUST_200600_302600_NS11hip_rocprim14__parallel_for6kernelILj256ENS1_11__transform17unary_transform_fINS0_7pointerI14custom_numericNS1_3tagENS0_11use_defaultES9_EESA_NS4_14no_stencil_tagENS0_8identityIS7_EENS4_21always_true_predicateEEElLj1EEEvT0_T1_SH_
                                        ; -- End function
	.set _ZN6thrust23THRUST_200600_302600_NS11hip_rocprim14__parallel_for6kernelILj256ENS1_11__transform17unary_transform_fINS0_7pointerI14custom_numericNS1_3tagENS0_11use_defaultES9_EESA_NS4_14no_stencil_tagENS0_8identityIS7_EENS4_21always_true_predicateEEElLj1EEEvT0_T1_SH_.num_vgpr, 8
	.set _ZN6thrust23THRUST_200600_302600_NS11hip_rocprim14__parallel_for6kernelILj256ENS1_11__transform17unary_transform_fINS0_7pointerI14custom_numericNS1_3tagENS0_11use_defaultES9_EESA_NS4_14no_stencil_tagENS0_8identityIS7_EENS4_21always_true_predicateEEElLj1EEEvT0_T1_SH_.num_agpr, 0
	.set _ZN6thrust23THRUST_200600_302600_NS11hip_rocprim14__parallel_for6kernelILj256ENS1_11__transform17unary_transform_fINS0_7pointerI14custom_numericNS1_3tagENS0_11use_defaultES9_EESA_NS4_14no_stencil_tagENS0_8identityIS7_EENS4_21always_true_predicateEEElLj1EEEvT0_T1_SH_.numbered_sgpr, 9
	.set _ZN6thrust23THRUST_200600_302600_NS11hip_rocprim14__parallel_for6kernelILj256ENS1_11__transform17unary_transform_fINS0_7pointerI14custom_numericNS1_3tagENS0_11use_defaultES9_EESA_NS4_14no_stencil_tagENS0_8identityIS7_EENS4_21always_true_predicateEEElLj1EEEvT0_T1_SH_.num_named_barrier, 0
	.set _ZN6thrust23THRUST_200600_302600_NS11hip_rocprim14__parallel_for6kernelILj256ENS1_11__transform17unary_transform_fINS0_7pointerI14custom_numericNS1_3tagENS0_11use_defaultES9_EESA_NS4_14no_stencil_tagENS0_8identityIS7_EENS4_21always_true_predicateEEElLj1EEEvT0_T1_SH_.private_seg_size, 0
	.set _ZN6thrust23THRUST_200600_302600_NS11hip_rocprim14__parallel_for6kernelILj256ENS1_11__transform17unary_transform_fINS0_7pointerI14custom_numericNS1_3tagENS0_11use_defaultES9_EESA_NS4_14no_stencil_tagENS0_8identityIS7_EENS4_21always_true_predicateEEElLj1EEEvT0_T1_SH_.uses_vcc, 1
	.set _ZN6thrust23THRUST_200600_302600_NS11hip_rocprim14__parallel_for6kernelILj256ENS1_11__transform17unary_transform_fINS0_7pointerI14custom_numericNS1_3tagENS0_11use_defaultES9_EESA_NS4_14no_stencil_tagENS0_8identityIS7_EENS4_21always_true_predicateEEElLj1EEEvT0_T1_SH_.uses_flat_scratch, 1
	.set _ZN6thrust23THRUST_200600_302600_NS11hip_rocprim14__parallel_for6kernelILj256ENS1_11__transform17unary_transform_fINS0_7pointerI14custom_numericNS1_3tagENS0_11use_defaultES9_EESA_NS4_14no_stencil_tagENS0_8identityIS7_EENS4_21always_true_predicateEEElLj1EEEvT0_T1_SH_.has_dyn_sized_stack, 0
	.set _ZN6thrust23THRUST_200600_302600_NS11hip_rocprim14__parallel_for6kernelILj256ENS1_11__transform17unary_transform_fINS0_7pointerI14custom_numericNS1_3tagENS0_11use_defaultES9_EESA_NS4_14no_stencil_tagENS0_8identityIS7_EENS4_21always_true_predicateEEElLj1EEEvT0_T1_SH_.has_recursion, 0
	.set _ZN6thrust23THRUST_200600_302600_NS11hip_rocprim14__parallel_for6kernelILj256ENS1_11__transform17unary_transform_fINS0_7pointerI14custom_numericNS1_3tagENS0_11use_defaultES9_EESA_NS4_14no_stencil_tagENS0_8identityIS7_EENS4_21always_true_predicateEEElLj1EEEvT0_T1_SH_.has_indirect_call, 0
	.section	.AMDGPU.csdata,"",@progbits
; Kernel info:
; codeLenInByte = 388
; TotalNumSgprs: 11
; NumVgprs: 8
; ScratchSize: 0
; MemoryBound: 0
; FloatMode: 240
; IeeeMode: 1
; LDSByteSize: 0 bytes/workgroup (compile time only)
; SGPRBlocks: 0
; VGPRBlocks: 0
; NumSGPRsForWavesPerEU: 11
; NumVGPRsForWavesPerEU: 8
; NamedBarCnt: 0
; Occupancy: 16
; WaveLimiterHint : 0
; COMPUTE_PGM_RSRC2:SCRATCH_EN: 0
; COMPUTE_PGM_RSRC2:USER_SGPR: 2
; COMPUTE_PGM_RSRC2:TRAP_HANDLER: 0
; COMPUTE_PGM_RSRC2:TGID_X_EN: 1
; COMPUTE_PGM_RSRC2:TGID_Y_EN: 0
; COMPUTE_PGM_RSRC2:TGID_Z_EN: 0
; COMPUTE_PGM_RSRC2:TIDIG_COMP_CNT: 0
	.section	.text._ZN7rocprim17ROCPRIM_400000_NS6detail17trampoline_kernelINS0_14default_configENS1_27lower_bound_config_selectorI14custom_numericlEEZNS1_14transform_implILb0ES3_S6_N6thrust23THRUST_200600_302600_NS6detail15normal_iteratorINS9_7pointerIS5_NS9_11hip_rocprim3tagENS9_11use_defaultESF_EEEENSB_INSC_IlSE_SF_SF_EEEEZNS1_13binary_searchIS3_S6_NSB_INS9_10device_ptrIS5_EEEESH_SJ_NS1_21lower_bound_search_opENSA_16wrapped_functionINS9_7greaterIS5_EEbEEEE10hipError_tPvRmT1_T2_T3_mmT4_T5_P12ihipStream_tbEUlRKS5_E_EEST_SX_SY_mSZ_S12_bEUlT_E_NS1_11comp_targetILNS1_3genE0ELNS1_11target_archE4294967295ELNS1_3gpuE0ELNS1_3repE0EEENS1_30default_config_static_selectorELNS0_4arch9wavefront6targetE0EEEvSW_,"axG",@progbits,_ZN7rocprim17ROCPRIM_400000_NS6detail17trampoline_kernelINS0_14default_configENS1_27lower_bound_config_selectorI14custom_numericlEEZNS1_14transform_implILb0ES3_S6_N6thrust23THRUST_200600_302600_NS6detail15normal_iteratorINS9_7pointerIS5_NS9_11hip_rocprim3tagENS9_11use_defaultESF_EEEENSB_INSC_IlSE_SF_SF_EEEEZNS1_13binary_searchIS3_S6_NSB_INS9_10device_ptrIS5_EEEESH_SJ_NS1_21lower_bound_search_opENSA_16wrapped_functionINS9_7greaterIS5_EEbEEEE10hipError_tPvRmT1_T2_T3_mmT4_T5_P12ihipStream_tbEUlRKS5_E_EEST_SX_SY_mSZ_S12_bEUlT_E_NS1_11comp_targetILNS1_3genE0ELNS1_11target_archE4294967295ELNS1_3gpuE0ELNS1_3repE0EEENS1_30default_config_static_selectorELNS0_4arch9wavefront6targetE0EEEvSW_,comdat
	.protected	_ZN7rocprim17ROCPRIM_400000_NS6detail17trampoline_kernelINS0_14default_configENS1_27lower_bound_config_selectorI14custom_numericlEEZNS1_14transform_implILb0ES3_S6_N6thrust23THRUST_200600_302600_NS6detail15normal_iteratorINS9_7pointerIS5_NS9_11hip_rocprim3tagENS9_11use_defaultESF_EEEENSB_INSC_IlSE_SF_SF_EEEEZNS1_13binary_searchIS3_S6_NSB_INS9_10device_ptrIS5_EEEESH_SJ_NS1_21lower_bound_search_opENSA_16wrapped_functionINS9_7greaterIS5_EEbEEEE10hipError_tPvRmT1_T2_T3_mmT4_T5_P12ihipStream_tbEUlRKS5_E_EEST_SX_SY_mSZ_S12_bEUlT_E_NS1_11comp_targetILNS1_3genE0ELNS1_11target_archE4294967295ELNS1_3gpuE0ELNS1_3repE0EEENS1_30default_config_static_selectorELNS0_4arch9wavefront6targetE0EEEvSW_ ; -- Begin function _ZN7rocprim17ROCPRIM_400000_NS6detail17trampoline_kernelINS0_14default_configENS1_27lower_bound_config_selectorI14custom_numericlEEZNS1_14transform_implILb0ES3_S6_N6thrust23THRUST_200600_302600_NS6detail15normal_iteratorINS9_7pointerIS5_NS9_11hip_rocprim3tagENS9_11use_defaultESF_EEEENSB_INSC_IlSE_SF_SF_EEEEZNS1_13binary_searchIS3_S6_NSB_INS9_10device_ptrIS5_EEEESH_SJ_NS1_21lower_bound_search_opENSA_16wrapped_functionINS9_7greaterIS5_EEbEEEE10hipError_tPvRmT1_T2_T3_mmT4_T5_P12ihipStream_tbEUlRKS5_E_EEST_SX_SY_mSZ_S12_bEUlT_E_NS1_11comp_targetILNS1_3genE0ELNS1_11target_archE4294967295ELNS1_3gpuE0ELNS1_3repE0EEENS1_30default_config_static_selectorELNS0_4arch9wavefront6targetE0EEEvSW_
	.globl	_ZN7rocprim17ROCPRIM_400000_NS6detail17trampoline_kernelINS0_14default_configENS1_27lower_bound_config_selectorI14custom_numericlEEZNS1_14transform_implILb0ES3_S6_N6thrust23THRUST_200600_302600_NS6detail15normal_iteratorINS9_7pointerIS5_NS9_11hip_rocprim3tagENS9_11use_defaultESF_EEEENSB_INSC_IlSE_SF_SF_EEEEZNS1_13binary_searchIS3_S6_NSB_INS9_10device_ptrIS5_EEEESH_SJ_NS1_21lower_bound_search_opENSA_16wrapped_functionINS9_7greaterIS5_EEbEEEE10hipError_tPvRmT1_T2_T3_mmT4_T5_P12ihipStream_tbEUlRKS5_E_EEST_SX_SY_mSZ_S12_bEUlT_E_NS1_11comp_targetILNS1_3genE0ELNS1_11target_archE4294967295ELNS1_3gpuE0ELNS1_3repE0EEENS1_30default_config_static_selectorELNS0_4arch9wavefront6targetE0EEEvSW_
	.p2align	8
	.type	_ZN7rocprim17ROCPRIM_400000_NS6detail17trampoline_kernelINS0_14default_configENS1_27lower_bound_config_selectorI14custom_numericlEEZNS1_14transform_implILb0ES3_S6_N6thrust23THRUST_200600_302600_NS6detail15normal_iteratorINS9_7pointerIS5_NS9_11hip_rocprim3tagENS9_11use_defaultESF_EEEENSB_INSC_IlSE_SF_SF_EEEEZNS1_13binary_searchIS3_S6_NSB_INS9_10device_ptrIS5_EEEESH_SJ_NS1_21lower_bound_search_opENSA_16wrapped_functionINS9_7greaterIS5_EEbEEEE10hipError_tPvRmT1_T2_T3_mmT4_T5_P12ihipStream_tbEUlRKS5_E_EEST_SX_SY_mSZ_S12_bEUlT_E_NS1_11comp_targetILNS1_3genE0ELNS1_11target_archE4294967295ELNS1_3gpuE0ELNS1_3repE0EEENS1_30default_config_static_selectorELNS0_4arch9wavefront6targetE0EEEvSW_,@function
_ZN7rocprim17ROCPRIM_400000_NS6detail17trampoline_kernelINS0_14default_configENS1_27lower_bound_config_selectorI14custom_numericlEEZNS1_14transform_implILb0ES3_S6_N6thrust23THRUST_200600_302600_NS6detail15normal_iteratorINS9_7pointerIS5_NS9_11hip_rocprim3tagENS9_11use_defaultESF_EEEENSB_INSC_IlSE_SF_SF_EEEEZNS1_13binary_searchIS3_S6_NSB_INS9_10device_ptrIS5_EEEESH_SJ_NS1_21lower_bound_search_opENSA_16wrapped_functionINS9_7greaterIS5_EEbEEEE10hipError_tPvRmT1_T2_T3_mmT4_T5_P12ihipStream_tbEUlRKS5_E_EEST_SX_SY_mSZ_S12_bEUlT_E_NS1_11comp_targetILNS1_3genE0ELNS1_11target_archE4294967295ELNS1_3gpuE0ELNS1_3repE0EEENS1_30default_config_static_selectorELNS0_4arch9wavefront6targetE0EEEvSW_: ; @_ZN7rocprim17ROCPRIM_400000_NS6detail17trampoline_kernelINS0_14default_configENS1_27lower_bound_config_selectorI14custom_numericlEEZNS1_14transform_implILb0ES3_S6_N6thrust23THRUST_200600_302600_NS6detail15normal_iteratorINS9_7pointerIS5_NS9_11hip_rocprim3tagENS9_11use_defaultESF_EEEENSB_INSC_IlSE_SF_SF_EEEEZNS1_13binary_searchIS3_S6_NSB_INS9_10device_ptrIS5_EEEESH_SJ_NS1_21lower_bound_search_opENSA_16wrapped_functionINS9_7greaterIS5_EEbEEEE10hipError_tPvRmT1_T2_T3_mmT4_T5_P12ihipStream_tbEUlRKS5_E_EEST_SX_SY_mSZ_S12_bEUlT_E_NS1_11comp_targetILNS1_3genE0ELNS1_11target_archE4294967295ELNS1_3gpuE0ELNS1_3repE0EEENS1_30default_config_static_selectorELNS0_4arch9wavefront6targetE0EEEvSW_
; %bb.0:
	s_clause 0x3
	s_load_b128 s[12:15], s[0:1], 0x0
	s_load_b128 s[4:7], s[0:1], 0x18
	s_load_b32 s16, s[0:1], 0x38
	s_load_b64 s[8:9], s[0:1], 0x28
	s_bfe_u32 s2, ttmp6, 0x4000c
	s_and_b32 s3, ttmp6, 15
	s_add_co_i32 s2, s2, 1
	s_getreg_b32 s10, hwreg(HW_REG_IB_STS2, 6, 4)
	s_mul_i32 s2, ttmp9, s2
	s_delay_alu instid0(SALU_CYCLE_1)
	s_add_co_i32 s17, s3, s2
	s_wait_kmcnt 0x0
	s_mul_u64 s[2:3], s[14:15], 20
	s_lshl_b64 s[14:15], s[14:15], 3
	s_cmp_eq_u32 s10, 0
	s_add_nc_u64 s[10:11], s[12:13], s[2:3]
	s_cselect_b32 s12, ttmp9, s17
	s_add_co_i32 s16, s16, -1
	s_add_nc_u64 s[2:3], s[4:5], s[14:15]
	s_lshl_b32 s4, s12, 8
	s_mov_b32 s5, 0
	s_cmp_lg_u32 s12, s16
	s_mov_b32 s12, -1
	s_cbranch_scc0 .LBB48_7
; %bb.1:
	s_cmp_eq_u64 s[8:9], 0
	s_cbranch_scc1 .LBB48_5
; %bb.2:
	s_mul_u64 s[12:13], s[4:5], 20
	v_mov_b64_e32 v[4:5], s[8:9]
	s_add_nc_u64 s[12:13], s[10:11], s[12:13]
	s_delay_alu instid0(SALU_CYCLE_1)
	v_mad_nc_u64_u32 v[2:3], v0, 20, s[12:13]
	s_mov_b32 s12, 0
	flat_load_b32 v1, v[2:3]
	s_wait_xcnt 0x0
	v_mov_b64_e32 v[2:3], 0
.LBB48_3:                               ; =>This Inner Loop Header: Depth=1
	s_delay_alu instid0(VALU_DEP_1) | instskip(NEXT) | instid1(VALU_DEP_1)
	v_sub_nc_u64_e32 v[6:7], v[4:5], v[2:3]
	v_lshrrev_b64 v[8:9], 1, v[6:7]
	v_lshrrev_b64 v[6:7], 6, v[6:7]
	s_delay_alu instid0(VALU_DEP_2) | instskip(NEXT) | instid1(VALU_DEP_1)
	v_add_nc_u64_e32 v[8:9], v[8:9], v[2:3]
	v_add_nc_u64_e32 v[6:7], v[8:9], v[6:7]
	s_delay_alu instid0(VALU_DEP_1) | instskip(NEXT) | instid1(VALU_DEP_1)
	v_mad_nc_u64_u32 v[8:9], v6, 20, s[6:7]
	v_mad_u32 v9, v7, 20, v9
	global_load_b32 v10, v[8:9], off
	s_wait_xcnt 0x0
	v_add_nc_u64_e32 v[8:9], 1, v[6:7]
	s_wait_loadcnt_dscnt 0x0
	v_cmp_gt_i32_e32 vcc_lo, v10, v1
	v_dual_cndmask_b32 v5, v7, v5 :: v_dual_cndmask_b32 v4, v6, v4
	s_delay_alu instid0(VALU_DEP_3) | instskip(NEXT) | instid1(VALU_DEP_1)
	v_dual_cndmask_b32 v3, v3, v9 :: v_dual_cndmask_b32 v2, v2, v8
	v_cmp_ge_u64_e32 vcc_lo, v[2:3], v[4:5]
	s_or_b32 s12, vcc_lo, s12
	s_delay_alu instid0(SALU_CYCLE_1)
	s_and_not1_b32 exec_lo, exec_lo, s12
	s_cbranch_execnz .LBB48_3
; %bb.4:
	s_or_b32 exec_lo, exec_lo, s12
	s_branch .LBB48_6
.LBB48_5:
	v_mov_b64_e32 v[2:3], 0
.LBB48_6:
	s_lshl_b64 s[12:13], s[4:5], 3
	s_delay_alu instid0(SALU_CYCLE_1)
	s_add_nc_u64 s[14:15], s[2:3], s[12:13]
	s_mov_b32 s12, 0
	flat_store_b64 v0, v[2:3], s[14:15] scale_offset
.LBB48_7:
	s_and_b32 vcc_lo, exec_lo, s12
	s_cbranch_vccz .LBB48_16
; %bb.8:
	s_load_b32 s0, s[0:1], 0x10
	v_mov_b32_e32 v1, 0
	s_wait_kmcnt 0x0
	s_sub_co_i32 s1, s0, s4
	s_delay_alu instid0(SALU_CYCLE_1)
	v_cmp_le_u32_e64 s0, s1, v0
	v_cmp_gt_u32_e32 vcc_lo, s1, v0
	s_and_saveexec_b32 s1, vcc_lo
	s_cbranch_execz .LBB48_10
; %bb.9:
	s_mul_u64 s[12:13], s[4:5], 20
	s_delay_alu instid0(SALU_CYCLE_1) | instskip(NEXT) | instid1(SALU_CYCLE_1)
	s_add_nc_u64 s[10:11], s[10:11], s[12:13]
	v_mad_nc_u64_u32 v[2:3], v0, 20, s[10:11]
	flat_load_b32 v1, v[2:3]
.LBB48_10:
	s_wait_xcnt 0x0
	s_or_b32 exec_lo, exec_lo, s1
	v_mov_b64_e32 v[2:3], 0
	s_cmp_lg_u64 s[8:9], 0
	s_cselect_b32 s1, -1, 0
	s_xor_b32 s0, s0, -1
	s_delay_alu instid0(SALU_CYCLE_1) | instskip(NEXT) | instid1(SALU_CYCLE_1)
	s_and_b32 s0, s0, s1
	s_and_saveexec_b32 s1, s0
	s_cbranch_execz .LBB48_14
; %bb.11:
	v_mov_b64_e32 v[2:3], 0
	v_mov_b64_e32 v[4:5], s[8:9]
	s_mov_b32 s8, 0
.LBB48_12:                              ; =>This Inner Loop Header: Depth=1
	s_delay_alu instid0(VALU_DEP_1) | instskip(NEXT) | instid1(VALU_DEP_1)
	v_sub_nc_u64_e32 v[6:7], v[4:5], v[2:3]
	v_lshrrev_b64 v[8:9], 1, v[6:7]
	v_lshrrev_b64 v[6:7], 6, v[6:7]
	s_delay_alu instid0(VALU_DEP_2) | instskip(NEXT) | instid1(VALU_DEP_1)
	v_add_nc_u64_e32 v[8:9], v[8:9], v[2:3]
	v_add_nc_u64_e32 v[6:7], v[8:9], v[6:7]
	s_delay_alu instid0(VALU_DEP_1) | instskip(NEXT) | instid1(VALU_DEP_1)
	v_mad_nc_u64_u32 v[8:9], v6, 20, s[6:7]
	v_mad_u32 v9, v7, 20, v9
	global_load_b32 v10, v[8:9], off
	s_wait_xcnt 0x0
	v_add_nc_u64_e32 v[8:9], 1, v[6:7]
	s_wait_loadcnt_dscnt 0x0
	v_cmp_gt_i32_e64 s0, v10, v1
	s_delay_alu instid0(VALU_DEP_1) | instskip(NEXT) | instid1(VALU_DEP_3)
	v_dual_cndmask_b32 v5, v7, v5, s0 :: v_dual_cndmask_b32 v4, v6, v4, s0
	v_dual_cndmask_b32 v3, v3, v9, s0 :: v_dual_cndmask_b32 v2, v2, v8, s0
	s_delay_alu instid0(VALU_DEP_1) | instskip(SKIP_1) | instid1(SALU_CYCLE_1)
	v_cmp_ge_u64_e64 s0, v[2:3], v[4:5]
	s_or_b32 s8, s0, s8
	s_and_not1_b32 exec_lo, exec_lo, s8
	s_cbranch_execnz .LBB48_12
; %bb.13:
	s_or_b32 exec_lo, exec_lo, s8
.LBB48_14:
	s_delay_alu instid0(SALU_CYCLE_1)
	s_or_b32 exec_lo, exec_lo, s1
	s_and_saveexec_b32 s0, vcc_lo
	s_cbranch_execz .LBB48_16
; %bb.15:
	s_lshl_b64 s[0:1], s[4:5], 3
	s_delay_alu instid0(SALU_CYCLE_1)
	s_add_nc_u64 s[0:1], s[2:3], s[0:1]
	flat_store_b64 v0, v[2:3], s[0:1] scale_offset
.LBB48_16:
	s_endpgm
	.section	.rodata,"a",@progbits
	.p2align	6, 0x0
	.amdhsa_kernel _ZN7rocprim17ROCPRIM_400000_NS6detail17trampoline_kernelINS0_14default_configENS1_27lower_bound_config_selectorI14custom_numericlEEZNS1_14transform_implILb0ES3_S6_N6thrust23THRUST_200600_302600_NS6detail15normal_iteratorINS9_7pointerIS5_NS9_11hip_rocprim3tagENS9_11use_defaultESF_EEEENSB_INSC_IlSE_SF_SF_EEEEZNS1_13binary_searchIS3_S6_NSB_INS9_10device_ptrIS5_EEEESH_SJ_NS1_21lower_bound_search_opENSA_16wrapped_functionINS9_7greaterIS5_EEbEEEE10hipError_tPvRmT1_T2_T3_mmT4_T5_P12ihipStream_tbEUlRKS5_E_EEST_SX_SY_mSZ_S12_bEUlT_E_NS1_11comp_targetILNS1_3genE0ELNS1_11target_archE4294967295ELNS1_3gpuE0ELNS1_3repE0EEENS1_30default_config_static_selectorELNS0_4arch9wavefront6targetE0EEEvSW_
		.amdhsa_group_segment_fixed_size 0
		.amdhsa_private_segment_fixed_size 0
		.amdhsa_kernarg_size 312
		.amdhsa_user_sgpr_count 2
		.amdhsa_user_sgpr_dispatch_ptr 0
		.amdhsa_user_sgpr_queue_ptr 0
		.amdhsa_user_sgpr_kernarg_segment_ptr 1
		.amdhsa_user_sgpr_dispatch_id 0
		.amdhsa_user_sgpr_kernarg_preload_length 0
		.amdhsa_user_sgpr_kernarg_preload_offset 0
		.amdhsa_user_sgpr_private_segment_size 0
		.amdhsa_wavefront_size32 1
		.amdhsa_uses_dynamic_stack 0
		.amdhsa_enable_private_segment 0
		.amdhsa_system_sgpr_workgroup_id_x 1
		.amdhsa_system_sgpr_workgroup_id_y 0
		.amdhsa_system_sgpr_workgroup_id_z 0
		.amdhsa_system_sgpr_workgroup_info 0
		.amdhsa_system_vgpr_workitem_id 0
		.amdhsa_next_free_vgpr 11
		.amdhsa_next_free_sgpr 18
		.amdhsa_named_barrier_count 0
		.amdhsa_reserve_vcc 1
		.amdhsa_float_round_mode_32 0
		.amdhsa_float_round_mode_16_64 0
		.amdhsa_float_denorm_mode_32 3
		.amdhsa_float_denorm_mode_16_64 3
		.amdhsa_fp16_overflow 0
		.amdhsa_memory_ordered 1
		.amdhsa_forward_progress 1
		.amdhsa_inst_pref_size 6
		.amdhsa_round_robin_scheduling 0
		.amdhsa_exception_fp_ieee_invalid_op 0
		.amdhsa_exception_fp_denorm_src 0
		.amdhsa_exception_fp_ieee_div_zero 0
		.amdhsa_exception_fp_ieee_overflow 0
		.amdhsa_exception_fp_ieee_underflow 0
		.amdhsa_exception_fp_ieee_inexact 0
		.amdhsa_exception_int_div_zero 0
	.end_amdhsa_kernel
	.section	.text._ZN7rocprim17ROCPRIM_400000_NS6detail17trampoline_kernelINS0_14default_configENS1_27lower_bound_config_selectorI14custom_numericlEEZNS1_14transform_implILb0ES3_S6_N6thrust23THRUST_200600_302600_NS6detail15normal_iteratorINS9_7pointerIS5_NS9_11hip_rocprim3tagENS9_11use_defaultESF_EEEENSB_INSC_IlSE_SF_SF_EEEEZNS1_13binary_searchIS3_S6_NSB_INS9_10device_ptrIS5_EEEESH_SJ_NS1_21lower_bound_search_opENSA_16wrapped_functionINS9_7greaterIS5_EEbEEEE10hipError_tPvRmT1_T2_T3_mmT4_T5_P12ihipStream_tbEUlRKS5_E_EEST_SX_SY_mSZ_S12_bEUlT_E_NS1_11comp_targetILNS1_3genE0ELNS1_11target_archE4294967295ELNS1_3gpuE0ELNS1_3repE0EEENS1_30default_config_static_selectorELNS0_4arch9wavefront6targetE0EEEvSW_,"axG",@progbits,_ZN7rocprim17ROCPRIM_400000_NS6detail17trampoline_kernelINS0_14default_configENS1_27lower_bound_config_selectorI14custom_numericlEEZNS1_14transform_implILb0ES3_S6_N6thrust23THRUST_200600_302600_NS6detail15normal_iteratorINS9_7pointerIS5_NS9_11hip_rocprim3tagENS9_11use_defaultESF_EEEENSB_INSC_IlSE_SF_SF_EEEEZNS1_13binary_searchIS3_S6_NSB_INS9_10device_ptrIS5_EEEESH_SJ_NS1_21lower_bound_search_opENSA_16wrapped_functionINS9_7greaterIS5_EEbEEEE10hipError_tPvRmT1_T2_T3_mmT4_T5_P12ihipStream_tbEUlRKS5_E_EEST_SX_SY_mSZ_S12_bEUlT_E_NS1_11comp_targetILNS1_3genE0ELNS1_11target_archE4294967295ELNS1_3gpuE0ELNS1_3repE0EEENS1_30default_config_static_selectorELNS0_4arch9wavefront6targetE0EEEvSW_,comdat
.Lfunc_end48:
	.size	_ZN7rocprim17ROCPRIM_400000_NS6detail17trampoline_kernelINS0_14default_configENS1_27lower_bound_config_selectorI14custom_numericlEEZNS1_14transform_implILb0ES3_S6_N6thrust23THRUST_200600_302600_NS6detail15normal_iteratorINS9_7pointerIS5_NS9_11hip_rocprim3tagENS9_11use_defaultESF_EEEENSB_INSC_IlSE_SF_SF_EEEEZNS1_13binary_searchIS3_S6_NSB_INS9_10device_ptrIS5_EEEESH_SJ_NS1_21lower_bound_search_opENSA_16wrapped_functionINS9_7greaterIS5_EEbEEEE10hipError_tPvRmT1_T2_T3_mmT4_T5_P12ihipStream_tbEUlRKS5_E_EEST_SX_SY_mSZ_S12_bEUlT_E_NS1_11comp_targetILNS1_3genE0ELNS1_11target_archE4294967295ELNS1_3gpuE0ELNS1_3repE0EEENS1_30default_config_static_selectorELNS0_4arch9wavefront6targetE0EEEvSW_, .Lfunc_end48-_ZN7rocprim17ROCPRIM_400000_NS6detail17trampoline_kernelINS0_14default_configENS1_27lower_bound_config_selectorI14custom_numericlEEZNS1_14transform_implILb0ES3_S6_N6thrust23THRUST_200600_302600_NS6detail15normal_iteratorINS9_7pointerIS5_NS9_11hip_rocprim3tagENS9_11use_defaultESF_EEEENSB_INSC_IlSE_SF_SF_EEEEZNS1_13binary_searchIS3_S6_NSB_INS9_10device_ptrIS5_EEEESH_SJ_NS1_21lower_bound_search_opENSA_16wrapped_functionINS9_7greaterIS5_EEbEEEE10hipError_tPvRmT1_T2_T3_mmT4_T5_P12ihipStream_tbEUlRKS5_E_EEST_SX_SY_mSZ_S12_bEUlT_E_NS1_11comp_targetILNS1_3genE0ELNS1_11target_archE4294967295ELNS1_3gpuE0ELNS1_3repE0EEENS1_30default_config_static_selectorELNS0_4arch9wavefront6targetE0EEEvSW_
                                        ; -- End function
	.set _ZN7rocprim17ROCPRIM_400000_NS6detail17trampoline_kernelINS0_14default_configENS1_27lower_bound_config_selectorI14custom_numericlEEZNS1_14transform_implILb0ES3_S6_N6thrust23THRUST_200600_302600_NS6detail15normal_iteratorINS9_7pointerIS5_NS9_11hip_rocprim3tagENS9_11use_defaultESF_EEEENSB_INSC_IlSE_SF_SF_EEEEZNS1_13binary_searchIS3_S6_NSB_INS9_10device_ptrIS5_EEEESH_SJ_NS1_21lower_bound_search_opENSA_16wrapped_functionINS9_7greaterIS5_EEbEEEE10hipError_tPvRmT1_T2_T3_mmT4_T5_P12ihipStream_tbEUlRKS5_E_EEST_SX_SY_mSZ_S12_bEUlT_E_NS1_11comp_targetILNS1_3genE0ELNS1_11target_archE4294967295ELNS1_3gpuE0ELNS1_3repE0EEENS1_30default_config_static_selectorELNS0_4arch9wavefront6targetE0EEEvSW_.num_vgpr, 11
	.set _ZN7rocprim17ROCPRIM_400000_NS6detail17trampoline_kernelINS0_14default_configENS1_27lower_bound_config_selectorI14custom_numericlEEZNS1_14transform_implILb0ES3_S6_N6thrust23THRUST_200600_302600_NS6detail15normal_iteratorINS9_7pointerIS5_NS9_11hip_rocprim3tagENS9_11use_defaultESF_EEEENSB_INSC_IlSE_SF_SF_EEEEZNS1_13binary_searchIS3_S6_NSB_INS9_10device_ptrIS5_EEEESH_SJ_NS1_21lower_bound_search_opENSA_16wrapped_functionINS9_7greaterIS5_EEbEEEE10hipError_tPvRmT1_T2_T3_mmT4_T5_P12ihipStream_tbEUlRKS5_E_EEST_SX_SY_mSZ_S12_bEUlT_E_NS1_11comp_targetILNS1_3genE0ELNS1_11target_archE4294967295ELNS1_3gpuE0ELNS1_3repE0EEENS1_30default_config_static_selectorELNS0_4arch9wavefront6targetE0EEEvSW_.num_agpr, 0
	.set _ZN7rocprim17ROCPRIM_400000_NS6detail17trampoline_kernelINS0_14default_configENS1_27lower_bound_config_selectorI14custom_numericlEEZNS1_14transform_implILb0ES3_S6_N6thrust23THRUST_200600_302600_NS6detail15normal_iteratorINS9_7pointerIS5_NS9_11hip_rocprim3tagENS9_11use_defaultESF_EEEENSB_INSC_IlSE_SF_SF_EEEEZNS1_13binary_searchIS3_S6_NSB_INS9_10device_ptrIS5_EEEESH_SJ_NS1_21lower_bound_search_opENSA_16wrapped_functionINS9_7greaterIS5_EEbEEEE10hipError_tPvRmT1_T2_T3_mmT4_T5_P12ihipStream_tbEUlRKS5_E_EEST_SX_SY_mSZ_S12_bEUlT_E_NS1_11comp_targetILNS1_3genE0ELNS1_11target_archE4294967295ELNS1_3gpuE0ELNS1_3repE0EEENS1_30default_config_static_selectorELNS0_4arch9wavefront6targetE0EEEvSW_.numbered_sgpr, 18
	.set _ZN7rocprim17ROCPRIM_400000_NS6detail17trampoline_kernelINS0_14default_configENS1_27lower_bound_config_selectorI14custom_numericlEEZNS1_14transform_implILb0ES3_S6_N6thrust23THRUST_200600_302600_NS6detail15normal_iteratorINS9_7pointerIS5_NS9_11hip_rocprim3tagENS9_11use_defaultESF_EEEENSB_INSC_IlSE_SF_SF_EEEEZNS1_13binary_searchIS3_S6_NSB_INS9_10device_ptrIS5_EEEESH_SJ_NS1_21lower_bound_search_opENSA_16wrapped_functionINS9_7greaterIS5_EEbEEEE10hipError_tPvRmT1_T2_T3_mmT4_T5_P12ihipStream_tbEUlRKS5_E_EEST_SX_SY_mSZ_S12_bEUlT_E_NS1_11comp_targetILNS1_3genE0ELNS1_11target_archE4294967295ELNS1_3gpuE0ELNS1_3repE0EEENS1_30default_config_static_selectorELNS0_4arch9wavefront6targetE0EEEvSW_.num_named_barrier, 0
	.set _ZN7rocprim17ROCPRIM_400000_NS6detail17trampoline_kernelINS0_14default_configENS1_27lower_bound_config_selectorI14custom_numericlEEZNS1_14transform_implILb0ES3_S6_N6thrust23THRUST_200600_302600_NS6detail15normal_iteratorINS9_7pointerIS5_NS9_11hip_rocprim3tagENS9_11use_defaultESF_EEEENSB_INSC_IlSE_SF_SF_EEEEZNS1_13binary_searchIS3_S6_NSB_INS9_10device_ptrIS5_EEEESH_SJ_NS1_21lower_bound_search_opENSA_16wrapped_functionINS9_7greaterIS5_EEbEEEE10hipError_tPvRmT1_T2_T3_mmT4_T5_P12ihipStream_tbEUlRKS5_E_EEST_SX_SY_mSZ_S12_bEUlT_E_NS1_11comp_targetILNS1_3genE0ELNS1_11target_archE4294967295ELNS1_3gpuE0ELNS1_3repE0EEENS1_30default_config_static_selectorELNS0_4arch9wavefront6targetE0EEEvSW_.private_seg_size, 0
	.set _ZN7rocprim17ROCPRIM_400000_NS6detail17trampoline_kernelINS0_14default_configENS1_27lower_bound_config_selectorI14custom_numericlEEZNS1_14transform_implILb0ES3_S6_N6thrust23THRUST_200600_302600_NS6detail15normal_iteratorINS9_7pointerIS5_NS9_11hip_rocprim3tagENS9_11use_defaultESF_EEEENSB_INSC_IlSE_SF_SF_EEEEZNS1_13binary_searchIS3_S6_NSB_INS9_10device_ptrIS5_EEEESH_SJ_NS1_21lower_bound_search_opENSA_16wrapped_functionINS9_7greaterIS5_EEbEEEE10hipError_tPvRmT1_T2_T3_mmT4_T5_P12ihipStream_tbEUlRKS5_E_EEST_SX_SY_mSZ_S12_bEUlT_E_NS1_11comp_targetILNS1_3genE0ELNS1_11target_archE4294967295ELNS1_3gpuE0ELNS1_3repE0EEENS1_30default_config_static_selectorELNS0_4arch9wavefront6targetE0EEEvSW_.uses_vcc, 1
	.set _ZN7rocprim17ROCPRIM_400000_NS6detail17trampoline_kernelINS0_14default_configENS1_27lower_bound_config_selectorI14custom_numericlEEZNS1_14transform_implILb0ES3_S6_N6thrust23THRUST_200600_302600_NS6detail15normal_iteratorINS9_7pointerIS5_NS9_11hip_rocprim3tagENS9_11use_defaultESF_EEEENSB_INSC_IlSE_SF_SF_EEEEZNS1_13binary_searchIS3_S6_NSB_INS9_10device_ptrIS5_EEEESH_SJ_NS1_21lower_bound_search_opENSA_16wrapped_functionINS9_7greaterIS5_EEbEEEE10hipError_tPvRmT1_T2_T3_mmT4_T5_P12ihipStream_tbEUlRKS5_E_EEST_SX_SY_mSZ_S12_bEUlT_E_NS1_11comp_targetILNS1_3genE0ELNS1_11target_archE4294967295ELNS1_3gpuE0ELNS1_3repE0EEENS1_30default_config_static_selectorELNS0_4arch9wavefront6targetE0EEEvSW_.uses_flat_scratch, 0
	.set _ZN7rocprim17ROCPRIM_400000_NS6detail17trampoline_kernelINS0_14default_configENS1_27lower_bound_config_selectorI14custom_numericlEEZNS1_14transform_implILb0ES3_S6_N6thrust23THRUST_200600_302600_NS6detail15normal_iteratorINS9_7pointerIS5_NS9_11hip_rocprim3tagENS9_11use_defaultESF_EEEENSB_INSC_IlSE_SF_SF_EEEEZNS1_13binary_searchIS3_S6_NSB_INS9_10device_ptrIS5_EEEESH_SJ_NS1_21lower_bound_search_opENSA_16wrapped_functionINS9_7greaterIS5_EEbEEEE10hipError_tPvRmT1_T2_T3_mmT4_T5_P12ihipStream_tbEUlRKS5_E_EEST_SX_SY_mSZ_S12_bEUlT_E_NS1_11comp_targetILNS1_3genE0ELNS1_11target_archE4294967295ELNS1_3gpuE0ELNS1_3repE0EEENS1_30default_config_static_selectorELNS0_4arch9wavefront6targetE0EEEvSW_.has_dyn_sized_stack, 0
	.set _ZN7rocprim17ROCPRIM_400000_NS6detail17trampoline_kernelINS0_14default_configENS1_27lower_bound_config_selectorI14custom_numericlEEZNS1_14transform_implILb0ES3_S6_N6thrust23THRUST_200600_302600_NS6detail15normal_iteratorINS9_7pointerIS5_NS9_11hip_rocprim3tagENS9_11use_defaultESF_EEEENSB_INSC_IlSE_SF_SF_EEEEZNS1_13binary_searchIS3_S6_NSB_INS9_10device_ptrIS5_EEEESH_SJ_NS1_21lower_bound_search_opENSA_16wrapped_functionINS9_7greaterIS5_EEbEEEE10hipError_tPvRmT1_T2_T3_mmT4_T5_P12ihipStream_tbEUlRKS5_E_EEST_SX_SY_mSZ_S12_bEUlT_E_NS1_11comp_targetILNS1_3genE0ELNS1_11target_archE4294967295ELNS1_3gpuE0ELNS1_3repE0EEENS1_30default_config_static_selectorELNS0_4arch9wavefront6targetE0EEEvSW_.has_recursion, 0
	.set _ZN7rocprim17ROCPRIM_400000_NS6detail17trampoline_kernelINS0_14default_configENS1_27lower_bound_config_selectorI14custom_numericlEEZNS1_14transform_implILb0ES3_S6_N6thrust23THRUST_200600_302600_NS6detail15normal_iteratorINS9_7pointerIS5_NS9_11hip_rocprim3tagENS9_11use_defaultESF_EEEENSB_INSC_IlSE_SF_SF_EEEEZNS1_13binary_searchIS3_S6_NSB_INS9_10device_ptrIS5_EEEESH_SJ_NS1_21lower_bound_search_opENSA_16wrapped_functionINS9_7greaterIS5_EEbEEEE10hipError_tPvRmT1_T2_T3_mmT4_T5_P12ihipStream_tbEUlRKS5_E_EEST_SX_SY_mSZ_S12_bEUlT_E_NS1_11comp_targetILNS1_3genE0ELNS1_11target_archE4294967295ELNS1_3gpuE0ELNS1_3repE0EEENS1_30default_config_static_selectorELNS0_4arch9wavefront6targetE0EEEvSW_.has_indirect_call, 0
	.section	.AMDGPU.csdata,"",@progbits
; Kernel info:
; codeLenInByte = 664
; TotalNumSgprs: 20
; NumVgprs: 11
; ScratchSize: 0
; MemoryBound: 0
; FloatMode: 240
; IeeeMode: 1
; LDSByteSize: 0 bytes/workgroup (compile time only)
; SGPRBlocks: 0
; VGPRBlocks: 0
; NumSGPRsForWavesPerEU: 20
; NumVGPRsForWavesPerEU: 11
; NamedBarCnt: 0
; Occupancy: 16
; WaveLimiterHint : 0
; COMPUTE_PGM_RSRC2:SCRATCH_EN: 0
; COMPUTE_PGM_RSRC2:USER_SGPR: 2
; COMPUTE_PGM_RSRC2:TRAP_HANDLER: 0
; COMPUTE_PGM_RSRC2:TGID_X_EN: 1
; COMPUTE_PGM_RSRC2:TGID_Y_EN: 0
; COMPUTE_PGM_RSRC2:TGID_Z_EN: 0
; COMPUTE_PGM_RSRC2:TIDIG_COMP_CNT: 0
	.section	.text._ZN7rocprim17ROCPRIM_400000_NS6detail17trampoline_kernelINS0_14default_configENS1_27lower_bound_config_selectorI14custom_numericlEEZNS1_14transform_implILb0ES3_S6_N6thrust23THRUST_200600_302600_NS6detail15normal_iteratorINS9_7pointerIS5_NS9_11hip_rocprim3tagENS9_11use_defaultESF_EEEENSB_INSC_IlSE_SF_SF_EEEEZNS1_13binary_searchIS3_S6_NSB_INS9_10device_ptrIS5_EEEESH_SJ_NS1_21lower_bound_search_opENSA_16wrapped_functionINS9_7greaterIS5_EEbEEEE10hipError_tPvRmT1_T2_T3_mmT4_T5_P12ihipStream_tbEUlRKS5_E_EEST_SX_SY_mSZ_S12_bEUlT_E_NS1_11comp_targetILNS1_3genE5ELNS1_11target_archE942ELNS1_3gpuE9ELNS1_3repE0EEENS1_30default_config_static_selectorELNS0_4arch9wavefront6targetE0EEEvSW_,"axG",@progbits,_ZN7rocprim17ROCPRIM_400000_NS6detail17trampoline_kernelINS0_14default_configENS1_27lower_bound_config_selectorI14custom_numericlEEZNS1_14transform_implILb0ES3_S6_N6thrust23THRUST_200600_302600_NS6detail15normal_iteratorINS9_7pointerIS5_NS9_11hip_rocprim3tagENS9_11use_defaultESF_EEEENSB_INSC_IlSE_SF_SF_EEEEZNS1_13binary_searchIS3_S6_NSB_INS9_10device_ptrIS5_EEEESH_SJ_NS1_21lower_bound_search_opENSA_16wrapped_functionINS9_7greaterIS5_EEbEEEE10hipError_tPvRmT1_T2_T3_mmT4_T5_P12ihipStream_tbEUlRKS5_E_EEST_SX_SY_mSZ_S12_bEUlT_E_NS1_11comp_targetILNS1_3genE5ELNS1_11target_archE942ELNS1_3gpuE9ELNS1_3repE0EEENS1_30default_config_static_selectorELNS0_4arch9wavefront6targetE0EEEvSW_,comdat
	.protected	_ZN7rocprim17ROCPRIM_400000_NS6detail17trampoline_kernelINS0_14default_configENS1_27lower_bound_config_selectorI14custom_numericlEEZNS1_14transform_implILb0ES3_S6_N6thrust23THRUST_200600_302600_NS6detail15normal_iteratorINS9_7pointerIS5_NS9_11hip_rocprim3tagENS9_11use_defaultESF_EEEENSB_INSC_IlSE_SF_SF_EEEEZNS1_13binary_searchIS3_S6_NSB_INS9_10device_ptrIS5_EEEESH_SJ_NS1_21lower_bound_search_opENSA_16wrapped_functionINS9_7greaterIS5_EEbEEEE10hipError_tPvRmT1_T2_T3_mmT4_T5_P12ihipStream_tbEUlRKS5_E_EEST_SX_SY_mSZ_S12_bEUlT_E_NS1_11comp_targetILNS1_3genE5ELNS1_11target_archE942ELNS1_3gpuE9ELNS1_3repE0EEENS1_30default_config_static_selectorELNS0_4arch9wavefront6targetE0EEEvSW_ ; -- Begin function _ZN7rocprim17ROCPRIM_400000_NS6detail17trampoline_kernelINS0_14default_configENS1_27lower_bound_config_selectorI14custom_numericlEEZNS1_14transform_implILb0ES3_S6_N6thrust23THRUST_200600_302600_NS6detail15normal_iteratorINS9_7pointerIS5_NS9_11hip_rocprim3tagENS9_11use_defaultESF_EEEENSB_INSC_IlSE_SF_SF_EEEEZNS1_13binary_searchIS3_S6_NSB_INS9_10device_ptrIS5_EEEESH_SJ_NS1_21lower_bound_search_opENSA_16wrapped_functionINS9_7greaterIS5_EEbEEEE10hipError_tPvRmT1_T2_T3_mmT4_T5_P12ihipStream_tbEUlRKS5_E_EEST_SX_SY_mSZ_S12_bEUlT_E_NS1_11comp_targetILNS1_3genE5ELNS1_11target_archE942ELNS1_3gpuE9ELNS1_3repE0EEENS1_30default_config_static_selectorELNS0_4arch9wavefront6targetE0EEEvSW_
	.globl	_ZN7rocprim17ROCPRIM_400000_NS6detail17trampoline_kernelINS0_14default_configENS1_27lower_bound_config_selectorI14custom_numericlEEZNS1_14transform_implILb0ES3_S6_N6thrust23THRUST_200600_302600_NS6detail15normal_iteratorINS9_7pointerIS5_NS9_11hip_rocprim3tagENS9_11use_defaultESF_EEEENSB_INSC_IlSE_SF_SF_EEEEZNS1_13binary_searchIS3_S6_NSB_INS9_10device_ptrIS5_EEEESH_SJ_NS1_21lower_bound_search_opENSA_16wrapped_functionINS9_7greaterIS5_EEbEEEE10hipError_tPvRmT1_T2_T3_mmT4_T5_P12ihipStream_tbEUlRKS5_E_EEST_SX_SY_mSZ_S12_bEUlT_E_NS1_11comp_targetILNS1_3genE5ELNS1_11target_archE942ELNS1_3gpuE9ELNS1_3repE0EEENS1_30default_config_static_selectorELNS0_4arch9wavefront6targetE0EEEvSW_
	.p2align	8
	.type	_ZN7rocprim17ROCPRIM_400000_NS6detail17trampoline_kernelINS0_14default_configENS1_27lower_bound_config_selectorI14custom_numericlEEZNS1_14transform_implILb0ES3_S6_N6thrust23THRUST_200600_302600_NS6detail15normal_iteratorINS9_7pointerIS5_NS9_11hip_rocprim3tagENS9_11use_defaultESF_EEEENSB_INSC_IlSE_SF_SF_EEEEZNS1_13binary_searchIS3_S6_NSB_INS9_10device_ptrIS5_EEEESH_SJ_NS1_21lower_bound_search_opENSA_16wrapped_functionINS9_7greaterIS5_EEbEEEE10hipError_tPvRmT1_T2_T3_mmT4_T5_P12ihipStream_tbEUlRKS5_E_EEST_SX_SY_mSZ_S12_bEUlT_E_NS1_11comp_targetILNS1_3genE5ELNS1_11target_archE942ELNS1_3gpuE9ELNS1_3repE0EEENS1_30default_config_static_selectorELNS0_4arch9wavefront6targetE0EEEvSW_,@function
_ZN7rocprim17ROCPRIM_400000_NS6detail17trampoline_kernelINS0_14default_configENS1_27lower_bound_config_selectorI14custom_numericlEEZNS1_14transform_implILb0ES3_S6_N6thrust23THRUST_200600_302600_NS6detail15normal_iteratorINS9_7pointerIS5_NS9_11hip_rocprim3tagENS9_11use_defaultESF_EEEENSB_INSC_IlSE_SF_SF_EEEEZNS1_13binary_searchIS3_S6_NSB_INS9_10device_ptrIS5_EEEESH_SJ_NS1_21lower_bound_search_opENSA_16wrapped_functionINS9_7greaterIS5_EEbEEEE10hipError_tPvRmT1_T2_T3_mmT4_T5_P12ihipStream_tbEUlRKS5_E_EEST_SX_SY_mSZ_S12_bEUlT_E_NS1_11comp_targetILNS1_3genE5ELNS1_11target_archE942ELNS1_3gpuE9ELNS1_3repE0EEENS1_30default_config_static_selectorELNS0_4arch9wavefront6targetE0EEEvSW_: ; @_ZN7rocprim17ROCPRIM_400000_NS6detail17trampoline_kernelINS0_14default_configENS1_27lower_bound_config_selectorI14custom_numericlEEZNS1_14transform_implILb0ES3_S6_N6thrust23THRUST_200600_302600_NS6detail15normal_iteratorINS9_7pointerIS5_NS9_11hip_rocprim3tagENS9_11use_defaultESF_EEEENSB_INSC_IlSE_SF_SF_EEEEZNS1_13binary_searchIS3_S6_NSB_INS9_10device_ptrIS5_EEEESH_SJ_NS1_21lower_bound_search_opENSA_16wrapped_functionINS9_7greaterIS5_EEbEEEE10hipError_tPvRmT1_T2_T3_mmT4_T5_P12ihipStream_tbEUlRKS5_E_EEST_SX_SY_mSZ_S12_bEUlT_E_NS1_11comp_targetILNS1_3genE5ELNS1_11target_archE942ELNS1_3gpuE9ELNS1_3repE0EEENS1_30default_config_static_selectorELNS0_4arch9wavefront6targetE0EEEvSW_
; %bb.0:
	.section	.rodata,"a",@progbits
	.p2align	6, 0x0
	.amdhsa_kernel _ZN7rocprim17ROCPRIM_400000_NS6detail17trampoline_kernelINS0_14default_configENS1_27lower_bound_config_selectorI14custom_numericlEEZNS1_14transform_implILb0ES3_S6_N6thrust23THRUST_200600_302600_NS6detail15normal_iteratorINS9_7pointerIS5_NS9_11hip_rocprim3tagENS9_11use_defaultESF_EEEENSB_INSC_IlSE_SF_SF_EEEEZNS1_13binary_searchIS3_S6_NSB_INS9_10device_ptrIS5_EEEESH_SJ_NS1_21lower_bound_search_opENSA_16wrapped_functionINS9_7greaterIS5_EEbEEEE10hipError_tPvRmT1_T2_T3_mmT4_T5_P12ihipStream_tbEUlRKS5_E_EEST_SX_SY_mSZ_S12_bEUlT_E_NS1_11comp_targetILNS1_3genE5ELNS1_11target_archE942ELNS1_3gpuE9ELNS1_3repE0EEENS1_30default_config_static_selectorELNS0_4arch9wavefront6targetE0EEEvSW_
		.amdhsa_group_segment_fixed_size 0
		.amdhsa_private_segment_fixed_size 0
		.amdhsa_kernarg_size 56
		.amdhsa_user_sgpr_count 2
		.amdhsa_user_sgpr_dispatch_ptr 0
		.amdhsa_user_sgpr_queue_ptr 0
		.amdhsa_user_sgpr_kernarg_segment_ptr 1
		.amdhsa_user_sgpr_dispatch_id 0
		.amdhsa_user_sgpr_kernarg_preload_length 0
		.amdhsa_user_sgpr_kernarg_preload_offset 0
		.amdhsa_user_sgpr_private_segment_size 0
		.amdhsa_wavefront_size32 1
		.amdhsa_uses_dynamic_stack 0
		.amdhsa_enable_private_segment 0
		.amdhsa_system_sgpr_workgroup_id_x 1
		.amdhsa_system_sgpr_workgroup_id_y 0
		.amdhsa_system_sgpr_workgroup_id_z 0
		.amdhsa_system_sgpr_workgroup_info 0
		.amdhsa_system_vgpr_workitem_id 0
		.amdhsa_next_free_vgpr 1
		.amdhsa_next_free_sgpr 1
		.amdhsa_named_barrier_count 0
		.amdhsa_reserve_vcc 0
		.amdhsa_float_round_mode_32 0
		.amdhsa_float_round_mode_16_64 0
		.amdhsa_float_denorm_mode_32 3
		.amdhsa_float_denorm_mode_16_64 3
		.amdhsa_fp16_overflow 0
		.amdhsa_memory_ordered 1
		.amdhsa_forward_progress 1
		.amdhsa_inst_pref_size 0
		.amdhsa_round_robin_scheduling 0
		.amdhsa_exception_fp_ieee_invalid_op 0
		.amdhsa_exception_fp_denorm_src 0
		.amdhsa_exception_fp_ieee_div_zero 0
		.amdhsa_exception_fp_ieee_overflow 0
		.amdhsa_exception_fp_ieee_underflow 0
		.amdhsa_exception_fp_ieee_inexact 0
		.amdhsa_exception_int_div_zero 0
	.end_amdhsa_kernel
	.section	.text._ZN7rocprim17ROCPRIM_400000_NS6detail17trampoline_kernelINS0_14default_configENS1_27lower_bound_config_selectorI14custom_numericlEEZNS1_14transform_implILb0ES3_S6_N6thrust23THRUST_200600_302600_NS6detail15normal_iteratorINS9_7pointerIS5_NS9_11hip_rocprim3tagENS9_11use_defaultESF_EEEENSB_INSC_IlSE_SF_SF_EEEEZNS1_13binary_searchIS3_S6_NSB_INS9_10device_ptrIS5_EEEESH_SJ_NS1_21lower_bound_search_opENSA_16wrapped_functionINS9_7greaterIS5_EEbEEEE10hipError_tPvRmT1_T2_T3_mmT4_T5_P12ihipStream_tbEUlRKS5_E_EEST_SX_SY_mSZ_S12_bEUlT_E_NS1_11comp_targetILNS1_3genE5ELNS1_11target_archE942ELNS1_3gpuE9ELNS1_3repE0EEENS1_30default_config_static_selectorELNS0_4arch9wavefront6targetE0EEEvSW_,"axG",@progbits,_ZN7rocprim17ROCPRIM_400000_NS6detail17trampoline_kernelINS0_14default_configENS1_27lower_bound_config_selectorI14custom_numericlEEZNS1_14transform_implILb0ES3_S6_N6thrust23THRUST_200600_302600_NS6detail15normal_iteratorINS9_7pointerIS5_NS9_11hip_rocprim3tagENS9_11use_defaultESF_EEEENSB_INSC_IlSE_SF_SF_EEEEZNS1_13binary_searchIS3_S6_NSB_INS9_10device_ptrIS5_EEEESH_SJ_NS1_21lower_bound_search_opENSA_16wrapped_functionINS9_7greaterIS5_EEbEEEE10hipError_tPvRmT1_T2_T3_mmT4_T5_P12ihipStream_tbEUlRKS5_E_EEST_SX_SY_mSZ_S12_bEUlT_E_NS1_11comp_targetILNS1_3genE5ELNS1_11target_archE942ELNS1_3gpuE9ELNS1_3repE0EEENS1_30default_config_static_selectorELNS0_4arch9wavefront6targetE0EEEvSW_,comdat
.Lfunc_end49:
	.size	_ZN7rocprim17ROCPRIM_400000_NS6detail17trampoline_kernelINS0_14default_configENS1_27lower_bound_config_selectorI14custom_numericlEEZNS1_14transform_implILb0ES3_S6_N6thrust23THRUST_200600_302600_NS6detail15normal_iteratorINS9_7pointerIS5_NS9_11hip_rocprim3tagENS9_11use_defaultESF_EEEENSB_INSC_IlSE_SF_SF_EEEEZNS1_13binary_searchIS3_S6_NSB_INS9_10device_ptrIS5_EEEESH_SJ_NS1_21lower_bound_search_opENSA_16wrapped_functionINS9_7greaterIS5_EEbEEEE10hipError_tPvRmT1_T2_T3_mmT4_T5_P12ihipStream_tbEUlRKS5_E_EEST_SX_SY_mSZ_S12_bEUlT_E_NS1_11comp_targetILNS1_3genE5ELNS1_11target_archE942ELNS1_3gpuE9ELNS1_3repE0EEENS1_30default_config_static_selectorELNS0_4arch9wavefront6targetE0EEEvSW_, .Lfunc_end49-_ZN7rocprim17ROCPRIM_400000_NS6detail17trampoline_kernelINS0_14default_configENS1_27lower_bound_config_selectorI14custom_numericlEEZNS1_14transform_implILb0ES3_S6_N6thrust23THRUST_200600_302600_NS6detail15normal_iteratorINS9_7pointerIS5_NS9_11hip_rocprim3tagENS9_11use_defaultESF_EEEENSB_INSC_IlSE_SF_SF_EEEEZNS1_13binary_searchIS3_S6_NSB_INS9_10device_ptrIS5_EEEESH_SJ_NS1_21lower_bound_search_opENSA_16wrapped_functionINS9_7greaterIS5_EEbEEEE10hipError_tPvRmT1_T2_T3_mmT4_T5_P12ihipStream_tbEUlRKS5_E_EEST_SX_SY_mSZ_S12_bEUlT_E_NS1_11comp_targetILNS1_3genE5ELNS1_11target_archE942ELNS1_3gpuE9ELNS1_3repE0EEENS1_30default_config_static_selectorELNS0_4arch9wavefront6targetE0EEEvSW_
                                        ; -- End function
	.set _ZN7rocprim17ROCPRIM_400000_NS6detail17trampoline_kernelINS0_14default_configENS1_27lower_bound_config_selectorI14custom_numericlEEZNS1_14transform_implILb0ES3_S6_N6thrust23THRUST_200600_302600_NS6detail15normal_iteratorINS9_7pointerIS5_NS9_11hip_rocprim3tagENS9_11use_defaultESF_EEEENSB_INSC_IlSE_SF_SF_EEEEZNS1_13binary_searchIS3_S6_NSB_INS9_10device_ptrIS5_EEEESH_SJ_NS1_21lower_bound_search_opENSA_16wrapped_functionINS9_7greaterIS5_EEbEEEE10hipError_tPvRmT1_T2_T3_mmT4_T5_P12ihipStream_tbEUlRKS5_E_EEST_SX_SY_mSZ_S12_bEUlT_E_NS1_11comp_targetILNS1_3genE5ELNS1_11target_archE942ELNS1_3gpuE9ELNS1_3repE0EEENS1_30default_config_static_selectorELNS0_4arch9wavefront6targetE0EEEvSW_.num_vgpr, 0
	.set _ZN7rocprim17ROCPRIM_400000_NS6detail17trampoline_kernelINS0_14default_configENS1_27lower_bound_config_selectorI14custom_numericlEEZNS1_14transform_implILb0ES3_S6_N6thrust23THRUST_200600_302600_NS6detail15normal_iteratorINS9_7pointerIS5_NS9_11hip_rocprim3tagENS9_11use_defaultESF_EEEENSB_INSC_IlSE_SF_SF_EEEEZNS1_13binary_searchIS3_S6_NSB_INS9_10device_ptrIS5_EEEESH_SJ_NS1_21lower_bound_search_opENSA_16wrapped_functionINS9_7greaterIS5_EEbEEEE10hipError_tPvRmT1_T2_T3_mmT4_T5_P12ihipStream_tbEUlRKS5_E_EEST_SX_SY_mSZ_S12_bEUlT_E_NS1_11comp_targetILNS1_3genE5ELNS1_11target_archE942ELNS1_3gpuE9ELNS1_3repE0EEENS1_30default_config_static_selectorELNS0_4arch9wavefront6targetE0EEEvSW_.num_agpr, 0
	.set _ZN7rocprim17ROCPRIM_400000_NS6detail17trampoline_kernelINS0_14default_configENS1_27lower_bound_config_selectorI14custom_numericlEEZNS1_14transform_implILb0ES3_S6_N6thrust23THRUST_200600_302600_NS6detail15normal_iteratorINS9_7pointerIS5_NS9_11hip_rocprim3tagENS9_11use_defaultESF_EEEENSB_INSC_IlSE_SF_SF_EEEEZNS1_13binary_searchIS3_S6_NSB_INS9_10device_ptrIS5_EEEESH_SJ_NS1_21lower_bound_search_opENSA_16wrapped_functionINS9_7greaterIS5_EEbEEEE10hipError_tPvRmT1_T2_T3_mmT4_T5_P12ihipStream_tbEUlRKS5_E_EEST_SX_SY_mSZ_S12_bEUlT_E_NS1_11comp_targetILNS1_3genE5ELNS1_11target_archE942ELNS1_3gpuE9ELNS1_3repE0EEENS1_30default_config_static_selectorELNS0_4arch9wavefront6targetE0EEEvSW_.numbered_sgpr, 0
	.set _ZN7rocprim17ROCPRIM_400000_NS6detail17trampoline_kernelINS0_14default_configENS1_27lower_bound_config_selectorI14custom_numericlEEZNS1_14transform_implILb0ES3_S6_N6thrust23THRUST_200600_302600_NS6detail15normal_iteratorINS9_7pointerIS5_NS9_11hip_rocprim3tagENS9_11use_defaultESF_EEEENSB_INSC_IlSE_SF_SF_EEEEZNS1_13binary_searchIS3_S6_NSB_INS9_10device_ptrIS5_EEEESH_SJ_NS1_21lower_bound_search_opENSA_16wrapped_functionINS9_7greaterIS5_EEbEEEE10hipError_tPvRmT1_T2_T3_mmT4_T5_P12ihipStream_tbEUlRKS5_E_EEST_SX_SY_mSZ_S12_bEUlT_E_NS1_11comp_targetILNS1_3genE5ELNS1_11target_archE942ELNS1_3gpuE9ELNS1_3repE0EEENS1_30default_config_static_selectorELNS0_4arch9wavefront6targetE0EEEvSW_.num_named_barrier, 0
	.set _ZN7rocprim17ROCPRIM_400000_NS6detail17trampoline_kernelINS0_14default_configENS1_27lower_bound_config_selectorI14custom_numericlEEZNS1_14transform_implILb0ES3_S6_N6thrust23THRUST_200600_302600_NS6detail15normal_iteratorINS9_7pointerIS5_NS9_11hip_rocprim3tagENS9_11use_defaultESF_EEEENSB_INSC_IlSE_SF_SF_EEEEZNS1_13binary_searchIS3_S6_NSB_INS9_10device_ptrIS5_EEEESH_SJ_NS1_21lower_bound_search_opENSA_16wrapped_functionINS9_7greaterIS5_EEbEEEE10hipError_tPvRmT1_T2_T3_mmT4_T5_P12ihipStream_tbEUlRKS5_E_EEST_SX_SY_mSZ_S12_bEUlT_E_NS1_11comp_targetILNS1_3genE5ELNS1_11target_archE942ELNS1_3gpuE9ELNS1_3repE0EEENS1_30default_config_static_selectorELNS0_4arch9wavefront6targetE0EEEvSW_.private_seg_size, 0
	.set _ZN7rocprim17ROCPRIM_400000_NS6detail17trampoline_kernelINS0_14default_configENS1_27lower_bound_config_selectorI14custom_numericlEEZNS1_14transform_implILb0ES3_S6_N6thrust23THRUST_200600_302600_NS6detail15normal_iteratorINS9_7pointerIS5_NS9_11hip_rocprim3tagENS9_11use_defaultESF_EEEENSB_INSC_IlSE_SF_SF_EEEEZNS1_13binary_searchIS3_S6_NSB_INS9_10device_ptrIS5_EEEESH_SJ_NS1_21lower_bound_search_opENSA_16wrapped_functionINS9_7greaterIS5_EEbEEEE10hipError_tPvRmT1_T2_T3_mmT4_T5_P12ihipStream_tbEUlRKS5_E_EEST_SX_SY_mSZ_S12_bEUlT_E_NS1_11comp_targetILNS1_3genE5ELNS1_11target_archE942ELNS1_3gpuE9ELNS1_3repE0EEENS1_30default_config_static_selectorELNS0_4arch9wavefront6targetE0EEEvSW_.uses_vcc, 0
	.set _ZN7rocprim17ROCPRIM_400000_NS6detail17trampoline_kernelINS0_14default_configENS1_27lower_bound_config_selectorI14custom_numericlEEZNS1_14transform_implILb0ES3_S6_N6thrust23THRUST_200600_302600_NS6detail15normal_iteratorINS9_7pointerIS5_NS9_11hip_rocprim3tagENS9_11use_defaultESF_EEEENSB_INSC_IlSE_SF_SF_EEEEZNS1_13binary_searchIS3_S6_NSB_INS9_10device_ptrIS5_EEEESH_SJ_NS1_21lower_bound_search_opENSA_16wrapped_functionINS9_7greaterIS5_EEbEEEE10hipError_tPvRmT1_T2_T3_mmT4_T5_P12ihipStream_tbEUlRKS5_E_EEST_SX_SY_mSZ_S12_bEUlT_E_NS1_11comp_targetILNS1_3genE5ELNS1_11target_archE942ELNS1_3gpuE9ELNS1_3repE0EEENS1_30default_config_static_selectorELNS0_4arch9wavefront6targetE0EEEvSW_.uses_flat_scratch, 0
	.set _ZN7rocprim17ROCPRIM_400000_NS6detail17trampoline_kernelINS0_14default_configENS1_27lower_bound_config_selectorI14custom_numericlEEZNS1_14transform_implILb0ES3_S6_N6thrust23THRUST_200600_302600_NS6detail15normal_iteratorINS9_7pointerIS5_NS9_11hip_rocprim3tagENS9_11use_defaultESF_EEEENSB_INSC_IlSE_SF_SF_EEEEZNS1_13binary_searchIS3_S6_NSB_INS9_10device_ptrIS5_EEEESH_SJ_NS1_21lower_bound_search_opENSA_16wrapped_functionINS9_7greaterIS5_EEbEEEE10hipError_tPvRmT1_T2_T3_mmT4_T5_P12ihipStream_tbEUlRKS5_E_EEST_SX_SY_mSZ_S12_bEUlT_E_NS1_11comp_targetILNS1_3genE5ELNS1_11target_archE942ELNS1_3gpuE9ELNS1_3repE0EEENS1_30default_config_static_selectorELNS0_4arch9wavefront6targetE0EEEvSW_.has_dyn_sized_stack, 0
	.set _ZN7rocprim17ROCPRIM_400000_NS6detail17trampoline_kernelINS0_14default_configENS1_27lower_bound_config_selectorI14custom_numericlEEZNS1_14transform_implILb0ES3_S6_N6thrust23THRUST_200600_302600_NS6detail15normal_iteratorINS9_7pointerIS5_NS9_11hip_rocprim3tagENS9_11use_defaultESF_EEEENSB_INSC_IlSE_SF_SF_EEEEZNS1_13binary_searchIS3_S6_NSB_INS9_10device_ptrIS5_EEEESH_SJ_NS1_21lower_bound_search_opENSA_16wrapped_functionINS9_7greaterIS5_EEbEEEE10hipError_tPvRmT1_T2_T3_mmT4_T5_P12ihipStream_tbEUlRKS5_E_EEST_SX_SY_mSZ_S12_bEUlT_E_NS1_11comp_targetILNS1_3genE5ELNS1_11target_archE942ELNS1_3gpuE9ELNS1_3repE0EEENS1_30default_config_static_selectorELNS0_4arch9wavefront6targetE0EEEvSW_.has_recursion, 0
	.set _ZN7rocprim17ROCPRIM_400000_NS6detail17trampoline_kernelINS0_14default_configENS1_27lower_bound_config_selectorI14custom_numericlEEZNS1_14transform_implILb0ES3_S6_N6thrust23THRUST_200600_302600_NS6detail15normal_iteratorINS9_7pointerIS5_NS9_11hip_rocprim3tagENS9_11use_defaultESF_EEEENSB_INSC_IlSE_SF_SF_EEEEZNS1_13binary_searchIS3_S6_NSB_INS9_10device_ptrIS5_EEEESH_SJ_NS1_21lower_bound_search_opENSA_16wrapped_functionINS9_7greaterIS5_EEbEEEE10hipError_tPvRmT1_T2_T3_mmT4_T5_P12ihipStream_tbEUlRKS5_E_EEST_SX_SY_mSZ_S12_bEUlT_E_NS1_11comp_targetILNS1_3genE5ELNS1_11target_archE942ELNS1_3gpuE9ELNS1_3repE0EEENS1_30default_config_static_selectorELNS0_4arch9wavefront6targetE0EEEvSW_.has_indirect_call, 0
	.section	.AMDGPU.csdata,"",@progbits
; Kernel info:
; codeLenInByte = 0
; TotalNumSgprs: 0
; NumVgprs: 0
; ScratchSize: 0
; MemoryBound: 0
; FloatMode: 240
; IeeeMode: 1
; LDSByteSize: 0 bytes/workgroup (compile time only)
; SGPRBlocks: 0
; VGPRBlocks: 0
; NumSGPRsForWavesPerEU: 1
; NumVGPRsForWavesPerEU: 1
; NamedBarCnt: 0
; Occupancy: 16
; WaveLimiterHint : 0
; COMPUTE_PGM_RSRC2:SCRATCH_EN: 0
; COMPUTE_PGM_RSRC2:USER_SGPR: 2
; COMPUTE_PGM_RSRC2:TRAP_HANDLER: 0
; COMPUTE_PGM_RSRC2:TGID_X_EN: 1
; COMPUTE_PGM_RSRC2:TGID_Y_EN: 0
; COMPUTE_PGM_RSRC2:TGID_Z_EN: 0
; COMPUTE_PGM_RSRC2:TIDIG_COMP_CNT: 0
	.section	.text._ZN7rocprim17ROCPRIM_400000_NS6detail17trampoline_kernelINS0_14default_configENS1_27lower_bound_config_selectorI14custom_numericlEEZNS1_14transform_implILb0ES3_S6_N6thrust23THRUST_200600_302600_NS6detail15normal_iteratorINS9_7pointerIS5_NS9_11hip_rocprim3tagENS9_11use_defaultESF_EEEENSB_INSC_IlSE_SF_SF_EEEEZNS1_13binary_searchIS3_S6_NSB_INS9_10device_ptrIS5_EEEESH_SJ_NS1_21lower_bound_search_opENSA_16wrapped_functionINS9_7greaterIS5_EEbEEEE10hipError_tPvRmT1_T2_T3_mmT4_T5_P12ihipStream_tbEUlRKS5_E_EEST_SX_SY_mSZ_S12_bEUlT_E_NS1_11comp_targetILNS1_3genE4ELNS1_11target_archE910ELNS1_3gpuE8ELNS1_3repE0EEENS1_30default_config_static_selectorELNS0_4arch9wavefront6targetE0EEEvSW_,"axG",@progbits,_ZN7rocprim17ROCPRIM_400000_NS6detail17trampoline_kernelINS0_14default_configENS1_27lower_bound_config_selectorI14custom_numericlEEZNS1_14transform_implILb0ES3_S6_N6thrust23THRUST_200600_302600_NS6detail15normal_iteratorINS9_7pointerIS5_NS9_11hip_rocprim3tagENS9_11use_defaultESF_EEEENSB_INSC_IlSE_SF_SF_EEEEZNS1_13binary_searchIS3_S6_NSB_INS9_10device_ptrIS5_EEEESH_SJ_NS1_21lower_bound_search_opENSA_16wrapped_functionINS9_7greaterIS5_EEbEEEE10hipError_tPvRmT1_T2_T3_mmT4_T5_P12ihipStream_tbEUlRKS5_E_EEST_SX_SY_mSZ_S12_bEUlT_E_NS1_11comp_targetILNS1_3genE4ELNS1_11target_archE910ELNS1_3gpuE8ELNS1_3repE0EEENS1_30default_config_static_selectorELNS0_4arch9wavefront6targetE0EEEvSW_,comdat
	.protected	_ZN7rocprim17ROCPRIM_400000_NS6detail17trampoline_kernelINS0_14default_configENS1_27lower_bound_config_selectorI14custom_numericlEEZNS1_14transform_implILb0ES3_S6_N6thrust23THRUST_200600_302600_NS6detail15normal_iteratorINS9_7pointerIS5_NS9_11hip_rocprim3tagENS9_11use_defaultESF_EEEENSB_INSC_IlSE_SF_SF_EEEEZNS1_13binary_searchIS3_S6_NSB_INS9_10device_ptrIS5_EEEESH_SJ_NS1_21lower_bound_search_opENSA_16wrapped_functionINS9_7greaterIS5_EEbEEEE10hipError_tPvRmT1_T2_T3_mmT4_T5_P12ihipStream_tbEUlRKS5_E_EEST_SX_SY_mSZ_S12_bEUlT_E_NS1_11comp_targetILNS1_3genE4ELNS1_11target_archE910ELNS1_3gpuE8ELNS1_3repE0EEENS1_30default_config_static_selectorELNS0_4arch9wavefront6targetE0EEEvSW_ ; -- Begin function _ZN7rocprim17ROCPRIM_400000_NS6detail17trampoline_kernelINS0_14default_configENS1_27lower_bound_config_selectorI14custom_numericlEEZNS1_14transform_implILb0ES3_S6_N6thrust23THRUST_200600_302600_NS6detail15normal_iteratorINS9_7pointerIS5_NS9_11hip_rocprim3tagENS9_11use_defaultESF_EEEENSB_INSC_IlSE_SF_SF_EEEEZNS1_13binary_searchIS3_S6_NSB_INS9_10device_ptrIS5_EEEESH_SJ_NS1_21lower_bound_search_opENSA_16wrapped_functionINS9_7greaterIS5_EEbEEEE10hipError_tPvRmT1_T2_T3_mmT4_T5_P12ihipStream_tbEUlRKS5_E_EEST_SX_SY_mSZ_S12_bEUlT_E_NS1_11comp_targetILNS1_3genE4ELNS1_11target_archE910ELNS1_3gpuE8ELNS1_3repE0EEENS1_30default_config_static_selectorELNS0_4arch9wavefront6targetE0EEEvSW_
	.globl	_ZN7rocprim17ROCPRIM_400000_NS6detail17trampoline_kernelINS0_14default_configENS1_27lower_bound_config_selectorI14custom_numericlEEZNS1_14transform_implILb0ES3_S6_N6thrust23THRUST_200600_302600_NS6detail15normal_iteratorINS9_7pointerIS5_NS9_11hip_rocprim3tagENS9_11use_defaultESF_EEEENSB_INSC_IlSE_SF_SF_EEEEZNS1_13binary_searchIS3_S6_NSB_INS9_10device_ptrIS5_EEEESH_SJ_NS1_21lower_bound_search_opENSA_16wrapped_functionINS9_7greaterIS5_EEbEEEE10hipError_tPvRmT1_T2_T3_mmT4_T5_P12ihipStream_tbEUlRKS5_E_EEST_SX_SY_mSZ_S12_bEUlT_E_NS1_11comp_targetILNS1_3genE4ELNS1_11target_archE910ELNS1_3gpuE8ELNS1_3repE0EEENS1_30default_config_static_selectorELNS0_4arch9wavefront6targetE0EEEvSW_
	.p2align	8
	.type	_ZN7rocprim17ROCPRIM_400000_NS6detail17trampoline_kernelINS0_14default_configENS1_27lower_bound_config_selectorI14custom_numericlEEZNS1_14transform_implILb0ES3_S6_N6thrust23THRUST_200600_302600_NS6detail15normal_iteratorINS9_7pointerIS5_NS9_11hip_rocprim3tagENS9_11use_defaultESF_EEEENSB_INSC_IlSE_SF_SF_EEEEZNS1_13binary_searchIS3_S6_NSB_INS9_10device_ptrIS5_EEEESH_SJ_NS1_21lower_bound_search_opENSA_16wrapped_functionINS9_7greaterIS5_EEbEEEE10hipError_tPvRmT1_T2_T3_mmT4_T5_P12ihipStream_tbEUlRKS5_E_EEST_SX_SY_mSZ_S12_bEUlT_E_NS1_11comp_targetILNS1_3genE4ELNS1_11target_archE910ELNS1_3gpuE8ELNS1_3repE0EEENS1_30default_config_static_selectorELNS0_4arch9wavefront6targetE0EEEvSW_,@function
_ZN7rocprim17ROCPRIM_400000_NS6detail17trampoline_kernelINS0_14default_configENS1_27lower_bound_config_selectorI14custom_numericlEEZNS1_14transform_implILb0ES3_S6_N6thrust23THRUST_200600_302600_NS6detail15normal_iteratorINS9_7pointerIS5_NS9_11hip_rocprim3tagENS9_11use_defaultESF_EEEENSB_INSC_IlSE_SF_SF_EEEEZNS1_13binary_searchIS3_S6_NSB_INS9_10device_ptrIS5_EEEESH_SJ_NS1_21lower_bound_search_opENSA_16wrapped_functionINS9_7greaterIS5_EEbEEEE10hipError_tPvRmT1_T2_T3_mmT4_T5_P12ihipStream_tbEUlRKS5_E_EEST_SX_SY_mSZ_S12_bEUlT_E_NS1_11comp_targetILNS1_3genE4ELNS1_11target_archE910ELNS1_3gpuE8ELNS1_3repE0EEENS1_30default_config_static_selectorELNS0_4arch9wavefront6targetE0EEEvSW_: ; @_ZN7rocprim17ROCPRIM_400000_NS6detail17trampoline_kernelINS0_14default_configENS1_27lower_bound_config_selectorI14custom_numericlEEZNS1_14transform_implILb0ES3_S6_N6thrust23THRUST_200600_302600_NS6detail15normal_iteratorINS9_7pointerIS5_NS9_11hip_rocprim3tagENS9_11use_defaultESF_EEEENSB_INSC_IlSE_SF_SF_EEEEZNS1_13binary_searchIS3_S6_NSB_INS9_10device_ptrIS5_EEEESH_SJ_NS1_21lower_bound_search_opENSA_16wrapped_functionINS9_7greaterIS5_EEbEEEE10hipError_tPvRmT1_T2_T3_mmT4_T5_P12ihipStream_tbEUlRKS5_E_EEST_SX_SY_mSZ_S12_bEUlT_E_NS1_11comp_targetILNS1_3genE4ELNS1_11target_archE910ELNS1_3gpuE8ELNS1_3repE0EEENS1_30default_config_static_selectorELNS0_4arch9wavefront6targetE0EEEvSW_
; %bb.0:
	.section	.rodata,"a",@progbits
	.p2align	6, 0x0
	.amdhsa_kernel _ZN7rocprim17ROCPRIM_400000_NS6detail17trampoline_kernelINS0_14default_configENS1_27lower_bound_config_selectorI14custom_numericlEEZNS1_14transform_implILb0ES3_S6_N6thrust23THRUST_200600_302600_NS6detail15normal_iteratorINS9_7pointerIS5_NS9_11hip_rocprim3tagENS9_11use_defaultESF_EEEENSB_INSC_IlSE_SF_SF_EEEEZNS1_13binary_searchIS3_S6_NSB_INS9_10device_ptrIS5_EEEESH_SJ_NS1_21lower_bound_search_opENSA_16wrapped_functionINS9_7greaterIS5_EEbEEEE10hipError_tPvRmT1_T2_T3_mmT4_T5_P12ihipStream_tbEUlRKS5_E_EEST_SX_SY_mSZ_S12_bEUlT_E_NS1_11comp_targetILNS1_3genE4ELNS1_11target_archE910ELNS1_3gpuE8ELNS1_3repE0EEENS1_30default_config_static_selectorELNS0_4arch9wavefront6targetE0EEEvSW_
		.amdhsa_group_segment_fixed_size 0
		.amdhsa_private_segment_fixed_size 0
		.amdhsa_kernarg_size 56
		.amdhsa_user_sgpr_count 2
		.amdhsa_user_sgpr_dispatch_ptr 0
		.amdhsa_user_sgpr_queue_ptr 0
		.amdhsa_user_sgpr_kernarg_segment_ptr 1
		.amdhsa_user_sgpr_dispatch_id 0
		.amdhsa_user_sgpr_kernarg_preload_length 0
		.amdhsa_user_sgpr_kernarg_preload_offset 0
		.amdhsa_user_sgpr_private_segment_size 0
		.amdhsa_wavefront_size32 1
		.amdhsa_uses_dynamic_stack 0
		.amdhsa_enable_private_segment 0
		.amdhsa_system_sgpr_workgroup_id_x 1
		.amdhsa_system_sgpr_workgroup_id_y 0
		.amdhsa_system_sgpr_workgroup_id_z 0
		.amdhsa_system_sgpr_workgroup_info 0
		.amdhsa_system_vgpr_workitem_id 0
		.amdhsa_next_free_vgpr 1
		.amdhsa_next_free_sgpr 1
		.amdhsa_named_barrier_count 0
		.amdhsa_reserve_vcc 0
		.amdhsa_float_round_mode_32 0
		.amdhsa_float_round_mode_16_64 0
		.amdhsa_float_denorm_mode_32 3
		.amdhsa_float_denorm_mode_16_64 3
		.amdhsa_fp16_overflow 0
		.amdhsa_memory_ordered 1
		.amdhsa_forward_progress 1
		.amdhsa_inst_pref_size 0
		.amdhsa_round_robin_scheduling 0
		.amdhsa_exception_fp_ieee_invalid_op 0
		.amdhsa_exception_fp_denorm_src 0
		.amdhsa_exception_fp_ieee_div_zero 0
		.amdhsa_exception_fp_ieee_overflow 0
		.amdhsa_exception_fp_ieee_underflow 0
		.amdhsa_exception_fp_ieee_inexact 0
		.amdhsa_exception_int_div_zero 0
	.end_amdhsa_kernel
	.section	.text._ZN7rocprim17ROCPRIM_400000_NS6detail17trampoline_kernelINS0_14default_configENS1_27lower_bound_config_selectorI14custom_numericlEEZNS1_14transform_implILb0ES3_S6_N6thrust23THRUST_200600_302600_NS6detail15normal_iteratorINS9_7pointerIS5_NS9_11hip_rocprim3tagENS9_11use_defaultESF_EEEENSB_INSC_IlSE_SF_SF_EEEEZNS1_13binary_searchIS3_S6_NSB_INS9_10device_ptrIS5_EEEESH_SJ_NS1_21lower_bound_search_opENSA_16wrapped_functionINS9_7greaterIS5_EEbEEEE10hipError_tPvRmT1_T2_T3_mmT4_T5_P12ihipStream_tbEUlRKS5_E_EEST_SX_SY_mSZ_S12_bEUlT_E_NS1_11comp_targetILNS1_3genE4ELNS1_11target_archE910ELNS1_3gpuE8ELNS1_3repE0EEENS1_30default_config_static_selectorELNS0_4arch9wavefront6targetE0EEEvSW_,"axG",@progbits,_ZN7rocprim17ROCPRIM_400000_NS6detail17trampoline_kernelINS0_14default_configENS1_27lower_bound_config_selectorI14custom_numericlEEZNS1_14transform_implILb0ES3_S6_N6thrust23THRUST_200600_302600_NS6detail15normal_iteratorINS9_7pointerIS5_NS9_11hip_rocprim3tagENS9_11use_defaultESF_EEEENSB_INSC_IlSE_SF_SF_EEEEZNS1_13binary_searchIS3_S6_NSB_INS9_10device_ptrIS5_EEEESH_SJ_NS1_21lower_bound_search_opENSA_16wrapped_functionINS9_7greaterIS5_EEbEEEE10hipError_tPvRmT1_T2_T3_mmT4_T5_P12ihipStream_tbEUlRKS5_E_EEST_SX_SY_mSZ_S12_bEUlT_E_NS1_11comp_targetILNS1_3genE4ELNS1_11target_archE910ELNS1_3gpuE8ELNS1_3repE0EEENS1_30default_config_static_selectorELNS0_4arch9wavefront6targetE0EEEvSW_,comdat
.Lfunc_end50:
	.size	_ZN7rocprim17ROCPRIM_400000_NS6detail17trampoline_kernelINS0_14default_configENS1_27lower_bound_config_selectorI14custom_numericlEEZNS1_14transform_implILb0ES3_S6_N6thrust23THRUST_200600_302600_NS6detail15normal_iteratorINS9_7pointerIS5_NS9_11hip_rocprim3tagENS9_11use_defaultESF_EEEENSB_INSC_IlSE_SF_SF_EEEEZNS1_13binary_searchIS3_S6_NSB_INS9_10device_ptrIS5_EEEESH_SJ_NS1_21lower_bound_search_opENSA_16wrapped_functionINS9_7greaterIS5_EEbEEEE10hipError_tPvRmT1_T2_T3_mmT4_T5_P12ihipStream_tbEUlRKS5_E_EEST_SX_SY_mSZ_S12_bEUlT_E_NS1_11comp_targetILNS1_3genE4ELNS1_11target_archE910ELNS1_3gpuE8ELNS1_3repE0EEENS1_30default_config_static_selectorELNS0_4arch9wavefront6targetE0EEEvSW_, .Lfunc_end50-_ZN7rocprim17ROCPRIM_400000_NS6detail17trampoline_kernelINS0_14default_configENS1_27lower_bound_config_selectorI14custom_numericlEEZNS1_14transform_implILb0ES3_S6_N6thrust23THRUST_200600_302600_NS6detail15normal_iteratorINS9_7pointerIS5_NS9_11hip_rocprim3tagENS9_11use_defaultESF_EEEENSB_INSC_IlSE_SF_SF_EEEEZNS1_13binary_searchIS3_S6_NSB_INS9_10device_ptrIS5_EEEESH_SJ_NS1_21lower_bound_search_opENSA_16wrapped_functionINS9_7greaterIS5_EEbEEEE10hipError_tPvRmT1_T2_T3_mmT4_T5_P12ihipStream_tbEUlRKS5_E_EEST_SX_SY_mSZ_S12_bEUlT_E_NS1_11comp_targetILNS1_3genE4ELNS1_11target_archE910ELNS1_3gpuE8ELNS1_3repE0EEENS1_30default_config_static_selectorELNS0_4arch9wavefront6targetE0EEEvSW_
                                        ; -- End function
	.set _ZN7rocprim17ROCPRIM_400000_NS6detail17trampoline_kernelINS0_14default_configENS1_27lower_bound_config_selectorI14custom_numericlEEZNS1_14transform_implILb0ES3_S6_N6thrust23THRUST_200600_302600_NS6detail15normal_iteratorINS9_7pointerIS5_NS9_11hip_rocprim3tagENS9_11use_defaultESF_EEEENSB_INSC_IlSE_SF_SF_EEEEZNS1_13binary_searchIS3_S6_NSB_INS9_10device_ptrIS5_EEEESH_SJ_NS1_21lower_bound_search_opENSA_16wrapped_functionINS9_7greaterIS5_EEbEEEE10hipError_tPvRmT1_T2_T3_mmT4_T5_P12ihipStream_tbEUlRKS5_E_EEST_SX_SY_mSZ_S12_bEUlT_E_NS1_11comp_targetILNS1_3genE4ELNS1_11target_archE910ELNS1_3gpuE8ELNS1_3repE0EEENS1_30default_config_static_selectorELNS0_4arch9wavefront6targetE0EEEvSW_.num_vgpr, 0
	.set _ZN7rocprim17ROCPRIM_400000_NS6detail17trampoline_kernelINS0_14default_configENS1_27lower_bound_config_selectorI14custom_numericlEEZNS1_14transform_implILb0ES3_S6_N6thrust23THRUST_200600_302600_NS6detail15normal_iteratorINS9_7pointerIS5_NS9_11hip_rocprim3tagENS9_11use_defaultESF_EEEENSB_INSC_IlSE_SF_SF_EEEEZNS1_13binary_searchIS3_S6_NSB_INS9_10device_ptrIS5_EEEESH_SJ_NS1_21lower_bound_search_opENSA_16wrapped_functionINS9_7greaterIS5_EEbEEEE10hipError_tPvRmT1_T2_T3_mmT4_T5_P12ihipStream_tbEUlRKS5_E_EEST_SX_SY_mSZ_S12_bEUlT_E_NS1_11comp_targetILNS1_3genE4ELNS1_11target_archE910ELNS1_3gpuE8ELNS1_3repE0EEENS1_30default_config_static_selectorELNS0_4arch9wavefront6targetE0EEEvSW_.num_agpr, 0
	.set _ZN7rocprim17ROCPRIM_400000_NS6detail17trampoline_kernelINS0_14default_configENS1_27lower_bound_config_selectorI14custom_numericlEEZNS1_14transform_implILb0ES3_S6_N6thrust23THRUST_200600_302600_NS6detail15normal_iteratorINS9_7pointerIS5_NS9_11hip_rocprim3tagENS9_11use_defaultESF_EEEENSB_INSC_IlSE_SF_SF_EEEEZNS1_13binary_searchIS3_S6_NSB_INS9_10device_ptrIS5_EEEESH_SJ_NS1_21lower_bound_search_opENSA_16wrapped_functionINS9_7greaterIS5_EEbEEEE10hipError_tPvRmT1_T2_T3_mmT4_T5_P12ihipStream_tbEUlRKS5_E_EEST_SX_SY_mSZ_S12_bEUlT_E_NS1_11comp_targetILNS1_3genE4ELNS1_11target_archE910ELNS1_3gpuE8ELNS1_3repE0EEENS1_30default_config_static_selectorELNS0_4arch9wavefront6targetE0EEEvSW_.numbered_sgpr, 0
	.set _ZN7rocprim17ROCPRIM_400000_NS6detail17trampoline_kernelINS0_14default_configENS1_27lower_bound_config_selectorI14custom_numericlEEZNS1_14transform_implILb0ES3_S6_N6thrust23THRUST_200600_302600_NS6detail15normal_iteratorINS9_7pointerIS5_NS9_11hip_rocprim3tagENS9_11use_defaultESF_EEEENSB_INSC_IlSE_SF_SF_EEEEZNS1_13binary_searchIS3_S6_NSB_INS9_10device_ptrIS5_EEEESH_SJ_NS1_21lower_bound_search_opENSA_16wrapped_functionINS9_7greaterIS5_EEbEEEE10hipError_tPvRmT1_T2_T3_mmT4_T5_P12ihipStream_tbEUlRKS5_E_EEST_SX_SY_mSZ_S12_bEUlT_E_NS1_11comp_targetILNS1_3genE4ELNS1_11target_archE910ELNS1_3gpuE8ELNS1_3repE0EEENS1_30default_config_static_selectorELNS0_4arch9wavefront6targetE0EEEvSW_.num_named_barrier, 0
	.set _ZN7rocprim17ROCPRIM_400000_NS6detail17trampoline_kernelINS0_14default_configENS1_27lower_bound_config_selectorI14custom_numericlEEZNS1_14transform_implILb0ES3_S6_N6thrust23THRUST_200600_302600_NS6detail15normal_iteratorINS9_7pointerIS5_NS9_11hip_rocprim3tagENS9_11use_defaultESF_EEEENSB_INSC_IlSE_SF_SF_EEEEZNS1_13binary_searchIS3_S6_NSB_INS9_10device_ptrIS5_EEEESH_SJ_NS1_21lower_bound_search_opENSA_16wrapped_functionINS9_7greaterIS5_EEbEEEE10hipError_tPvRmT1_T2_T3_mmT4_T5_P12ihipStream_tbEUlRKS5_E_EEST_SX_SY_mSZ_S12_bEUlT_E_NS1_11comp_targetILNS1_3genE4ELNS1_11target_archE910ELNS1_3gpuE8ELNS1_3repE0EEENS1_30default_config_static_selectorELNS0_4arch9wavefront6targetE0EEEvSW_.private_seg_size, 0
	.set _ZN7rocprim17ROCPRIM_400000_NS6detail17trampoline_kernelINS0_14default_configENS1_27lower_bound_config_selectorI14custom_numericlEEZNS1_14transform_implILb0ES3_S6_N6thrust23THRUST_200600_302600_NS6detail15normal_iteratorINS9_7pointerIS5_NS9_11hip_rocprim3tagENS9_11use_defaultESF_EEEENSB_INSC_IlSE_SF_SF_EEEEZNS1_13binary_searchIS3_S6_NSB_INS9_10device_ptrIS5_EEEESH_SJ_NS1_21lower_bound_search_opENSA_16wrapped_functionINS9_7greaterIS5_EEbEEEE10hipError_tPvRmT1_T2_T3_mmT4_T5_P12ihipStream_tbEUlRKS5_E_EEST_SX_SY_mSZ_S12_bEUlT_E_NS1_11comp_targetILNS1_3genE4ELNS1_11target_archE910ELNS1_3gpuE8ELNS1_3repE0EEENS1_30default_config_static_selectorELNS0_4arch9wavefront6targetE0EEEvSW_.uses_vcc, 0
	.set _ZN7rocprim17ROCPRIM_400000_NS6detail17trampoline_kernelINS0_14default_configENS1_27lower_bound_config_selectorI14custom_numericlEEZNS1_14transform_implILb0ES3_S6_N6thrust23THRUST_200600_302600_NS6detail15normal_iteratorINS9_7pointerIS5_NS9_11hip_rocprim3tagENS9_11use_defaultESF_EEEENSB_INSC_IlSE_SF_SF_EEEEZNS1_13binary_searchIS3_S6_NSB_INS9_10device_ptrIS5_EEEESH_SJ_NS1_21lower_bound_search_opENSA_16wrapped_functionINS9_7greaterIS5_EEbEEEE10hipError_tPvRmT1_T2_T3_mmT4_T5_P12ihipStream_tbEUlRKS5_E_EEST_SX_SY_mSZ_S12_bEUlT_E_NS1_11comp_targetILNS1_3genE4ELNS1_11target_archE910ELNS1_3gpuE8ELNS1_3repE0EEENS1_30default_config_static_selectorELNS0_4arch9wavefront6targetE0EEEvSW_.uses_flat_scratch, 0
	.set _ZN7rocprim17ROCPRIM_400000_NS6detail17trampoline_kernelINS0_14default_configENS1_27lower_bound_config_selectorI14custom_numericlEEZNS1_14transform_implILb0ES3_S6_N6thrust23THRUST_200600_302600_NS6detail15normal_iteratorINS9_7pointerIS5_NS9_11hip_rocprim3tagENS9_11use_defaultESF_EEEENSB_INSC_IlSE_SF_SF_EEEEZNS1_13binary_searchIS3_S6_NSB_INS9_10device_ptrIS5_EEEESH_SJ_NS1_21lower_bound_search_opENSA_16wrapped_functionINS9_7greaterIS5_EEbEEEE10hipError_tPvRmT1_T2_T3_mmT4_T5_P12ihipStream_tbEUlRKS5_E_EEST_SX_SY_mSZ_S12_bEUlT_E_NS1_11comp_targetILNS1_3genE4ELNS1_11target_archE910ELNS1_3gpuE8ELNS1_3repE0EEENS1_30default_config_static_selectorELNS0_4arch9wavefront6targetE0EEEvSW_.has_dyn_sized_stack, 0
	.set _ZN7rocprim17ROCPRIM_400000_NS6detail17trampoline_kernelINS0_14default_configENS1_27lower_bound_config_selectorI14custom_numericlEEZNS1_14transform_implILb0ES3_S6_N6thrust23THRUST_200600_302600_NS6detail15normal_iteratorINS9_7pointerIS5_NS9_11hip_rocprim3tagENS9_11use_defaultESF_EEEENSB_INSC_IlSE_SF_SF_EEEEZNS1_13binary_searchIS3_S6_NSB_INS9_10device_ptrIS5_EEEESH_SJ_NS1_21lower_bound_search_opENSA_16wrapped_functionINS9_7greaterIS5_EEbEEEE10hipError_tPvRmT1_T2_T3_mmT4_T5_P12ihipStream_tbEUlRKS5_E_EEST_SX_SY_mSZ_S12_bEUlT_E_NS1_11comp_targetILNS1_3genE4ELNS1_11target_archE910ELNS1_3gpuE8ELNS1_3repE0EEENS1_30default_config_static_selectorELNS0_4arch9wavefront6targetE0EEEvSW_.has_recursion, 0
	.set _ZN7rocprim17ROCPRIM_400000_NS6detail17trampoline_kernelINS0_14default_configENS1_27lower_bound_config_selectorI14custom_numericlEEZNS1_14transform_implILb0ES3_S6_N6thrust23THRUST_200600_302600_NS6detail15normal_iteratorINS9_7pointerIS5_NS9_11hip_rocprim3tagENS9_11use_defaultESF_EEEENSB_INSC_IlSE_SF_SF_EEEEZNS1_13binary_searchIS3_S6_NSB_INS9_10device_ptrIS5_EEEESH_SJ_NS1_21lower_bound_search_opENSA_16wrapped_functionINS9_7greaterIS5_EEbEEEE10hipError_tPvRmT1_T2_T3_mmT4_T5_P12ihipStream_tbEUlRKS5_E_EEST_SX_SY_mSZ_S12_bEUlT_E_NS1_11comp_targetILNS1_3genE4ELNS1_11target_archE910ELNS1_3gpuE8ELNS1_3repE0EEENS1_30default_config_static_selectorELNS0_4arch9wavefront6targetE0EEEvSW_.has_indirect_call, 0
	.section	.AMDGPU.csdata,"",@progbits
; Kernel info:
; codeLenInByte = 0
; TotalNumSgprs: 0
; NumVgprs: 0
; ScratchSize: 0
; MemoryBound: 0
; FloatMode: 240
; IeeeMode: 1
; LDSByteSize: 0 bytes/workgroup (compile time only)
; SGPRBlocks: 0
; VGPRBlocks: 0
; NumSGPRsForWavesPerEU: 1
; NumVGPRsForWavesPerEU: 1
; NamedBarCnt: 0
; Occupancy: 16
; WaveLimiterHint : 0
; COMPUTE_PGM_RSRC2:SCRATCH_EN: 0
; COMPUTE_PGM_RSRC2:USER_SGPR: 2
; COMPUTE_PGM_RSRC2:TRAP_HANDLER: 0
; COMPUTE_PGM_RSRC2:TGID_X_EN: 1
; COMPUTE_PGM_RSRC2:TGID_Y_EN: 0
; COMPUTE_PGM_RSRC2:TGID_Z_EN: 0
; COMPUTE_PGM_RSRC2:TIDIG_COMP_CNT: 0
	.section	.text._ZN7rocprim17ROCPRIM_400000_NS6detail17trampoline_kernelINS0_14default_configENS1_27lower_bound_config_selectorI14custom_numericlEEZNS1_14transform_implILb0ES3_S6_N6thrust23THRUST_200600_302600_NS6detail15normal_iteratorINS9_7pointerIS5_NS9_11hip_rocprim3tagENS9_11use_defaultESF_EEEENSB_INSC_IlSE_SF_SF_EEEEZNS1_13binary_searchIS3_S6_NSB_INS9_10device_ptrIS5_EEEESH_SJ_NS1_21lower_bound_search_opENSA_16wrapped_functionINS9_7greaterIS5_EEbEEEE10hipError_tPvRmT1_T2_T3_mmT4_T5_P12ihipStream_tbEUlRKS5_E_EEST_SX_SY_mSZ_S12_bEUlT_E_NS1_11comp_targetILNS1_3genE3ELNS1_11target_archE908ELNS1_3gpuE7ELNS1_3repE0EEENS1_30default_config_static_selectorELNS0_4arch9wavefront6targetE0EEEvSW_,"axG",@progbits,_ZN7rocprim17ROCPRIM_400000_NS6detail17trampoline_kernelINS0_14default_configENS1_27lower_bound_config_selectorI14custom_numericlEEZNS1_14transform_implILb0ES3_S6_N6thrust23THRUST_200600_302600_NS6detail15normal_iteratorINS9_7pointerIS5_NS9_11hip_rocprim3tagENS9_11use_defaultESF_EEEENSB_INSC_IlSE_SF_SF_EEEEZNS1_13binary_searchIS3_S6_NSB_INS9_10device_ptrIS5_EEEESH_SJ_NS1_21lower_bound_search_opENSA_16wrapped_functionINS9_7greaterIS5_EEbEEEE10hipError_tPvRmT1_T2_T3_mmT4_T5_P12ihipStream_tbEUlRKS5_E_EEST_SX_SY_mSZ_S12_bEUlT_E_NS1_11comp_targetILNS1_3genE3ELNS1_11target_archE908ELNS1_3gpuE7ELNS1_3repE0EEENS1_30default_config_static_selectorELNS0_4arch9wavefront6targetE0EEEvSW_,comdat
	.protected	_ZN7rocprim17ROCPRIM_400000_NS6detail17trampoline_kernelINS0_14default_configENS1_27lower_bound_config_selectorI14custom_numericlEEZNS1_14transform_implILb0ES3_S6_N6thrust23THRUST_200600_302600_NS6detail15normal_iteratorINS9_7pointerIS5_NS9_11hip_rocprim3tagENS9_11use_defaultESF_EEEENSB_INSC_IlSE_SF_SF_EEEEZNS1_13binary_searchIS3_S6_NSB_INS9_10device_ptrIS5_EEEESH_SJ_NS1_21lower_bound_search_opENSA_16wrapped_functionINS9_7greaterIS5_EEbEEEE10hipError_tPvRmT1_T2_T3_mmT4_T5_P12ihipStream_tbEUlRKS5_E_EEST_SX_SY_mSZ_S12_bEUlT_E_NS1_11comp_targetILNS1_3genE3ELNS1_11target_archE908ELNS1_3gpuE7ELNS1_3repE0EEENS1_30default_config_static_selectorELNS0_4arch9wavefront6targetE0EEEvSW_ ; -- Begin function _ZN7rocprim17ROCPRIM_400000_NS6detail17trampoline_kernelINS0_14default_configENS1_27lower_bound_config_selectorI14custom_numericlEEZNS1_14transform_implILb0ES3_S6_N6thrust23THRUST_200600_302600_NS6detail15normal_iteratorINS9_7pointerIS5_NS9_11hip_rocprim3tagENS9_11use_defaultESF_EEEENSB_INSC_IlSE_SF_SF_EEEEZNS1_13binary_searchIS3_S6_NSB_INS9_10device_ptrIS5_EEEESH_SJ_NS1_21lower_bound_search_opENSA_16wrapped_functionINS9_7greaterIS5_EEbEEEE10hipError_tPvRmT1_T2_T3_mmT4_T5_P12ihipStream_tbEUlRKS5_E_EEST_SX_SY_mSZ_S12_bEUlT_E_NS1_11comp_targetILNS1_3genE3ELNS1_11target_archE908ELNS1_3gpuE7ELNS1_3repE0EEENS1_30default_config_static_selectorELNS0_4arch9wavefront6targetE0EEEvSW_
	.globl	_ZN7rocprim17ROCPRIM_400000_NS6detail17trampoline_kernelINS0_14default_configENS1_27lower_bound_config_selectorI14custom_numericlEEZNS1_14transform_implILb0ES3_S6_N6thrust23THRUST_200600_302600_NS6detail15normal_iteratorINS9_7pointerIS5_NS9_11hip_rocprim3tagENS9_11use_defaultESF_EEEENSB_INSC_IlSE_SF_SF_EEEEZNS1_13binary_searchIS3_S6_NSB_INS9_10device_ptrIS5_EEEESH_SJ_NS1_21lower_bound_search_opENSA_16wrapped_functionINS9_7greaterIS5_EEbEEEE10hipError_tPvRmT1_T2_T3_mmT4_T5_P12ihipStream_tbEUlRKS5_E_EEST_SX_SY_mSZ_S12_bEUlT_E_NS1_11comp_targetILNS1_3genE3ELNS1_11target_archE908ELNS1_3gpuE7ELNS1_3repE0EEENS1_30default_config_static_selectorELNS0_4arch9wavefront6targetE0EEEvSW_
	.p2align	8
	.type	_ZN7rocprim17ROCPRIM_400000_NS6detail17trampoline_kernelINS0_14default_configENS1_27lower_bound_config_selectorI14custom_numericlEEZNS1_14transform_implILb0ES3_S6_N6thrust23THRUST_200600_302600_NS6detail15normal_iteratorINS9_7pointerIS5_NS9_11hip_rocprim3tagENS9_11use_defaultESF_EEEENSB_INSC_IlSE_SF_SF_EEEEZNS1_13binary_searchIS3_S6_NSB_INS9_10device_ptrIS5_EEEESH_SJ_NS1_21lower_bound_search_opENSA_16wrapped_functionINS9_7greaterIS5_EEbEEEE10hipError_tPvRmT1_T2_T3_mmT4_T5_P12ihipStream_tbEUlRKS5_E_EEST_SX_SY_mSZ_S12_bEUlT_E_NS1_11comp_targetILNS1_3genE3ELNS1_11target_archE908ELNS1_3gpuE7ELNS1_3repE0EEENS1_30default_config_static_selectorELNS0_4arch9wavefront6targetE0EEEvSW_,@function
_ZN7rocprim17ROCPRIM_400000_NS6detail17trampoline_kernelINS0_14default_configENS1_27lower_bound_config_selectorI14custom_numericlEEZNS1_14transform_implILb0ES3_S6_N6thrust23THRUST_200600_302600_NS6detail15normal_iteratorINS9_7pointerIS5_NS9_11hip_rocprim3tagENS9_11use_defaultESF_EEEENSB_INSC_IlSE_SF_SF_EEEEZNS1_13binary_searchIS3_S6_NSB_INS9_10device_ptrIS5_EEEESH_SJ_NS1_21lower_bound_search_opENSA_16wrapped_functionINS9_7greaterIS5_EEbEEEE10hipError_tPvRmT1_T2_T3_mmT4_T5_P12ihipStream_tbEUlRKS5_E_EEST_SX_SY_mSZ_S12_bEUlT_E_NS1_11comp_targetILNS1_3genE3ELNS1_11target_archE908ELNS1_3gpuE7ELNS1_3repE0EEENS1_30default_config_static_selectorELNS0_4arch9wavefront6targetE0EEEvSW_: ; @_ZN7rocprim17ROCPRIM_400000_NS6detail17trampoline_kernelINS0_14default_configENS1_27lower_bound_config_selectorI14custom_numericlEEZNS1_14transform_implILb0ES3_S6_N6thrust23THRUST_200600_302600_NS6detail15normal_iteratorINS9_7pointerIS5_NS9_11hip_rocprim3tagENS9_11use_defaultESF_EEEENSB_INSC_IlSE_SF_SF_EEEEZNS1_13binary_searchIS3_S6_NSB_INS9_10device_ptrIS5_EEEESH_SJ_NS1_21lower_bound_search_opENSA_16wrapped_functionINS9_7greaterIS5_EEbEEEE10hipError_tPvRmT1_T2_T3_mmT4_T5_P12ihipStream_tbEUlRKS5_E_EEST_SX_SY_mSZ_S12_bEUlT_E_NS1_11comp_targetILNS1_3genE3ELNS1_11target_archE908ELNS1_3gpuE7ELNS1_3repE0EEENS1_30default_config_static_selectorELNS0_4arch9wavefront6targetE0EEEvSW_
; %bb.0:
	.section	.rodata,"a",@progbits
	.p2align	6, 0x0
	.amdhsa_kernel _ZN7rocprim17ROCPRIM_400000_NS6detail17trampoline_kernelINS0_14default_configENS1_27lower_bound_config_selectorI14custom_numericlEEZNS1_14transform_implILb0ES3_S6_N6thrust23THRUST_200600_302600_NS6detail15normal_iteratorINS9_7pointerIS5_NS9_11hip_rocprim3tagENS9_11use_defaultESF_EEEENSB_INSC_IlSE_SF_SF_EEEEZNS1_13binary_searchIS3_S6_NSB_INS9_10device_ptrIS5_EEEESH_SJ_NS1_21lower_bound_search_opENSA_16wrapped_functionINS9_7greaterIS5_EEbEEEE10hipError_tPvRmT1_T2_T3_mmT4_T5_P12ihipStream_tbEUlRKS5_E_EEST_SX_SY_mSZ_S12_bEUlT_E_NS1_11comp_targetILNS1_3genE3ELNS1_11target_archE908ELNS1_3gpuE7ELNS1_3repE0EEENS1_30default_config_static_selectorELNS0_4arch9wavefront6targetE0EEEvSW_
		.amdhsa_group_segment_fixed_size 0
		.amdhsa_private_segment_fixed_size 0
		.amdhsa_kernarg_size 56
		.amdhsa_user_sgpr_count 2
		.amdhsa_user_sgpr_dispatch_ptr 0
		.amdhsa_user_sgpr_queue_ptr 0
		.amdhsa_user_sgpr_kernarg_segment_ptr 1
		.amdhsa_user_sgpr_dispatch_id 0
		.amdhsa_user_sgpr_kernarg_preload_length 0
		.amdhsa_user_sgpr_kernarg_preload_offset 0
		.amdhsa_user_sgpr_private_segment_size 0
		.amdhsa_wavefront_size32 1
		.amdhsa_uses_dynamic_stack 0
		.amdhsa_enable_private_segment 0
		.amdhsa_system_sgpr_workgroup_id_x 1
		.amdhsa_system_sgpr_workgroup_id_y 0
		.amdhsa_system_sgpr_workgroup_id_z 0
		.amdhsa_system_sgpr_workgroup_info 0
		.amdhsa_system_vgpr_workitem_id 0
		.amdhsa_next_free_vgpr 1
		.amdhsa_next_free_sgpr 1
		.amdhsa_named_barrier_count 0
		.amdhsa_reserve_vcc 0
		.amdhsa_float_round_mode_32 0
		.amdhsa_float_round_mode_16_64 0
		.amdhsa_float_denorm_mode_32 3
		.amdhsa_float_denorm_mode_16_64 3
		.amdhsa_fp16_overflow 0
		.amdhsa_memory_ordered 1
		.amdhsa_forward_progress 1
		.amdhsa_inst_pref_size 0
		.amdhsa_round_robin_scheduling 0
		.amdhsa_exception_fp_ieee_invalid_op 0
		.amdhsa_exception_fp_denorm_src 0
		.amdhsa_exception_fp_ieee_div_zero 0
		.amdhsa_exception_fp_ieee_overflow 0
		.amdhsa_exception_fp_ieee_underflow 0
		.amdhsa_exception_fp_ieee_inexact 0
		.amdhsa_exception_int_div_zero 0
	.end_amdhsa_kernel
	.section	.text._ZN7rocprim17ROCPRIM_400000_NS6detail17trampoline_kernelINS0_14default_configENS1_27lower_bound_config_selectorI14custom_numericlEEZNS1_14transform_implILb0ES3_S6_N6thrust23THRUST_200600_302600_NS6detail15normal_iteratorINS9_7pointerIS5_NS9_11hip_rocprim3tagENS9_11use_defaultESF_EEEENSB_INSC_IlSE_SF_SF_EEEEZNS1_13binary_searchIS3_S6_NSB_INS9_10device_ptrIS5_EEEESH_SJ_NS1_21lower_bound_search_opENSA_16wrapped_functionINS9_7greaterIS5_EEbEEEE10hipError_tPvRmT1_T2_T3_mmT4_T5_P12ihipStream_tbEUlRKS5_E_EEST_SX_SY_mSZ_S12_bEUlT_E_NS1_11comp_targetILNS1_3genE3ELNS1_11target_archE908ELNS1_3gpuE7ELNS1_3repE0EEENS1_30default_config_static_selectorELNS0_4arch9wavefront6targetE0EEEvSW_,"axG",@progbits,_ZN7rocprim17ROCPRIM_400000_NS6detail17trampoline_kernelINS0_14default_configENS1_27lower_bound_config_selectorI14custom_numericlEEZNS1_14transform_implILb0ES3_S6_N6thrust23THRUST_200600_302600_NS6detail15normal_iteratorINS9_7pointerIS5_NS9_11hip_rocprim3tagENS9_11use_defaultESF_EEEENSB_INSC_IlSE_SF_SF_EEEEZNS1_13binary_searchIS3_S6_NSB_INS9_10device_ptrIS5_EEEESH_SJ_NS1_21lower_bound_search_opENSA_16wrapped_functionINS9_7greaterIS5_EEbEEEE10hipError_tPvRmT1_T2_T3_mmT4_T5_P12ihipStream_tbEUlRKS5_E_EEST_SX_SY_mSZ_S12_bEUlT_E_NS1_11comp_targetILNS1_3genE3ELNS1_11target_archE908ELNS1_3gpuE7ELNS1_3repE0EEENS1_30default_config_static_selectorELNS0_4arch9wavefront6targetE0EEEvSW_,comdat
.Lfunc_end51:
	.size	_ZN7rocprim17ROCPRIM_400000_NS6detail17trampoline_kernelINS0_14default_configENS1_27lower_bound_config_selectorI14custom_numericlEEZNS1_14transform_implILb0ES3_S6_N6thrust23THRUST_200600_302600_NS6detail15normal_iteratorINS9_7pointerIS5_NS9_11hip_rocprim3tagENS9_11use_defaultESF_EEEENSB_INSC_IlSE_SF_SF_EEEEZNS1_13binary_searchIS3_S6_NSB_INS9_10device_ptrIS5_EEEESH_SJ_NS1_21lower_bound_search_opENSA_16wrapped_functionINS9_7greaterIS5_EEbEEEE10hipError_tPvRmT1_T2_T3_mmT4_T5_P12ihipStream_tbEUlRKS5_E_EEST_SX_SY_mSZ_S12_bEUlT_E_NS1_11comp_targetILNS1_3genE3ELNS1_11target_archE908ELNS1_3gpuE7ELNS1_3repE0EEENS1_30default_config_static_selectorELNS0_4arch9wavefront6targetE0EEEvSW_, .Lfunc_end51-_ZN7rocprim17ROCPRIM_400000_NS6detail17trampoline_kernelINS0_14default_configENS1_27lower_bound_config_selectorI14custom_numericlEEZNS1_14transform_implILb0ES3_S6_N6thrust23THRUST_200600_302600_NS6detail15normal_iteratorINS9_7pointerIS5_NS9_11hip_rocprim3tagENS9_11use_defaultESF_EEEENSB_INSC_IlSE_SF_SF_EEEEZNS1_13binary_searchIS3_S6_NSB_INS9_10device_ptrIS5_EEEESH_SJ_NS1_21lower_bound_search_opENSA_16wrapped_functionINS9_7greaterIS5_EEbEEEE10hipError_tPvRmT1_T2_T3_mmT4_T5_P12ihipStream_tbEUlRKS5_E_EEST_SX_SY_mSZ_S12_bEUlT_E_NS1_11comp_targetILNS1_3genE3ELNS1_11target_archE908ELNS1_3gpuE7ELNS1_3repE0EEENS1_30default_config_static_selectorELNS0_4arch9wavefront6targetE0EEEvSW_
                                        ; -- End function
	.set _ZN7rocprim17ROCPRIM_400000_NS6detail17trampoline_kernelINS0_14default_configENS1_27lower_bound_config_selectorI14custom_numericlEEZNS1_14transform_implILb0ES3_S6_N6thrust23THRUST_200600_302600_NS6detail15normal_iteratorINS9_7pointerIS5_NS9_11hip_rocprim3tagENS9_11use_defaultESF_EEEENSB_INSC_IlSE_SF_SF_EEEEZNS1_13binary_searchIS3_S6_NSB_INS9_10device_ptrIS5_EEEESH_SJ_NS1_21lower_bound_search_opENSA_16wrapped_functionINS9_7greaterIS5_EEbEEEE10hipError_tPvRmT1_T2_T3_mmT4_T5_P12ihipStream_tbEUlRKS5_E_EEST_SX_SY_mSZ_S12_bEUlT_E_NS1_11comp_targetILNS1_3genE3ELNS1_11target_archE908ELNS1_3gpuE7ELNS1_3repE0EEENS1_30default_config_static_selectorELNS0_4arch9wavefront6targetE0EEEvSW_.num_vgpr, 0
	.set _ZN7rocprim17ROCPRIM_400000_NS6detail17trampoline_kernelINS0_14default_configENS1_27lower_bound_config_selectorI14custom_numericlEEZNS1_14transform_implILb0ES3_S6_N6thrust23THRUST_200600_302600_NS6detail15normal_iteratorINS9_7pointerIS5_NS9_11hip_rocprim3tagENS9_11use_defaultESF_EEEENSB_INSC_IlSE_SF_SF_EEEEZNS1_13binary_searchIS3_S6_NSB_INS9_10device_ptrIS5_EEEESH_SJ_NS1_21lower_bound_search_opENSA_16wrapped_functionINS9_7greaterIS5_EEbEEEE10hipError_tPvRmT1_T2_T3_mmT4_T5_P12ihipStream_tbEUlRKS5_E_EEST_SX_SY_mSZ_S12_bEUlT_E_NS1_11comp_targetILNS1_3genE3ELNS1_11target_archE908ELNS1_3gpuE7ELNS1_3repE0EEENS1_30default_config_static_selectorELNS0_4arch9wavefront6targetE0EEEvSW_.num_agpr, 0
	.set _ZN7rocprim17ROCPRIM_400000_NS6detail17trampoline_kernelINS0_14default_configENS1_27lower_bound_config_selectorI14custom_numericlEEZNS1_14transform_implILb0ES3_S6_N6thrust23THRUST_200600_302600_NS6detail15normal_iteratorINS9_7pointerIS5_NS9_11hip_rocprim3tagENS9_11use_defaultESF_EEEENSB_INSC_IlSE_SF_SF_EEEEZNS1_13binary_searchIS3_S6_NSB_INS9_10device_ptrIS5_EEEESH_SJ_NS1_21lower_bound_search_opENSA_16wrapped_functionINS9_7greaterIS5_EEbEEEE10hipError_tPvRmT1_T2_T3_mmT4_T5_P12ihipStream_tbEUlRKS5_E_EEST_SX_SY_mSZ_S12_bEUlT_E_NS1_11comp_targetILNS1_3genE3ELNS1_11target_archE908ELNS1_3gpuE7ELNS1_3repE0EEENS1_30default_config_static_selectorELNS0_4arch9wavefront6targetE0EEEvSW_.numbered_sgpr, 0
	.set _ZN7rocprim17ROCPRIM_400000_NS6detail17trampoline_kernelINS0_14default_configENS1_27lower_bound_config_selectorI14custom_numericlEEZNS1_14transform_implILb0ES3_S6_N6thrust23THRUST_200600_302600_NS6detail15normal_iteratorINS9_7pointerIS5_NS9_11hip_rocprim3tagENS9_11use_defaultESF_EEEENSB_INSC_IlSE_SF_SF_EEEEZNS1_13binary_searchIS3_S6_NSB_INS9_10device_ptrIS5_EEEESH_SJ_NS1_21lower_bound_search_opENSA_16wrapped_functionINS9_7greaterIS5_EEbEEEE10hipError_tPvRmT1_T2_T3_mmT4_T5_P12ihipStream_tbEUlRKS5_E_EEST_SX_SY_mSZ_S12_bEUlT_E_NS1_11comp_targetILNS1_3genE3ELNS1_11target_archE908ELNS1_3gpuE7ELNS1_3repE0EEENS1_30default_config_static_selectorELNS0_4arch9wavefront6targetE0EEEvSW_.num_named_barrier, 0
	.set _ZN7rocprim17ROCPRIM_400000_NS6detail17trampoline_kernelINS0_14default_configENS1_27lower_bound_config_selectorI14custom_numericlEEZNS1_14transform_implILb0ES3_S6_N6thrust23THRUST_200600_302600_NS6detail15normal_iteratorINS9_7pointerIS5_NS9_11hip_rocprim3tagENS9_11use_defaultESF_EEEENSB_INSC_IlSE_SF_SF_EEEEZNS1_13binary_searchIS3_S6_NSB_INS9_10device_ptrIS5_EEEESH_SJ_NS1_21lower_bound_search_opENSA_16wrapped_functionINS9_7greaterIS5_EEbEEEE10hipError_tPvRmT1_T2_T3_mmT4_T5_P12ihipStream_tbEUlRKS5_E_EEST_SX_SY_mSZ_S12_bEUlT_E_NS1_11comp_targetILNS1_3genE3ELNS1_11target_archE908ELNS1_3gpuE7ELNS1_3repE0EEENS1_30default_config_static_selectorELNS0_4arch9wavefront6targetE0EEEvSW_.private_seg_size, 0
	.set _ZN7rocprim17ROCPRIM_400000_NS6detail17trampoline_kernelINS0_14default_configENS1_27lower_bound_config_selectorI14custom_numericlEEZNS1_14transform_implILb0ES3_S6_N6thrust23THRUST_200600_302600_NS6detail15normal_iteratorINS9_7pointerIS5_NS9_11hip_rocprim3tagENS9_11use_defaultESF_EEEENSB_INSC_IlSE_SF_SF_EEEEZNS1_13binary_searchIS3_S6_NSB_INS9_10device_ptrIS5_EEEESH_SJ_NS1_21lower_bound_search_opENSA_16wrapped_functionINS9_7greaterIS5_EEbEEEE10hipError_tPvRmT1_T2_T3_mmT4_T5_P12ihipStream_tbEUlRKS5_E_EEST_SX_SY_mSZ_S12_bEUlT_E_NS1_11comp_targetILNS1_3genE3ELNS1_11target_archE908ELNS1_3gpuE7ELNS1_3repE0EEENS1_30default_config_static_selectorELNS0_4arch9wavefront6targetE0EEEvSW_.uses_vcc, 0
	.set _ZN7rocprim17ROCPRIM_400000_NS6detail17trampoline_kernelINS0_14default_configENS1_27lower_bound_config_selectorI14custom_numericlEEZNS1_14transform_implILb0ES3_S6_N6thrust23THRUST_200600_302600_NS6detail15normal_iteratorINS9_7pointerIS5_NS9_11hip_rocprim3tagENS9_11use_defaultESF_EEEENSB_INSC_IlSE_SF_SF_EEEEZNS1_13binary_searchIS3_S6_NSB_INS9_10device_ptrIS5_EEEESH_SJ_NS1_21lower_bound_search_opENSA_16wrapped_functionINS9_7greaterIS5_EEbEEEE10hipError_tPvRmT1_T2_T3_mmT4_T5_P12ihipStream_tbEUlRKS5_E_EEST_SX_SY_mSZ_S12_bEUlT_E_NS1_11comp_targetILNS1_3genE3ELNS1_11target_archE908ELNS1_3gpuE7ELNS1_3repE0EEENS1_30default_config_static_selectorELNS0_4arch9wavefront6targetE0EEEvSW_.uses_flat_scratch, 0
	.set _ZN7rocprim17ROCPRIM_400000_NS6detail17trampoline_kernelINS0_14default_configENS1_27lower_bound_config_selectorI14custom_numericlEEZNS1_14transform_implILb0ES3_S6_N6thrust23THRUST_200600_302600_NS6detail15normal_iteratorINS9_7pointerIS5_NS9_11hip_rocprim3tagENS9_11use_defaultESF_EEEENSB_INSC_IlSE_SF_SF_EEEEZNS1_13binary_searchIS3_S6_NSB_INS9_10device_ptrIS5_EEEESH_SJ_NS1_21lower_bound_search_opENSA_16wrapped_functionINS9_7greaterIS5_EEbEEEE10hipError_tPvRmT1_T2_T3_mmT4_T5_P12ihipStream_tbEUlRKS5_E_EEST_SX_SY_mSZ_S12_bEUlT_E_NS1_11comp_targetILNS1_3genE3ELNS1_11target_archE908ELNS1_3gpuE7ELNS1_3repE0EEENS1_30default_config_static_selectorELNS0_4arch9wavefront6targetE0EEEvSW_.has_dyn_sized_stack, 0
	.set _ZN7rocprim17ROCPRIM_400000_NS6detail17trampoline_kernelINS0_14default_configENS1_27lower_bound_config_selectorI14custom_numericlEEZNS1_14transform_implILb0ES3_S6_N6thrust23THRUST_200600_302600_NS6detail15normal_iteratorINS9_7pointerIS5_NS9_11hip_rocprim3tagENS9_11use_defaultESF_EEEENSB_INSC_IlSE_SF_SF_EEEEZNS1_13binary_searchIS3_S6_NSB_INS9_10device_ptrIS5_EEEESH_SJ_NS1_21lower_bound_search_opENSA_16wrapped_functionINS9_7greaterIS5_EEbEEEE10hipError_tPvRmT1_T2_T3_mmT4_T5_P12ihipStream_tbEUlRKS5_E_EEST_SX_SY_mSZ_S12_bEUlT_E_NS1_11comp_targetILNS1_3genE3ELNS1_11target_archE908ELNS1_3gpuE7ELNS1_3repE0EEENS1_30default_config_static_selectorELNS0_4arch9wavefront6targetE0EEEvSW_.has_recursion, 0
	.set _ZN7rocprim17ROCPRIM_400000_NS6detail17trampoline_kernelINS0_14default_configENS1_27lower_bound_config_selectorI14custom_numericlEEZNS1_14transform_implILb0ES3_S6_N6thrust23THRUST_200600_302600_NS6detail15normal_iteratorINS9_7pointerIS5_NS9_11hip_rocprim3tagENS9_11use_defaultESF_EEEENSB_INSC_IlSE_SF_SF_EEEEZNS1_13binary_searchIS3_S6_NSB_INS9_10device_ptrIS5_EEEESH_SJ_NS1_21lower_bound_search_opENSA_16wrapped_functionINS9_7greaterIS5_EEbEEEE10hipError_tPvRmT1_T2_T3_mmT4_T5_P12ihipStream_tbEUlRKS5_E_EEST_SX_SY_mSZ_S12_bEUlT_E_NS1_11comp_targetILNS1_3genE3ELNS1_11target_archE908ELNS1_3gpuE7ELNS1_3repE0EEENS1_30default_config_static_selectorELNS0_4arch9wavefront6targetE0EEEvSW_.has_indirect_call, 0
	.section	.AMDGPU.csdata,"",@progbits
; Kernel info:
; codeLenInByte = 0
; TotalNumSgprs: 0
; NumVgprs: 0
; ScratchSize: 0
; MemoryBound: 0
; FloatMode: 240
; IeeeMode: 1
; LDSByteSize: 0 bytes/workgroup (compile time only)
; SGPRBlocks: 0
; VGPRBlocks: 0
; NumSGPRsForWavesPerEU: 1
; NumVGPRsForWavesPerEU: 1
; NamedBarCnt: 0
; Occupancy: 16
; WaveLimiterHint : 0
; COMPUTE_PGM_RSRC2:SCRATCH_EN: 0
; COMPUTE_PGM_RSRC2:USER_SGPR: 2
; COMPUTE_PGM_RSRC2:TRAP_HANDLER: 0
; COMPUTE_PGM_RSRC2:TGID_X_EN: 1
; COMPUTE_PGM_RSRC2:TGID_Y_EN: 0
; COMPUTE_PGM_RSRC2:TGID_Z_EN: 0
; COMPUTE_PGM_RSRC2:TIDIG_COMP_CNT: 0
	.section	.text._ZN7rocprim17ROCPRIM_400000_NS6detail17trampoline_kernelINS0_14default_configENS1_27lower_bound_config_selectorI14custom_numericlEEZNS1_14transform_implILb0ES3_S6_N6thrust23THRUST_200600_302600_NS6detail15normal_iteratorINS9_7pointerIS5_NS9_11hip_rocprim3tagENS9_11use_defaultESF_EEEENSB_INSC_IlSE_SF_SF_EEEEZNS1_13binary_searchIS3_S6_NSB_INS9_10device_ptrIS5_EEEESH_SJ_NS1_21lower_bound_search_opENSA_16wrapped_functionINS9_7greaterIS5_EEbEEEE10hipError_tPvRmT1_T2_T3_mmT4_T5_P12ihipStream_tbEUlRKS5_E_EEST_SX_SY_mSZ_S12_bEUlT_E_NS1_11comp_targetILNS1_3genE2ELNS1_11target_archE906ELNS1_3gpuE6ELNS1_3repE0EEENS1_30default_config_static_selectorELNS0_4arch9wavefront6targetE0EEEvSW_,"axG",@progbits,_ZN7rocprim17ROCPRIM_400000_NS6detail17trampoline_kernelINS0_14default_configENS1_27lower_bound_config_selectorI14custom_numericlEEZNS1_14transform_implILb0ES3_S6_N6thrust23THRUST_200600_302600_NS6detail15normal_iteratorINS9_7pointerIS5_NS9_11hip_rocprim3tagENS9_11use_defaultESF_EEEENSB_INSC_IlSE_SF_SF_EEEEZNS1_13binary_searchIS3_S6_NSB_INS9_10device_ptrIS5_EEEESH_SJ_NS1_21lower_bound_search_opENSA_16wrapped_functionINS9_7greaterIS5_EEbEEEE10hipError_tPvRmT1_T2_T3_mmT4_T5_P12ihipStream_tbEUlRKS5_E_EEST_SX_SY_mSZ_S12_bEUlT_E_NS1_11comp_targetILNS1_3genE2ELNS1_11target_archE906ELNS1_3gpuE6ELNS1_3repE0EEENS1_30default_config_static_selectorELNS0_4arch9wavefront6targetE0EEEvSW_,comdat
	.protected	_ZN7rocprim17ROCPRIM_400000_NS6detail17trampoline_kernelINS0_14default_configENS1_27lower_bound_config_selectorI14custom_numericlEEZNS1_14transform_implILb0ES3_S6_N6thrust23THRUST_200600_302600_NS6detail15normal_iteratorINS9_7pointerIS5_NS9_11hip_rocprim3tagENS9_11use_defaultESF_EEEENSB_INSC_IlSE_SF_SF_EEEEZNS1_13binary_searchIS3_S6_NSB_INS9_10device_ptrIS5_EEEESH_SJ_NS1_21lower_bound_search_opENSA_16wrapped_functionINS9_7greaterIS5_EEbEEEE10hipError_tPvRmT1_T2_T3_mmT4_T5_P12ihipStream_tbEUlRKS5_E_EEST_SX_SY_mSZ_S12_bEUlT_E_NS1_11comp_targetILNS1_3genE2ELNS1_11target_archE906ELNS1_3gpuE6ELNS1_3repE0EEENS1_30default_config_static_selectorELNS0_4arch9wavefront6targetE0EEEvSW_ ; -- Begin function _ZN7rocprim17ROCPRIM_400000_NS6detail17trampoline_kernelINS0_14default_configENS1_27lower_bound_config_selectorI14custom_numericlEEZNS1_14transform_implILb0ES3_S6_N6thrust23THRUST_200600_302600_NS6detail15normal_iteratorINS9_7pointerIS5_NS9_11hip_rocprim3tagENS9_11use_defaultESF_EEEENSB_INSC_IlSE_SF_SF_EEEEZNS1_13binary_searchIS3_S6_NSB_INS9_10device_ptrIS5_EEEESH_SJ_NS1_21lower_bound_search_opENSA_16wrapped_functionINS9_7greaterIS5_EEbEEEE10hipError_tPvRmT1_T2_T3_mmT4_T5_P12ihipStream_tbEUlRKS5_E_EEST_SX_SY_mSZ_S12_bEUlT_E_NS1_11comp_targetILNS1_3genE2ELNS1_11target_archE906ELNS1_3gpuE6ELNS1_3repE0EEENS1_30default_config_static_selectorELNS0_4arch9wavefront6targetE0EEEvSW_
	.globl	_ZN7rocprim17ROCPRIM_400000_NS6detail17trampoline_kernelINS0_14default_configENS1_27lower_bound_config_selectorI14custom_numericlEEZNS1_14transform_implILb0ES3_S6_N6thrust23THRUST_200600_302600_NS6detail15normal_iteratorINS9_7pointerIS5_NS9_11hip_rocprim3tagENS9_11use_defaultESF_EEEENSB_INSC_IlSE_SF_SF_EEEEZNS1_13binary_searchIS3_S6_NSB_INS9_10device_ptrIS5_EEEESH_SJ_NS1_21lower_bound_search_opENSA_16wrapped_functionINS9_7greaterIS5_EEbEEEE10hipError_tPvRmT1_T2_T3_mmT4_T5_P12ihipStream_tbEUlRKS5_E_EEST_SX_SY_mSZ_S12_bEUlT_E_NS1_11comp_targetILNS1_3genE2ELNS1_11target_archE906ELNS1_3gpuE6ELNS1_3repE0EEENS1_30default_config_static_selectorELNS0_4arch9wavefront6targetE0EEEvSW_
	.p2align	8
	.type	_ZN7rocprim17ROCPRIM_400000_NS6detail17trampoline_kernelINS0_14default_configENS1_27lower_bound_config_selectorI14custom_numericlEEZNS1_14transform_implILb0ES3_S6_N6thrust23THRUST_200600_302600_NS6detail15normal_iteratorINS9_7pointerIS5_NS9_11hip_rocprim3tagENS9_11use_defaultESF_EEEENSB_INSC_IlSE_SF_SF_EEEEZNS1_13binary_searchIS3_S6_NSB_INS9_10device_ptrIS5_EEEESH_SJ_NS1_21lower_bound_search_opENSA_16wrapped_functionINS9_7greaterIS5_EEbEEEE10hipError_tPvRmT1_T2_T3_mmT4_T5_P12ihipStream_tbEUlRKS5_E_EEST_SX_SY_mSZ_S12_bEUlT_E_NS1_11comp_targetILNS1_3genE2ELNS1_11target_archE906ELNS1_3gpuE6ELNS1_3repE0EEENS1_30default_config_static_selectorELNS0_4arch9wavefront6targetE0EEEvSW_,@function
_ZN7rocprim17ROCPRIM_400000_NS6detail17trampoline_kernelINS0_14default_configENS1_27lower_bound_config_selectorI14custom_numericlEEZNS1_14transform_implILb0ES3_S6_N6thrust23THRUST_200600_302600_NS6detail15normal_iteratorINS9_7pointerIS5_NS9_11hip_rocprim3tagENS9_11use_defaultESF_EEEENSB_INSC_IlSE_SF_SF_EEEEZNS1_13binary_searchIS3_S6_NSB_INS9_10device_ptrIS5_EEEESH_SJ_NS1_21lower_bound_search_opENSA_16wrapped_functionINS9_7greaterIS5_EEbEEEE10hipError_tPvRmT1_T2_T3_mmT4_T5_P12ihipStream_tbEUlRKS5_E_EEST_SX_SY_mSZ_S12_bEUlT_E_NS1_11comp_targetILNS1_3genE2ELNS1_11target_archE906ELNS1_3gpuE6ELNS1_3repE0EEENS1_30default_config_static_selectorELNS0_4arch9wavefront6targetE0EEEvSW_: ; @_ZN7rocprim17ROCPRIM_400000_NS6detail17trampoline_kernelINS0_14default_configENS1_27lower_bound_config_selectorI14custom_numericlEEZNS1_14transform_implILb0ES3_S6_N6thrust23THRUST_200600_302600_NS6detail15normal_iteratorINS9_7pointerIS5_NS9_11hip_rocprim3tagENS9_11use_defaultESF_EEEENSB_INSC_IlSE_SF_SF_EEEEZNS1_13binary_searchIS3_S6_NSB_INS9_10device_ptrIS5_EEEESH_SJ_NS1_21lower_bound_search_opENSA_16wrapped_functionINS9_7greaterIS5_EEbEEEE10hipError_tPvRmT1_T2_T3_mmT4_T5_P12ihipStream_tbEUlRKS5_E_EEST_SX_SY_mSZ_S12_bEUlT_E_NS1_11comp_targetILNS1_3genE2ELNS1_11target_archE906ELNS1_3gpuE6ELNS1_3repE0EEENS1_30default_config_static_selectorELNS0_4arch9wavefront6targetE0EEEvSW_
; %bb.0:
	.section	.rodata,"a",@progbits
	.p2align	6, 0x0
	.amdhsa_kernel _ZN7rocprim17ROCPRIM_400000_NS6detail17trampoline_kernelINS0_14default_configENS1_27lower_bound_config_selectorI14custom_numericlEEZNS1_14transform_implILb0ES3_S6_N6thrust23THRUST_200600_302600_NS6detail15normal_iteratorINS9_7pointerIS5_NS9_11hip_rocprim3tagENS9_11use_defaultESF_EEEENSB_INSC_IlSE_SF_SF_EEEEZNS1_13binary_searchIS3_S6_NSB_INS9_10device_ptrIS5_EEEESH_SJ_NS1_21lower_bound_search_opENSA_16wrapped_functionINS9_7greaterIS5_EEbEEEE10hipError_tPvRmT1_T2_T3_mmT4_T5_P12ihipStream_tbEUlRKS5_E_EEST_SX_SY_mSZ_S12_bEUlT_E_NS1_11comp_targetILNS1_3genE2ELNS1_11target_archE906ELNS1_3gpuE6ELNS1_3repE0EEENS1_30default_config_static_selectorELNS0_4arch9wavefront6targetE0EEEvSW_
		.amdhsa_group_segment_fixed_size 0
		.amdhsa_private_segment_fixed_size 0
		.amdhsa_kernarg_size 56
		.amdhsa_user_sgpr_count 2
		.amdhsa_user_sgpr_dispatch_ptr 0
		.amdhsa_user_sgpr_queue_ptr 0
		.amdhsa_user_sgpr_kernarg_segment_ptr 1
		.amdhsa_user_sgpr_dispatch_id 0
		.amdhsa_user_sgpr_kernarg_preload_length 0
		.amdhsa_user_sgpr_kernarg_preload_offset 0
		.amdhsa_user_sgpr_private_segment_size 0
		.amdhsa_wavefront_size32 1
		.amdhsa_uses_dynamic_stack 0
		.amdhsa_enable_private_segment 0
		.amdhsa_system_sgpr_workgroup_id_x 1
		.amdhsa_system_sgpr_workgroup_id_y 0
		.amdhsa_system_sgpr_workgroup_id_z 0
		.amdhsa_system_sgpr_workgroup_info 0
		.amdhsa_system_vgpr_workitem_id 0
		.amdhsa_next_free_vgpr 1
		.amdhsa_next_free_sgpr 1
		.amdhsa_named_barrier_count 0
		.amdhsa_reserve_vcc 0
		.amdhsa_float_round_mode_32 0
		.amdhsa_float_round_mode_16_64 0
		.amdhsa_float_denorm_mode_32 3
		.amdhsa_float_denorm_mode_16_64 3
		.amdhsa_fp16_overflow 0
		.amdhsa_memory_ordered 1
		.amdhsa_forward_progress 1
		.amdhsa_inst_pref_size 0
		.amdhsa_round_robin_scheduling 0
		.amdhsa_exception_fp_ieee_invalid_op 0
		.amdhsa_exception_fp_denorm_src 0
		.amdhsa_exception_fp_ieee_div_zero 0
		.amdhsa_exception_fp_ieee_overflow 0
		.amdhsa_exception_fp_ieee_underflow 0
		.amdhsa_exception_fp_ieee_inexact 0
		.amdhsa_exception_int_div_zero 0
	.end_amdhsa_kernel
	.section	.text._ZN7rocprim17ROCPRIM_400000_NS6detail17trampoline_kernelINS0_14default_configENS1_27lower_bound_config_selectorI14custom_numericlEEZNS1_14transform_implILb0ES3_S6_N6thrust23THRUST_200600_302600_NS6detail15normal_iteratorINS9_7pointerIS5_NS9_11hip_rocprim3tagENS9_11use_defaultESF_EEEENSB_INSC_IlSE_SF_SF_EEEEZNS1_13binary_searchIS3_S6_NSB_INS9_10device_ptrIS5_EEEESH_SJ_NS1_21lower_bound_search_opENSA_16wrapped_functionINS9_7greaterIS5_EEbEEEE10hipError_tPvRmT1_T2_T3_mmT4_T5_P12ihipStream_tbEUlRKS5_E_EEST_SX_SY_mSZ_S12_bEUlT_E_NS1_11comp_targetILNS1_3genE2ELNS1_11target_archE906ELNS1_3gpuE6ELNS1_3repE0EEENS1_30default_config_static_selectorELNS0_4arch9wavefront6targetE0EEEvSW_,"axG",@progbits,_ZN7rocprim17ROCPRIM_400000_NS6detail17trampoline_kernelINS0_14default_configENS1_27lower_bound_config_selectorI14custom_numericlEEZNS1_14transform_implILb0ES3_S6_N6thrust23THRUST_200600_302600_NS6detail15normal_iteratorINS9_7pointerIS5_NS9_11hip_rocprim3tagENS9_11use_defaultESF_EEEENSB_INSC_IlSE_SF_SF_EEEEZNS1_13binary_searchIS3_S6_NSB_INS9_10device_ptrIS5_EEEESH_SJ_NS1_21lower_bound_search_opENSA_16wrapped_functionINS9_7greaterIS5_EEbEEEE10hipError_tPvRmT1_T2_T3_mmT4_T5_P12ihipStream_tbEUlRKS5_E_EEST_SX_SY_mSZ_S12_bEUlT_E_NS1_11comp_targetILNS1_3genE2ELNS1_11target_archE906ELNS1_3gpuE6ELNS1_3repE0EEENS1_30default_config_static_selectorELNS0_4arch9wavefront6targetE0EEEvSW_,comdat
.Lfunc_end52:
	.size	_ZN7rocprim17ROCPRIM_400000_NS6detail17trampoline_kernelINS0_14default_configENS1_27lower_bound_config_selectorI14custom_numericlEEZNS1_14transform_implILb0ES3_S6_N6thrust23THRUST_200600_302600_NS6detail15normal_iteratorINS9_7pointerIS5_NS9_11hip_rocprim3tagENS9_11use_defaultESF_EEEENSB_INSC_IlSE_SF_SF_EEEEZNS1_13binary_searchIS3_S6_NSB_INS9_10device_ptrIS5_EEEESH_SJ_NS1_21lower_bound_search_opENSA_16wrapped_functionINS9_7greaterIS5_EEbEEEE10hipError_tPvRmT1_T2_T3_mmT4_T5_P12ihipStream_tbEUlRKS5_E_EEST_SX_SY_mSZ_S12_bEUlT_E_NS1_11comp_targetILNS1_3genE2ELNS1_11target_archE906ELNS1_3gpuE6ELNS1_3repE0EEENS1_30default_config_static_selectorELNS0_4arch9wavefront6targetE0EEEvSW_, .Lfunc_end52-_ZN7rocprim17ROCPRIM_400000_NS6detail17trampoline_kernelINS0_14default_configENS1_27lower_bound_config_selectorI14custom_numericlEEZNS1_14transform_implILb0ES3_S6_N6thrust23THRUST_200600_302600_NS6detail15normal_iteratorINS9_7pointerIS5_NS9_11hip_rocprim3tagENS9_11use_defaultESF_EEEENSB_INSC_IlSE_SF_SF_EEEEZNS1_13binary_searchIS3_S6_NSB_INS9_10device_ptrIS5_EEEESH_SJ_NS1_21lower_bound_search_opENSA_16wrapped_functionINS9_7greaterIS5_EEbEEEE10hipError_tPvRmT1_T2_T3_mmT4_T5_P12ihipStream_tbEUlRKS5_E_EEST_SX_SY_mSZ_S12_bEUlT_E_NS1_11comp_targetILNS1_3genE2ELNS1_11target_archE906ELNS1_3gpuE6ELNS1_3repE0EEENS1_30default_config_static_selectorELNS0_4arch9wavefront6targetE0EEEvSW_
                                        ; -- End function
	.set _ZN7rocprim17ROCPRIM_400000_NS6detail17trampoline_kernelINS0_14default_configENS1_27lower_bound_config_selectorI14custom_numericlEEZNS1_14transform_implILb0ES3_S6_N6thrust23THRUST_200600_302600_NS6detail15normal_iteratorINS9_7pointerIS5_NS9_11hip_rocprim3tagENS9_11use_defaultESF_EEEENSB_INSC_IlSE_SF_SF_EEEEZNS1_13binary_searchIS3_S6_NSB_INS9_10device_ptrIS5_EEEESH_SJ_NS1_21lower_bound_search_opENSA_16wrapped_functionINS9_7greaterIS5_EEbEEEE10hipError_tPvRmT1_T2_T3_mmT4_T5_P12ihipStream_tbEUlRKS5_E_EEST_SX_SY_mSZ_S12_bEUlT_E_NS1_11comp_targetILNS1_3genE2ELNS1_11target_archE906ELNS1_3gpuE6ELNS1_3repE0EEENS1_30default_config_static_selectorELNS0_4arch9wavefront6targetE0EEEvSW_.num_vgpr, 0
	.set _ZN7rocprim17ROCPRIM_400000_NS6detail17trampoline_kernelINS0_14default_configENS1_27lower_bound_config_selectorI14custom_numericlEEZNS1_14transform_implILb0ES3_S6_N6thrust23THRUST_200600_302600_NS6detail15normal_iteratorINS9_7pointerIS5_NS9_11hip_rocprim3tagENS9_11use_defaultESF_EEEENSB_INSC_IlSE_SF_SF_EEEEZNS1_13binary_searchIS3_S6_NSB_INS9_10device_ptrIS5_EEEESH_SJ_NS1_21lower_bound_search_opENSA_16wrapped_functionINS9_7greaterIS5_EEbEEEE10hipError_tPvRmT1_T2_T3_mmT4_T5_P12ihipStream_tbEUlRKS5_E_EEST_SX_SY_mSZ_S12_bEUlT_E_NS1_11comp_targetILNS1_3genE2ELNS1_11target_archE906ELNS1_3gpuE6ELNS1_3repE0EEENS1_30default_config_static_selectorELNS0_4arch9wavefront6targetE0EEEvSW_.num_agpr, 0
	.set _ZN7rocprim17ROCPRIM_400000_NS6detail17trampoline_kernelINS0_14default_configENS1_27lower_bound_config_selectorI14custom_numericlEEZNS1_14transform_implILb0ES3_S6_N6thrust23THRUST_200600_302600_NS6detail15normal_iteratorINS9_7pointerIS5_NS9_11hip_rocprim3tagENS9_11use_defaultESF_EEEENSB_INSC_IlSE_SF_SF_EEEEZNS1_13binary_searchIS3_S6_NSB_INS9_10device_ptrIS5_EEEESH_SJ_NS1_21lower_bound_search_opENSA_16wrapped_functionINS9_7greaterIS5_EEbEEEE10hipError_tPvRmT1_T2_T3_mmT4_T5_P12ihipStream_tbEUlRKS5_E_EEST_SX_SY_mSZ_S12_bEUlT_E_NS1_11comp_targetILNS1_3genE2ELNS1_11target_archE906ELNS1_3gpuE6ELNS1_3repE0EEENS1_30default_config_static_selectorELNS0_4arch9wavefront6targetE0EEEvSW_.numbered_sgpr, 0
	.set _ZN7rocprim17ROCPRIM_400000_NS6detail17trampoline_kernelINS0_14default_configENS1_27lower_bound_config_selectorI14custom_numericlEEZNS1_14transform_implILb0ES3_S6_N6thrust23THRUST_200600_302600_NS6detail15normal_iteratorINS9_7pointerIS5_NS9_11hip_rocprim3tagENS9_11use_defaultESF_EEEENSB_INSC_IlSE_SF_SF_EEEEZNS1_13binary_searchIS3_S6_NSB_INS9_10device_ptrIS5_EEEESH_SJ_NS1_21lower_bound_search_opENSA_16wrapped_functionINS9_7greaterIS5_EEbEEEE10hipError_tPvRmT1_T2_T3_mmT4_T5_P12ihipStream_tbEUlRKS5_E_EEST_SX_SY_mSZ_S12_bEUlT_E_NS1_11comp_targetILNS1_3genE2ELNS1_11target_archE906ELNS1_3gpuE6ELNS1_3repE0EEENS1_30default_config_static_selectorELNS0_4arch9wavefront6targetE0EEEvSW_.num_named_barrier, 0
	.set _ZN7rocprim17ROCPRIM_400000_NS6detail17trampoline_kernelINS0_14default_configENS1_27lower_bound_config_selectorI14custom_numericlEEZNS1_14transform_implILb0ES3_S6_N6thrust23THRUST_200600_302600_NS6detail15normal_iteratorINS9_7pointerIS5_NS9_11hip_rocprim3tagENS9_11use_defaultESF_EEEENSB_INSC_IlSE_SF_SF_EEEEZNS1_13binary_searchIS3_S6_NSB_INS9_10device_ptrIS5_EEEESH_SJ_NS1_21lower_bound_search_opENSA_16wrapped_functionINS9_7greaterIS5_EEbEEEE10hipError_tPvRmT1_T2_T3_mmT4_T5_P12ihipStream_tbEUlRKS5_E_EEST_SX_SY_mSZ_S12_bEUlT_E_NS1_11comp_targetILNS1_3genE2ELNS1_11target_archE906ELNS1_3gpuE6ELNS1_3repE0EEENS1_30default_config_static_selectorELNS0_4arch9wavefront6targetE0EEEvSW_.private_seg_size, 0
	.set _ZN7rocprim17ROCPRIM_400000_NS6detail17trampoline_kernelINS0_14default_configENS1_27lower_bound_config_selectorI14custom_numericlEEZNS1_14transform_implILb0ES3_S6_N6thrust23THRUST_200600_302600_NS6detail15normal_iteratorINS9_7pointerIS5_NS9_11hip_rocprim3tagENS9_11use_defaultESF_EEEENSB_INSC_IlSE_SF_SF_EEEEZNS1_13binary_searchIS3_S6_NSB_INS9_10device_ptrIS5_EEEESH_SJ_NS1_21lower_bound_search_opENSA_16wrapped_functionINS9_7greaterIS5_EEbEEEE10hipError_tPvRmT1_T2_T3_mmT4_T5_P12ihipStream_tbEUlRKS5_E_EEST_SX_SY_mSZ_S12_bEUlT_E_NS1_11comp_targetILNS1_3genE2ELNS1_11target_archE906ELNS1_3gpuE6ELNS1_3repE0EEENS1_30default_config_static_selectorELNS0_4arch9wavefront6targetE0EEEvSW_.uses_vcc, 0
	.set _ZN7rocprim17ROCPRIM_400000_NS6detail17trampoline_kernelINS0_14default_configENS1_27lower_bound_config_selectorI14custom_numericlEEZNS1_14transform_implILb0ES3_S6_N6thrust23THRUST_200600_302600_NS6detail15normal_iteratorINS9_7pointerIS5_NS9_11hip_rocprim3tagENS9_11use_defaultESF_EEEENSB_INSC_IlSE_SF_SF_EEEEZNS1_13binary_searchIS3_S6_NSB_INS9_10device_ptrIS5_EEEESH_SJ_NS1_21lower_bound_search_opENSA_16wrapped_functionINS9_7greaterIS5_EEbEEEE10hipError_tPvRmT1_T2_T3_mmT4_T5_P12ihipStream_tbEUlRKS5_E_EEST_SX_SY_mSZ_S12_bEUlT_E_NS1_11comp_targetILNS1_3genE2ELNS1_11target_archE906ELNS1_3gpuE6ELNS1_3repE0EEENS1_30default_config_static_selectorELNS0_4arch9wavefront6targetE0EEEvSW_.uses_flat_scratch, 0
	.set _ZN7rocprim17ROCPRIM_400000_NS6detail17trampoline_kernelINS0_14default_configENS1_27lower_bound_config_selectorI14custom_numericlEEZNS1_14transform_implILb0ES3_S6_N6thrust23THRUST_200600_302600_NS6detail15normal_iteratorINS9_7pointerIS5_NS9_11hip_rocprim3tagENS9_11use_defaultESF_EEEENSB_INSC_IlSE_SF_SF_EEEEZNS1_13binary_searchIS3_S6_NSB_INS9_10device_ptrIS5_EEEESH_SJ_NS1_21lower_bound_search_opENSA_16wrapped_functionINS9_7greaterIS5_EEbEEEE10hipError_tPvRmT1_T2_T3_mmT4_T5_P12ihipStream_tbEUlRKS5_E_EEST_SX_SY_mSZ_S12_bEUlT_E_NS1_11comp_targetILNS1_3genE2ELNS1_11target_archE906ELNS1_3gpuE6ELNS1_3repE0EEENS1_30default_config_static_selectorELNS0_4arch9wavefront6targetE0EEEvSW_.has_dyn_sized_stack, 0
	.set _ZN7rocprim17ROCPRIM_400000_NS6detail17trampoline_kernelINS0_14default_configENS1_27lower_bound_config_selectorI14custom_numericlEEZNS1_14transform_implILb0ES3_S6_N6thrust23THRUST_200600_302600_NS6detail15normal_iteratorINS9_7pointerIS5_NS9_11hip_rocprim3tagENS9_11use_defaultESF_EEEENSB_INSC_IlSE_SF_SF_EEEEZNS1_13binary_searchIS3_S6_NSB_INS9_10device_ptrIS5_EEEESH_SJ_NS1_21lower_bound_search_opENSA_16wrapped_functionINS9_7greaterIS5_EEbEEEE10hipError_tPvRmT1_T2_T3_mmT4_T5_P12ihipStream_tbEUlRKS5_E_EEST_SX_SY_mSZ_S12_bEUlT_E_NS1_11comp_targetILNS1_3genE2ELNS1_11target_archE906ELNS1_3gpuE6ELNS1_3repE0EEENS1_30default_config_static_selectorELNS0_4arch9wavefront6targetE0EEEvSW_.has_recursion, 0
	.set _ZN7rocprim17ROCPRIM_400000_NS6detail17trampoline_kernelINS0_14default_configENS1_27lower_bound_config_selectorI14custom_numericlEEZNS1_14transform_implILb0ES3_S6_N6thrust23THRUST_200600_302600_NS6detail15normal_iteratorINS9_7pointerIS5_NS9_11hip_rocprim3tagENS9_11use_defaultESF_EEEENSB_INSC_IlSE_SF_SF_EEEEZNS1_13binary_searchIS3_S6_NSB_INS9_10device_ptrIS5_EEEESH_SJ_NS1_21lower_bound_search_opENSA_16wrapped_functionINS9_7greaterIS5_EEbEEEE10hipError_tPvRmT1_T2_T3_mmT4_T5_P12ihipStream_tbEUlRKS5_E_EEST_SX_SY_mSZ_S12_bEUlT_E_NS1_11comp_targetILNS1_3genE2ELNS1_11target_archE906ELNS1_3gpuE6ELNS1_3repE0EEENS1_30default_config_static_selectorELNS0_4arch9wavefront6targetE0EEEvSW_.has_indirect_call, 0
	.section	.AMDGPU.csdata,"",@progbits
; Kernel info:
; codeLenInByte = 0
; TotalNumSgprs: 0
; NumVgprs: 0
; ScratchSize: 0
; MemoryBound: 0
; FloatMode: 240
; IeeeMode: 1
; LDSByteSize: 0 bytes/workgroup (compile time only)
; SGPRBlocks: 0
; VGPRBlocks: 0
; NumSGPRsForWavesPerEU: 1
; NumVGPRsForWavesPerEU: 1
; NamedBarCnt: 0
; Occupancy: 16
; WaveLimiterHint : 0
; COMPUTE_PGM_RSRC2:SCRATCH_EN: 0
; COMPUTE_PGM_RSRC2:USER_SGPR: 2
; COMPUTE_PGM_RSRC2:TRAP_HANDLER: 0
; COMPUTE_PGM_RSRC2:TGID_X_EN: 1
; COMPUTE_PGM_RSRC2:TGID_Y_EN: 0
; COMPUTE_PGM_RSRC2:TGID_Z_EN: 0
; COMPUTE_PGM_RSRC2:TIDIG_COMP_CNT: 0
	.section	.text._ZN7rocprim17ROCPRIM_400000_NS6detail17trampoline_kernelINS0_14default_configENS1_27lower_bound_config_selectorI14custom_numericlEEZNS1_14transform_implILb0ES3_S6_N6thrust23THRUST_200600_302600_NS6detail15normal_iteratorINS9_7pointerIS5_NS9_11hip_rocprim3tagENS9_11use_defaultESF_EEEENSB_INSC_IlSE_SF_SF_EEEEZNS1_13binary_searchIS3_S6_NSB_INS9_10device_ptrIS5_EEEESH_SJ_NS1_21lower_bound_search_opENSA_16wrapped_functionINS9_7greaterIS5_EEbEEEE10hipError_tPvRmT1_T2_T3_mmT4_T5_P12ihipStream_tbEUlRKS5_E_EEST_SX_SY_mSZ_S12_bEUlT_E_NS1_11comp_targetILNS1_3genE10ELNS1_11target_archE1201ELNS1_3gpuE5ELNS1_3repE0EEENS1_30default_config_static_selectorELNS0_4arch9wavefront6targetE0EEEvSW_,"axG",@progbits,_ZN7rocprim17ROCPRIM_400000_NS6detail17trampoline_kernelINS0_14default_configENS1_27lower_bound_config_selectorI14custom_numericlEEZNS1_14transform_implILb0ES3_S6_N6thrust23THRUST_200600_302600_NS6detail15normal_iteratorINS9_7pointerIS5_NS9_11hip_rocprim3tagENS9_11use_defaultESF_EEEENSB_INSC_IlSE_SF_SF_EEEEZNS1_13binary_searchIS3_S6_NSB_INS9_10device_ptrIS5_EEEESH_SJ_NS1_21lower_bound_search_opENSA_16wrapped_functionINS9_7greaterIS5_EEbEEEE10hipError_tPvRmT1_T2_T3_mmT4_T5_P12ihipStream_tbEUlRKS5_E_EEST_SX_SY_mSZ_S12_bEUlT_E_NS1_11comp_targetILNS1_3genE10ELNS1_11target_archE1201ELNS1_3gpuE5ELNS1_3repE0EEENS1_30default_config_static_selectorELNS0_4arch9wavefront6targetE0EEEvSW_,comdat
	.protected	_ZN7rocprim17ROCPRIM_400000_NS6detail17trampoline_kernelINS0_14default_configENS1_27lower_bound_config_selectorI14custom_numericlEEZNS1_14transform_implILb0ES3_S6_N6thrust23THRUST_200600_302600_NS6detail15normal_iteratorINS9_7pointerIS5_NS9_11hip_rocprim3tagENS9_11use_defaultESF_EEEENSB_INSC_IlSE_SF_SF_EEEEZNS1_13binary_searchIS3_S6_NSB_INS9_10device_ptrIS5_EEEESH_SJ_NS1_21lower_bound_search_opENSA_16wrapped_functionINS9_7greaterIS5_EEbEEEE10hipError_tPvRmT1_T2_T3_mmT4_T5_P12ihipStream_tbEUlRKS5_E_EEST_SX_SY_mSZ_S12_bEUlT_E_NS1_11comp_targetILNS1_3genE10ELNS1_11target_archE1201ELNS1_3gpuE5ELNS1_3repE0EEENS1_30default_config_static_selectorELNS0_4arch9wavefront6targetE0EEEvSW_ ; -- Begin function _ZN7rocprim17ROCPRIM_400000_NS6detail17trampoline_kernelINS0_14default_configENS1_27lower_bound_config_selectorI14custom_numericlEEZNS1_14transform_implILb0ES3_S6_N6thrust23THRUST_200600_302600_NS6detail15normal_iteratorINS9_7pointerIS5_NS9_11hip_rocprim3tagENS9_11use_defaultESF_EEEENSB_INSC_IlSE_SF_SF_EEEEZNS1_13binary_searchIS3_S6_NSB_INS9_10device_ptrIS5_EEEESH_SJ_NS1_21lower_bound_search_opENSA_16wrapped_functionINS9_7greaterIS5_EEbEEEE10hipError_tPvRmT1_T2_T3_mmT4_T5_P12ihipStream_tbEUlRKS5_E_EEST_SX_SY_mSZ_S12_bEUlT_E_NS1_11comp_targetILNS1_3genE10ELNS1_11target_archE1201ELNS1_3gpuE5ELNS1_3repE0EEENS1_30default_config_static_selectorELNS0_4arch9wavefront6targetE0EEEvSW_
	.globl	_ZN7rocprim17ROCPRIM_400000_NS6detail17trampoline_kernelINS0_14default_configENS1_27lower_bound_config_selectorI14custom_numericlEEZNS1_14transform_implILb0ES3_S6_N6thrust23THRUST_200600_302600_NS6detail15normal_iteratorINS9_7pointerIS5_NS9_11hip_rocprim3tagENS9_11use_defaultESF_EEEENSB_INSC_IlSE_SF_SF_EEEEZNS1_13binary_searchIS3_S6_NSB_INS9_10device_ptrIS5_EEEESH_SJ_NS1_21lower_bound_search_opENSA_16wrapped_functionINS9_7greaterIS5_EEbEEEE10hipError_tPvRmT1_T2_T3_mmT4_T5_P12ihipStream_tbEUlRKS5_E_EEST_SX_SY_mSZ_S12_bEUlT_E_NS1_11comp_targetILNS1_3genE10ELNS1_11target_archE1201ELNS1_3gpuE5ELNS1_3repE0EEENS1_30default_config_static_selectorELNS0_4arch9wavefront6targetE0EEEvSW_
	.p2align	8
	.type	_ZN7rocprim17ROCPRIM_400000_NS6detail17trampoline_kernelINS0_14default_configENS1_27lower_bound_config_selectorI14custom_numericlEEZNS1_14transform_implILb0ES3_S6_N6thrust23THRUST_200600_302600_NS6detail15normal_iteratorINS9_7pointerIS5_NS9_11hip_rocprim3tagENS9_11use_defaultESF_EEEENSB_INSC_IlSE_SF_SF_EEEEZNS1_13binary_searchIS3_S6_NSB_INS9_10device_ptrIS5_EEEESH_SJ_NS1_21lower_bound_search_opENSA_16wrapped_functionINS9_7greaterIS5_EEbEEEE10hipError_tPvRmT1_T2_T3_mmT4_T5_P12ihipStream_tbEUlRKS5_E_EEST_SX_SY_mSZ_S12_bEUlT_E_NS1_11comp_targetILNS1_3genE10ELNS1_11target_archE1201ELNS1_3gpuE5ELNS1_3repE0EEENS1_30default_config_static_selectorELNS0_4arch9wavefront6targetE0EEEvSW_,@function
_ZN7rocprim17ROCPRIM_400000_NS6detail17trampoline_kernelINS0_14default_configENS1_27lower_bound_config_selectorI14custom_numericlEEZNS1_14transform_implILb0ES3_S6_N6thrust23THRUST_200600_302600_NS6detail15normal_iteratorINS9_7pointerIS5_NS9_11hip_rocprim3tagENS9_11use_defaultESF_EEEENSB_INSC_IlSE_SF_SF_EEEEZNS1_13binary_searchIS3_S6_NSB_INS9_10device_ptrIS5_EEEESH_SJ_NS1_21lower_bound_search_opENSA_16wrapped_functionINS9_7greaterIS5_EEbEEEE10hipError_tPvRmT1_T2_T3_mmT4_T5_P12ihipStream_tbEUlRKS5_E_EEST_SX_SY_mSZ_S12_bEUlT_E_NS1_11comp_targetILNS1_3genE10ELNS1_11target_archE1201ELNS1_3gpuE5ELNS1_3repE0EEENS1_30default_config_static_selectorELNS0_4arch9wavefront6targetE0EEEvSW_: ; @_ZN7rocprim17ROCPRIM_400000_NS6detail17trampoline_kernelINS0_14default_configENS1_27lower_bound_config_selectorI14custom_numericlEEZNS1_14transform_implILb0ES3_S6_N6thrust23THRUST_200600_302600_NS6detail15normal_iteratorINS9_7pointerIS5_NS9_11hip_rocprim3tagENS9_11use_defaultESF_EEEENSB_INSC_IlSE_SF_SF_EEEEZNS1_13binary_searchIS3_S6_NSB_INS9_10device_ptrIS5_EEEESH_SJ_NS1_21lower_bound_search_opENSA_16wrapped_functionINS9_7greaterIS5_EEbEEEE10hipError_tPvRmT1_T2_T3_mmT4_T5_P12ihipStream_tbEUlRKS5_E_EEST_SX_SY_mSZ_S12_bEUlT_E_NS1_11comp_targetILNS1_3genE10ELNS1_11target_archE1201ELNS1_3gpuE5ELNS1_3repE0EEENS1_30default_config_static_selectorELNS0_4arch9wavefront6targetE0EEEvSW_
; %bb.0:
	.section	.rodata,"a",@progbits
	.p2align	6, 0x0
	.amdhsa_kernel _ZN7rocprim17ROCPRIM_400000_NS6detail17trampoline_kernelINS0_14default_configENS1_27lower_bound_config_selectorI14custom_numericlEEZNS1_14transform_implILb0ES3_S6_N6thrust23THRUST_200600_302600_NS6detail15normal_iteratorINS9_7pointerIS5_NS9_11hip_rocprim3tagENS9_11use_defaultESF_EEEENSB_INSC_IlSE_SF_SF_EEEEZNS1_13binary_searchIS3_S6_NSB_INS9_10device_ptrIS5_EEEESH_SJ_NS1_21lower_bound_search_opENSA_16wrapped_functionINS9_7greaterIS5_EEbEEEE10hipError_tPvRmT1_T2_T3_mmT4_T5_P12ihipStream_tbEUlRKS5_E_EEST_SX_SY_mSZ_S12_bEUlT_E_NS1_11comp_targetILNS1_3genE10ELNS1_11target_archE1201ELNS1_3gpuE5ELNS1_3repE0EEENS1_30default_config_static_selectorELNS0_4arch9wavefront6targetE0EEEvSW_
		.amdhsa_group_segment_fixed_size 0
		.amdhsa_private_segment_fixed_size 0
		.amdhsa_kernarg_size 56
		.amdhsa_user_sgpr_count 2
		.amdhsa_user_sgpr_dispatch_ptr 0
		.amdhsa_user_sgpr_queue_ptr 0
		.amdhsa_user_sgpr_kernarg_segment_ptr 1
		.amdhsa_user_sgpr_dispatch_id 0
		.amdhsa_user_sgpr_kernarg_preload_length 0
		.amdhsa_user_sgpr_kernarg_preload_offset 0
		.amdhsa_user_sgpr_private_segment_size 0
		.amdhsa_wavefront_size32 1
		.amdhsa_uses_dynamic_stack 0
		.amdhsa_enable_private_segment 0
		.amdhsa_system_sgpr_workgroup_id_x 1
		.amdhsa_system_sgpr_workgroup_id_y 0
		.amdhsa_system_sgpr_workgroup_id_z 0
		.amdhsa_system_sgpr_workgroup_info 0
		.amdhsa_system_vgpr_workitem_id 0
		.amdhsa_next_free_vgpr 1
		.amdhsa_next_free_sgpr 1
		.amdhsa_named_barrier_count 0
		.amdhsa_reserve_vcc 0
		.amdhsa_float_round_mode_32 0
		.amdhsa_float_round_mode_16_64 0
		.amdhsa_float_denorm_mode_32 3
		.amdhsa_float_denorm_mode_16_64 3
		.amdhsa_fp16_overflow 0
		.amdhsa_memory_ordered 1
		.amdhsa_forward_progress 1
		.amdhsa_inst_pref_size 0
		.amdhsa_round_robin_scheduling 0
		.amdhsa_exception_fp_ieee_invalid_op 0
		.amdhsa_exception_fp_denorm_src 0
		.amdhsa_exception_fp_ieee_div_zero 0
		.amdhsa_exception_fp_ieee_overflow 0
		.amdhsa_exception_fp_ieee_underflow 0
		.amdhsa_exception_fp_ieee_inexact 0
		.amdhsa_exception_int_div_zero 0
	.end_amdhsa_kernel
	.section	.text._ZN7rocprim17ROCPRIM_400000_NS6detail17trampoline_kernelINS0_14default_configENS1_27lower_bound_config_selectorI14custom_numericlEEZNS1_14transform_implILb0ES3_S6_N6thrust23THRUST_200600_302600_NS6detail15normal_iteratorINS9_7pointerIS5_NS9_11hip_rocprim3tagENS9_11use_defaultESF_EEEENSB_INSC_IlSE_SF_SF_EEEEZNS1_13binary_searchIS3_S6_NSB_INS9_10device_ptrIS5_EEEESH_SJ_NS1_21lower_bound_search_opENSA_16wrapped_functionINS9_7greaterIS5_EEbEEEE10hipError_tPvRmT1_T2_T3_mmT4_T5_P12ihipStream_tbEUlRKS5_E_EEST_SX_SY_mSZ_S12_bEUlT_E_NS1_11comp_targetILNS1_3genE10ELNS1_11target_archE1201ELNS1_3gpuE5ELNS1_3repE0EEENS1_30default_config_static_selectorELNS0_4arch9wavefront6targetE0EEEvSW_,"axG",@progbits,_ZN7rocprim17ROCPRIM_400000_NS6detail17trampoline_kernelINS0_14default_configENS1_27lower_bound_config_selectorI14custom_numericlEEZNS1_14transform_implILb0ES3_S6_N6thrust23THRUST_200600_302600_NS6detail15normal_iteratorINS9_7pointerIS5_NS9_11hip_rocprim3tagENS9_11use_defaultESF_EEEENSB_INSC_IlSE_SF_SF_EEEEZNS1_13binary_searchIS3_S6_NSB_INS9_10device_ptrIS5_EEEESH_SJ_NS1_21lower_bound_search_opENSA_16wrapped_functionINS9_7greaterIS5_EEbEEEE10hipError_tPvRmT1_T2_T3_mmT4_T5_P12ihipStream_tbEUlRKS5_E_EEST_SX_SY_mSZ_S12_bEUlT_E_NS1_11comp_targetILNS1_3genE10ELNS1_11target_archE1201ELNS1_3gpuE5ELNS1_3repE0EEENS1_30default_config_static_selectorELNS0_4arch9wavefront6targetE0EEEvSW_,comdat
.Lfunc_end53:
	.size	_ZN7rocprim17ROCPRIM_400000_NS6detail17trampoline_kernelINS0_14default_configENS1_27lower_bound_config_selectorI14custom_numericlEEZNS1_14transform_implILb0ES3_S6_N6thrust23THRUST_200600_302600_NS6detail15normal_iteratorINS9_7pointerIS5_NS9_11hip_rocprim3tagENS9_11use_defaultESF_EEEENSB_INSC_IlSE_SF_SF_EEEEZNS1_13binary_searchIS3_S6_NSB_INS9_10device_ptrIS5_EEEESH_SJ_NS1_21lower_bound_search_opENSA_16wrapped_functionINS9_7greaterIS5_EEbEEEE10hipError_tPvRmT1_T2_T3_mmT4_T5_P12ihipStream_tbEUlRKS5_E_EEST_SX_SY_mSZ_S12_bEUlT_E_NS1_11comp_targetILNS1_3genE10ELNS1_11target_archE1201ELNS1_3gpuE5ELNS1_3repE0EEENS1_30default_config_static_selectorELNS0_4arch9wavefront6targetE0EEEvSW_, .Lfunc_end53-_ZN7rocprim17ROCPRIM_400000_NS6detail17trampoline_kernelINS0_14default_configENS1_27lower_bound_config_selectorI14custom_numericlEEZNS1_14transform_implILb0ES3_S6_N6thrust23THRUST_200600_302600_NS6detail15normal_iteratorINS9_7pointerIS5_NS9_11hip_rocprim3tagENS9_11use_defaultESF_EEEENSB_INSC_IlSE_SF_SF_EEEEZNS1_13binary_searchIS3_S6_NSB_INS9_10device_ptrIS5_EEEESH_SJ_NS1_21lower_bound_search_opENSA_16wrapped_functionINS9_7greaterIS5_EEbEEEE10hipError_tPvRmT1_T2_T3_mmT4_T5_P12ihipStream_tbEUlRKS5_E_EEST_SX_SY_mSZ_S12_bEUlT_E_NS1_11comp_targetILNS1_3genE10ELNS1_11target_archE1201ELNS1_3gpuE5ELNS1_3repE0EEENS1_30default_config_static_selectorELNS0_4arch9wavefront6targetE0EEEvSW_
                                        ; -- End function
	.set _ZN7rocprim17ROCPRIM_400000_NS6detail17trampoline_kernelINS0_14default_configENS1_27lower_bound_config_selectorI14custom_numericlEEZNS1_14transform_implILb0ES3_S6_N6thrust23THRUST_200600_302600_NS6detail15normal_iteratorINS9_7pointerIS5_NS9_11hip_rocprim3tagENS9_11use_defaultESF_EEEENSB_INSC_IlSE_SF_SF_EEEEZNS1_13binary_searchIS3_S6_NSB_INS9_10device_ptrIS5_EEEESH_SJ_NS1_21lower_bound_search_opENSA_16wrapped_functionINS9_7greaterIS5_EEbEEEE10hipError_tPvRmT1_T2_T3_mmT4_T5_P12ihipStream_tbEUlRKS5_E_EEST_SX_SY_mSZ_S12_bEUlT_E_NS1_11comp_targetILNS1_3genE10ELNS1_11target_archE1201ELNS1_3gpuE5ELNS1_3repE0EEENS1_30default_config_static_selectorELNS0_4arch9wavefront6targetE0EEEvSW_.num_vgpr, 0
	.set _ZN7rocprim17ROCPRIM_400000_NS6detail17trampoline_kernelINS0_14default_configENS1_27lower_bound_config_selectorI14custom_numericlEEZNS1_14transform_implILb0ES3_S6_N6thrust23THRUST_200600_302600_NS6detail15normal_iteratorINS9_7pointerIS5_NS9_11hip_rocprim3tagENS9_11use_defaultESF_EEEENSB_INSC_IlSE_SF_SF_EEEEZNS1_13binary_searchIS3_S6_NSB_INS9_10device_ptrIS5_EEEESH_SJ_NS1_21lower_bound_search_opENSA_16wrapped_functionINS9_7greaterIS5_EEbEEEE10hipError_tPvRmT1_T2_T3_mmT4_T5_P12ihipStream_tbEUlRKS5_E_EEST_SX_SY_mSZ_S12_bEUlT_E_NS1_11comp_targetILNS1_3genE10ELNS1_11target_archE1201ELNS1_3gpuE5ELNS1_3repE0EEENS1_30default_config_static_selectorELNS0_4arch9wavefront6targetE0EEEvSW_.num_agpr, 0
	.set _ZN7rocprim17ROCPRIM_400000_NS6detail17trampoline_kernelINS0_14default_configENS1_27lower_bound_config_selectorI14custom_numericlEEZNS1_14transform_implILb0ES3_S6_N6thrust23THRUST_200600_302600_NS6detail15normal_iteratorINS9_7pointerIS5_NS9_11hip_rocprim3tagENS9_11use_defaultESF_EEEENSB_INSC_IlSE_SF_SF_EEEEZNS1_13binary_searchIS3_S6_NSB_INS9_10device_ptrIS5_EEEESH_SJ_NS1_21lower_bound_search_opENSA_16wrapped_functionINS9_7greaterIS5_EEbEEEE10hipError_tPvRmT1_T2_T3_mmT4_T5_P12ihipStream_tbEUlRKS5_E_EEST_SX_SY_mSZ_S12_bEUlT_E_NS1_11comp_targetILNS1_3genE10ELNS1_11target_archE1201ELNS1_3gpuE5ELNS1_3repE0EEENS1_30default_config_static_selectorELNS0_4arch9wavefront6targetE0EEEvSW_.numbered_sgpr, 0
	.set _ZN7rocprim17ROCPRIM_400000_NS6detail17trampoline_kernelINS0_14default_configENS1_27lower_bound_config_selectorI14custom_numericlEEZNS1_14transform_implILb0ES3_S6_N6thrust23THRUST_200600_302600_NS6detail15normal_iteratorINS9_7pointerIS5_NS9_11hip_rocprim3tagENS9_11use_defaultESF_EEEENSB_INSC_IlSE_SF_SF_EEEEZNS1_13binary_searchIS3_S6_NSB_INS9_10device_ptrIS5_EEEESH_SJ_NS1_21lower_bound_search_opENSA_16wrapped_functionINS9_7greaterIS5_EEbEEEE10hipError_tPvRmT1_T2_T3_mmT4_T5_P12ihipStream_tbEUlRKS5_E_EEST_SX_SY_mSZ_S12_bEUlT_E_NS1_11comp_targetILNS1_3genE10ELNS1_11target_archE1201ELNS1_3gpuE5ELNS1_3repE0EEENS1_30default_config_static_selectorELNS0_4arch9wavefront6targetE0EEEvSW_.num_named_barrier, 0
	.set _ZN7rocprim17ROCPRIM_400000_NS6detail17trampoline_kernelINS0_14default_configENS1_27lower_bound_config_selectorI14custom_numericlEEZNS1_14transform_implILb0ES3_S6_N6thrust23THRUST_200600_302600_NS6detail15normal_iteratorINS9_7pointerIS5_NS9_11hip_rocprim3tagENS9_11use_defaultESF_EEEENSB_INSC_IlSE_SF_SF_EEEEZNS1_13binary_searchIS3_S6_NSB_INS9_10device_ptrIS5_EEEESH_SJ_NS1_21lower_bound_search_opENSA_16wrapped_functionINS9_7greaterIS5_EEbEEEE10hipError_tPvRmT1_T2_T3_mmT4_T5_P12ihipStream_tbEUlRKS5_E_EEST_SX_SY_mSZ_S12_bEUlT_E_NS1_11comp_targetILNS1_3genE10ELNS1_11target_archE1201ELNS1_3gpuE5ELNS1_3repE0EEENS1_30default_config_static_selectorELNS0_4arch9wavefront6targetE0EEEvSW_.private_seg_size, 0
	.set _ZN7rocprim17ROCPRIM_400000_NS6detail17trampoline_kernelINS0_14default_configENS1_27lower_bound_config_selectorI14custom_numericlEEZNS1_14transform_implILb0ES3_S6_N6thrust23THRUST_200600_302600_NS6detail15normal_iteratorINS9_7pointerIS5_NS9_11hip_rocprim3tagENS9_11use_defaultESF_EEEENSB_INSC_IlSE_SF_SF_EEEEZNS1_13binary_searchIS3_S6_NSB_INS9_10device_ptrIS5_EEEESH_SJ_NS1_21lower_bound_search_opENSA_16wrapped_functionINS9_7greaterIS5_EEbEEEE10hipError_tPvRmT1_T2_T3_mmT4_T5_P12ihipStream_tbEUlRKS5_E_EEST_SX_SY_mSZ_S12_bEUlT_E_NS1_11comp_targetILNS1_3genE10ELNS1_11target_archE1201ELNS1_3gpuE5ELNS1_3repE0EEENS1_30default_config_static_selectorELNS0_4arch9wavefront6targetE0EEEvSW_.uses_vcc, 0
	.set _ZN7rocprim17ROCPRIM_400000_NS6detail17trampoline_kernelINS0_14default_configENS1_27lower_bound_config_selectorI14custom_numericlEEZNS1_14transform_implILb0ES3_S6_N6thrust23THRUST_200600_302600_NS6detail15normal_iteratorINS9_7pointerIS5_NS9_11hip_rocprim3tagENS9_11use_defaultESF_EEEENSB_INSC_IlSE_SF_SF_EEEEZNS1_13binary_searchIS3_S6_NSB_INS9_10device_ptrIS5_EEEESH_SJ_NS1_21lower_bound_search_opENSA_16wrapped_functionINS9_7greaterIS5_EEbEEEE10hipError_tPvRmT1_T2_T3_mmT4_T5_P12ihipStream_tbEUlRKS5_E_EEST_SX_SY_mSZ_S12_bEUlT_E_NS1_11comp_targetILNS1_3genE10ELNS1_11target_archE1201ELNS1_3gpuE5ELNS1_3repE0EEENS1_30default_config_static_selectorELNS0_4arch9wavefront6targetE0EEEvSW_.uses_flat_scratch, 0
	.set _ZN7rocprim17ROCPRIM_400000_NS6detail17trampoline_kernelINS0_14default_configENS1_27lower_bound_config_selectorI14custom_numericlEEZNS1_14transform_implILb0ES3_S6_N6thrust23THRUST_200600_302600_NS6detail15normal_iteratorINS9_7pointerIS5_NS9_11hip_rocprim3tagENS9_11use_defaultESF_EEEENSB_INSC_IlSE_SF_SF_EEEEZNS1_13binary_searchIS3_S6_NSB_INS9_10device_ptrIS5_EEEESH_SJ_NS1_21lower_bound_search_opENSA_16wrapped_functionINS9_7greaterIS5_EEbEEEE10hipError_tPvRmT1_T2_T3_mmT4_T5_P12ihipStream_tbEUlRKS5_E_EEST_SX_SY_mSZ_S12_bEUlT_E_NS1_11comp_targetILNS1_3genE10ELNS1_11target_archE1201ELNS1_3gpuE5ELNS1_3repE0EEENS1_30default_config_static_selectorELNS0_4arch9wavefront6targetE0EEEvSW_.has_dyn_sized_stack, 0
	.set _ZN7rocprim17ROCPRIM_400000_NS6detail17trampoline_kernelINS0_14default_configENS1_27lower_bound_config_selectorI14custom_numericlEEZNS1_14transform_implILb0ES3_S6_N6thrust23THRUST_200600_302600_NS6detail15normal_iteratorINS9_7pointerIS5_NS9_11hip_rocprim3tagENS9_11use_defaultESF_EEEENSB_INSC_IlSE_SF_SF_EEEEZNS1_13binary_searchIS3_S6_NSB_INS9_10device_ptrIS5_EEEESH_SJ_NS1_21lower_bound_search_opENSA_16wrapped_functionINS9_7greaterIS5_EEbEEEE10hipError_tPvRmT1_T2_T3_mmT4_T5_P12ihipStream_tbEUlRKS5_E_EEST_SX_SY_mSZ_S12_bEUlT_E_NS1_11comp_targetILNS1_3genE10ELNS1_11target_archE1201ELNS1_3gpuE5ELNS1_3repE0EEENS1_30default_config_static_selectorELNS0_4arch9wavefront6targetE0EEEvSW_.has_recursion, 0
	.set _ZN7rocprim17ROCPRIM_400000_NS6detail17trampoline_kernelINS0_14default_configENS1_27lower_bound_config_selectorI14custom_numericlEEZNS1_14transform_implILb0ES3_S6_N6thrust23THRUST_200600_302600_NS6detail15normal_iteratorINS9_7pointerIS5_NS9_11hip_rocprim3tagENS9_11use_defaultESF_EEEENSB_INSC_IlSE_SF_SF_EEEEZNS1_13binary_searchIS3_S6_NSB_INS9_10device_ptrIS5_EEEESH_SJ_NS1_21lower_bound_search_opENSA_16wrapped_functionINS9_7greaterIS5_EEbEEEE10hipError_tPvRmT1_T2_T3_mmT4_T5_P12ihipStream_tbEUlRKS5_E_EEST_SX_SY_mSZ_S12_bEUlT_E_NS1_11comp_targetILNS1_3genE10ELNS1_11target_archE1201ELNS1_3gpuE5ELNS1_3repE0EEENS1_30default_config_static_selectorELNS0_4arch9wavefront6targetE0EEEvSW_.has_indirect_call, 0
	.section	.AMDGPU.csdata,"",@progbits
; Kernel info:
; codeLenInByte = 0
; TotalNumSgprs: 0
; NumVgprs: 0
; ScratchSize: 0
; MemoryBound: 0
; FloatMode: 240
; IeeeMode: 1
; LDSByteSize: 0 bytes/workgroup (compile time only)
; SGPRBlocks: 0
; VGPRBlocks: 0
; NumSGPRsForWavesPerEU: 1
; NumVGPRsForWavesPerEU: 1
; NamedBarCnt: 0
; Occupancy: 16
; WaveLimiterHint : 0
; COMPUTE_PGM_RSRC2:SCRATCH_EN: 0
; COMPUTE_PGM_RSRC2:USER_SGPR: 2
; COMPUTE_PGM_RSRC2:TRAP_HANDLER: 0
; COMPUTE_PGM_RSRC2:TGID_X_EN: 1
; COMPUTE_PGM_RSRC2:TGID_Y_EN: 0
; COMPUTE_PGM_RSRC2:TGID_Z_EN: 0
; COMPUTE_PGM_RSRC2:TIDIG_COMP_CNT: 0
	.section	.text._ZN7rocprim17ROCPRIM_400000_NS6detail17trampoline_kernelINS0_14default_configENS1_27lower_bound_config_selectorI14custom_numericlEEZNS1_14transform_implILb0ES3_S6_N6thrust23THRUST_200600_302600_NS6detail15normal_iteratorINS9_7pointerIS5_NS9_11hip_rocprim3tagENS9_11use_defaultESF_EEEENSB_INSC_IlSE_SF_SF_EEEEZNS1_13binary_searchIS3_S6_NSB_INS9_10device_ptrIS5_EEEESH_SJ_NS1_21lower_bound_search_opENSA_16wrapped_functionINS9_7greaterIS5_EEbEEEE10hipError_tPvRmT1_T2_T3_mmT4_T5_P12ihipStream_tbEUlRKS5_E_EEST_SX_SY_mSZ_S12_bEUlT_E_NS1_11comp_targetILNS1_3genE10ELNS1_11target_archE1200ELNS1_3gpuE4ELNS1_3repE0EEENS1_30default_config_static_selectorELNS0_4arch9wavefront6targetE0EEEvSW_,"axG",@progbits,_ZN7rocprim17ROCPRIM_400000_NS6detail17trampoline_kernelINS0_14default_configENS1_27lower_bound_config_selectorI14custom_numericlEEZNS1_14transform_implILb0ES3_S6_N6thrust23THRUST_200600_302600_NS6detail15normal_iteratorINS9_7pointerIS5_NS9_11hip_rocprim3tagENS9_11use_defaultESF_EEEENSB_INSC_IlSE_SF_SF_EEEEZNS1_13binary_searchIS3_S6_NSB_INS9_10device_ptrIS5_EEEESH_SJ_NS1_21lower_bound_search_opENSA_16wrapped_functionINS9_7greaterIS5_EEbEEEE10hipError_tPvRmT1_T2_T3_mmT4_T5_P12ihipStream_tbEUlRKS5_E_EEST_SX_SY_mSZ_S12_bEUlT_E_NS1_11comp_targetILNS1_3genE10ELNS1_11target_archE1200ELNS1_3gpuE4ELNS1_3repE0EEENS1_30default_config_static_selectorELNS0_4arch9wavefront6targetE0EEEvSW_,comdat
	.protected	_ZN7rocprim17ROCPRIM_400000_NS6detail17trampoline_kernelINS0_14default_configENS1_27lower_bound_config_selectorI14custom_numericlEEZNS1_14transform_implILb0ES3_S6_N6thrust23THRUST_200600_302600_NS6detail15normal_iteratorINS9_7pointerIS5_NS9_11hip_rocprim3tagENS9_11use_defaultESF_EEEENSB_INSC_IlSE_SF_SF_EEEEZNS1_13binary_searchIS3_S6_NSB_INS9_10device_ptrIS5_EEEESH_SJ_NS1_21lower_bound_search_opENSA_16wrapped_functionINS9_7greaterIS5_EEbEEEE10hipError_tPvRmT1_T2_T3_mmT4_T5_P12ihipStream_tbEUlRKS5_E_EEST_SX_SY_mSZ_S12_bEUlT_E_NS1_11comp_targetILNS1_3genE10ELNS1_11target_archE1200ELNS1_3gpuE4ELNS1_3repE0EEENS1_30default_config_static_selectorELNS0_4arch9wavefront6targetE0EEEvSW_ ; -- Begin function _ZN7rocprim17ROCPRIM_400000_NS6detail17trampoline_kernelINS0_14default_configENS1_27lower_bound_config_selectorI14custom_numericlEEZNS1_14transform_implILb0ES3_S6_N6thrust23THRUST_200600_302600_NS6detail15normal_iteratorINS9_7pointerIS5_NS9_11hip_rocprim3tagENS9_11use_defaultESF_EEEENSB_INSC_IlSE_SF_SF_EEEEZNS1_13binary_searchIS3_S6_NSB_INS9_10device_ptrIS5_EEEESH_SJ_NS1_21lower_bound_search_opENSA_16wrapped_functionINS9_7greaterIS5_EEbEEEE10hipError_tPvRmT1_T2_T3_mmT4_T5_P12ihipStream_tbEUlRKS5_E_EEST_SX_SY_mSZ_S12_bEUlT_E_NS1_11comp_targetILNS1_3genE10ELNS1_11target_archE1200ELNS1_3gpuE4ELNS1_3repE0EEENS1_30default_config_static_selectorELNS0_4arch9wavefront6targetE0EEEvSW_
	.globl	_ZN7rocprim17ROCPRIM_400000_NS6detail17trampoline_kernelINS0_14default_configENS1_27lower_bound_config_selectorI14custom_numericlEEZNS1_14transform_implILb0ES3_S6_N6thrust23THRUST_200600_302600_NS6detail15normal_iteratorINS9_7pointerIS5_NS9_11hip_rocprim3tagENS9_11use_defaultESF_EEEENSB_INSC_IlSE_SF_SF_EEEEZNS1_13binary_searchIS3_S6_NSB_INS9_10device_ptrIS5_EEEESH_SJ_NS1_21lower_bound_search_opENSA_16wrapped_functionINS9_7greaterIS5_EEbEEEE10hipError_tPvRmT1_T2_T3_mmT4_T5_P12ihipStream_tbEUlRKS5_E_EEST_SX_SY_mSZ_S12_bEUlT_E_NS1_11comp_targetILNS1_3genE10ELNS1_11target_archE1200ELNS1_3gpuE4ELNS1_3repE0EEENS1_30default_config_static_selectorELNS0_4arch9wavefront6targetE0EEEvSW_
	.p2align	8
	.type	_ZN7rocprim17ROCPRIM_400000_NS6detail17trampoline_kernelINS0_14default_configENS1_27lower_bound_config_selectorI14custom_numericlEEZNS1_14transform_implILb0ES3_S6_N6thrust23THRUST_200600_302600_NS6detail15normal_iteratorINS9_7pointerIS5_NS9_11hip_rocprim3tagENS9_11use_defaultESF_EEEENSB_INSC_IlSE_SF_SF_EEEEZNS1_13binary_searchIS3_S6_NSB_INS9_10device_ptrIS5_EEEESH_SJ_NS1_21lower_bound_search_opENSA_16wrapped_functionINS9_7greaterIS5_EEbEEEE10hipError_tPvRmT1_T2_T3_mmT4_T5_P12ihipStream_tbEUlRKS5_E_EEST_SX_SY_mSZ_S12_bEUlT_E_NS1_11comp_targetILNS1_3genE10ELNS1_11target_archE1200ELNS1_3gpuE4ELNS1_3repE0EEENS1_30default_config_static_selectorELNS0_4arch9wavefront6targetE0EEEvSW_,@function
_ZN7rocprim17ROCPRIM_400000_NS6detail17trampoline_kernelINS0_14default_configENS1_27lower_bound_config_selectorI14custom_numericlEEZNS1_14transform_implILb0ES3_S6_N6thrust23THRUST_200600_302600_NS6detail15normal_iteratorINS9_7pointerIS5_NS9_11hip_rocprim3tagENS9_11use_defaultESF_EEEENSB_INSC_IlSE_SF_SF_EEEEZNS1_13binary_searchIS3_S6_NSB_INS9_10device_ptrIS5_EEEESH_SJ_NS1_21lower_bound_search_opENSA_16wrapped_functionINS9_7greaterIS5_EEbEEEE10hipError_tPvRmT1_T2_T3_mmT4_T5_P12ihipStream_tbEUlRKS5_E_EEST_SX_SY_mSZ_S12_bEUlT_E_NS1_11comp_targetILNS1_3genE10ELNS1_11target_archE1200ELNS1_3gpuE4ELNS1_3repE0EEENS1_30default_config_static_selectorELNS0_4arch9wavefront6targetE0EEEvSW_: ; @_ZN7rocprim17ROCPRIM_400000_NS6detail17trampoline_kernelINS0_14default_configENS1_27lower_bound_config_selectorI14custom_numericlEEZNS1_14transform_implILb0ES3_S6_N6thrust23THRUST_200600_302600_NS6detail15normal_iteratorINS9_7pointerIS5_NS9_11hip_rocprim3tagENS9_11use_defaultESF_EEEENSB_INSC_IlSE_SF_SF_EEEEZNS1_13binary_searchIS3_S6_NSB_INS9_10device_ptrIS5_EEEESH_SJ_NS1_21lower_bound_search_opENSA_16wrapped_functionINS9_7greaterIS5_EEbEEEE10hipError_tPvRmT1_T2_T3_mmT4_T5_P12ihipStream_tbEUlRKS5_E_EEST_SX_SY_mSZ_S12_bEUlT_E_NS1_11comp_targetILNS1_3genE10ELNS1_11target_archE1200ELNS1_3gpuE4ELNS1_3repE0EEENS1_30default_config_static_selectorELNS0_4arch9wavefront6targetE0EEEvSW_
; %bb.0:
	.section	.rodata,"a",@progbits
	.p2align	6, 0x0
	.amdhsa_kernel _ZN7rocprim17ROCPRIM_400000_NS6detail17trampoline_kernelINS0_14default_configENS1_27lower_bound_config_selectorI14custom_numericlEEZNS1_14transform_implILb0ES3_S6_N6thrust23THRUST_200600_302600_NS6detail15normal_iteratorINS9_7pointerIS5_NS9_11hip_rocprim3tagENS9_11use_defaultESF_EEEENSB_INSC_IlSE_SF_SF_EEEEZNS1_13binary_searchIS3_S6_NSB_INS9_10device_ptrIS5_EEEESH_SJ_NS1_21lower_bound_search_opENSA_16wrapped_functionINS9_7greaterIS5_EEbEEEE10hipError_tPvRmT1_T2_T3_mmT4_T5_P12ihipStream_tbEUlRKS5_E_EEST_SX_SY_mSZ_S12_bEUlT_E_NS1_11comp_targetILNS1_3genE10ELNS1_11target_archE1200ELNS1_3gpuE4ELNS1_3repE0EEENS1_30default_config_static_selectorELNS0_4arch9wavefront6targetE0EEEvSW_
		.amdhsa_group_segment_fixed_size 0
		.amdhsa_private_segment_fixed_size 0
		.amdhsa_kernarg_size 56
		.amdhsa_user_sgpr_count 2
		.amdhsa_user_sgpr_dispatch_ptr 0
		.amdhsa_user_sgpr_queue_ptr 0
		.amdhsa_user_sgpr_kernarg_segment_ptr 1
		.amdhsa_user_sgpr_dispatch_id 0
		.amdhsa_user_sgpr_kernarg_preload_length 0
		.amdhsa_user_sgpr_kernarg_preload_offset 0
		.amdhsa_user_sgpr_private_segment_size 0
		.amdhsa_wavefront_size32 1
		.amdhsa_uses_dynamic_stack 0
		.amdhsa_enable_private_segment 0
		.amdhsa_system_sgpr_workgroup_id_x 1
		.amdhsa_system_sgpr_workgroup_id_y 0
		.amdhsa_system_sgpr_workgroup_id_z 0
		.amdhsa_system_sgpr_workgroup_info 0
		.amdhsa_system_vgpr_workitem_id 0
		.amdhsa_next_free_vgpr 1
		.amdhsa_next_free_sgpr 1
		.amdhsa_named_barrier_count 0
		.amdhsa_reserve_vcc 0
		.amdhsa_float_round_mode_32 0
		.amdhsa_float_round_mode_16_64 0
		.amdhsa_float_denorm_mode_32 3
		.amdhsa_float_denorm_mode_16_64 3
		.amdhsa_fp16_overflow 0
		.amdhsa_memory_ordered 1
		.amdhsa_forward_progress 1
		.amdhsa_inst_pref_size 0
		.amdhsa_round_robin_scheduling 0
		.amdhsa_exception_fp_ieee_invalid_op 0
		.amdhsa_exception_fp_denorm_src 0
		.amdhsa_exception_fp_ieee_div_zero 0
		.amdhsa_exception_fp_ieee_overflow 0
		.amdhsa_exception_fp_ieee_underflow 0
		.amdhsa_exception_fp_ieee_inexact 0
		.amdhsa_exception_int_div_zero 0
	.end_amdhsa_kernel
	.section	.text._ZN7rocprim17ROCPRIM_400000_NS6detail17trampoline_kernelINS0_14default_configENS1_27lower_bound_config_selectorI14custom_numericlEEZNS1_14transform_implILb0ES3_S6_N6thrust23THRUST_200600_302600_NS6detail15normal_iteratorINS9_7pointerIS5_NS9_11hip_rocprim3tagENS9_11use_defaultESF_EEEENSB_INSC_IlSE_SF_SF_EEEEZNS1_13binary_searchIS3_S6_NSB_INS9_10device_ptrIS5_EEEESH_SJ_NS1_21lower_bound_search_opENSA_16wrapped_functionINS9_7greaterIS5_EEbEEEE10hipError_tPvRmT1_T2_T3_mmT4_T5_P12ihipStream_tbEUlRKS5_E_EEST_SX_SY_mSZ_S12_bEUlT_E_NS1_11comp_targetILNS1_3genE10ELNS1_11target_archE1200ELNS1_3gpuE4ELNS1_3repE0EEENS1_30default_config_static_selectorELNS0_4arch9wavefront6targetE0EEEvSW_,"axG",@progbits,_ZN7rocprim17ROCPRIM_400000_NS6detail17trampoline_kernelINS0_14default_configENS1_27lower_bound_config_selectorI14custom_numericlEEZNS1_14transform_implILb0ES3_S6_N6thrust23THRUST_200600_302600_NS6detail15normal_iteratorINS9_7pointerIS5_NS9_11hip_rocprim3tagENS9_11use_defaultESF_EEEENSB_INSC_IlSE_SF_SF_EEEEZNS1_13binary_searchIS3_S6_NSB_INS9_10device_ptrIS5_EEEESH_SJ_NS1_21lower_bound_search_opENSA_16wrapped_functionINS9_7greaterIS5_EEbEEEE10hipError_tPvRmT1_T2_T3_mmT4_T5_P12ihipStream_tbEUlRKS5_E_EEST_SX_SY_mSZ_S12_bEUlT_E_NS1_11comp_targetILNS1_3genE10ELNS1_11target_archE1200ELNS1_3gpuE4ELNS1_3repE0EEENS1_30default_config_static_selectorELNS0_4arch9wavefront6targetE0EEEvSW_,comdat
.Lfunc_end54:
	.size	_ZN7rocprim17ROCPRIM_400000_NS6detail17trampoline_kernelINS0_14default_configENS1_27lower_bound_config_selectorI14custom_numericlEEZNS1_14transform_implILb0ES3_S6_N6thrust23THRUST_200600_302600_NS6detail15normal_iteratorINS9_7pointerIS5_NS9_11hip_rocprim3tagENS9_11use_defaultESF_EEEENSB_INSC_IlSE_SF_SF_EEEEZNS1_13binary_searchIS3_S6_NSB_INS9_10device_ptrIS5_EEEESH_SJ_NS1_21lower_bound_search_opENSA_16wrapped_functionINS9_7greaterIS5_EEbEEEE10hipError_tPvRmT1_T2_T3_mmT4_T5_P12ihipStream_tbEUlRKS5_E_EEST_SX_SY_mSZ_S12_bEUlT_E_NS1_11comp_targetILNS1_3genE10ELNS1_11target_archE1200ELNS1_3gpuE4ELNS1_3repE0EEENS1_30default_config_static_selectorELNS0_4arch9wavefront6targetE0EEEvSW_, .Lfunc_end54-_ZN7rocprim17ROCPRIM_400000_NS6detail17trampoline_kernelINS0_14default_configENS1_27lower_bound_config_selectorI14custom_numericlEEZNS1_14transform_implILb0ES3_S6_N6thrust23THRUST_200600_302600_NS6detail15normal_iteratorINS9_7pointerIS5_NS9_11hip_rocprim3tagENS9_11use_defaultESF_EEEENSB_INSC_IlSE_SF_SF_EEEEZNS1_13binary_searchIS3_S6_NSB_INS9_10device_ptrIS5_EEEESH_SJ_NS1_21lower_bound_search_opENSA_16wrapped_functionINS9_7greaterIS5_EEbEEEE10hipError_tPvRmT1_T2_T3_mmT4_T5_P12ihipStream_tbEUlRKS5_E_EEST_SX_SY_mSZ_S12_bEUlT_E_NS1_11comp_targetILNS1_3genE10ELNS1_11target_archE1200ELNS1_3gpuE4ELNS1_3repE0EEENS1_30default_config_static_selectorELNS0_4arch9wavefront6targetE0EEEvSW_
                                        ; -- End function
	.set _ZN7rocprim17ROCPRIM_400000_NS6detail17trampoline_kernelINS0_14default_configENS1_27lower_bound_config_selectorI14custom_numericlEEZNS1_14transform_implILb0ES3_S6_N6thrust23THRUST_200600_302600_NS6detail15normal_iteratorINS9_7pointerIS5_NS9_11hip_rocprim3tagENS9_11use_defaultESF_EEEENSB_INSC_IlSE_SF_SF_EEEEZNS1_13binary_searchIS3_S6_NSB_INS9_10device_ptrIS5_EEEESH_SJ_NS1_21lower_bound_search_opENSA_16wrapped_functionINS9_7greaterIS5_EEbEEEE10hipError_tPvRmT1_T2_T3_mmT4_T5_P12ihipStream_tbEUlRKS5_E_EEST_SX_SY_mSZ_S12_bEUlT_E_NS1_11comp_targetILNS1_3genE10ELNS1_11target_archE1200ELNS1_3gpuE4ELNS1_3repE0EEENS1_30default_config_static_selectorELNS0_4arch9wavefront6targetE0EEEvSW_.num_vgpr, 0
	.set _ZN7rocprim17ROCPRIM_400000_NS6detail17trampoline_kernelINS0_14default_configENS1_27lower_bound_config_selectorI14custom_numericlEEZNS1_14transform_implILb0ES3_S6_N6thrust23THRUST_200600_302600_NS6detail15normal_iteratorINS9_7pointerIS5_NS9_11hip_rocprim3tagENS9_11use_defaultESF_EEEENSB_INSC_IlSE_SF_SF_EEEEZNS1_13binary_searchIS3_S6_NSB_INS9_10device_ptrIS5_EEEESH_SJ_NS1_21lower_bound_search_opENSA_16wrapped_functionINS9_7greaterIS5_EEbEEEE10hipError_tPvRmT1_T2_T3_mmT4_T5_P12ihipStream_tbEUlRKS5_E_EEST_SX_SY_mSZ_S12_bEUlT_E_NS1_11comp_targetILNS1_3genE10ELNS1_11target_archE1200ELNS1_3gpuE4ELNS1_3repE0EEENS1_30default_config_static_selectorELNS0_4arch9wavefront6targetE0EEEvSW_.num_agpr, 0
	.set _ZN7rocprim17ROCPRIM_400000_NS6detail17trampoline_kernelINS0_14default_configENS1_27lower_bound_config_selectorI14custom_numericlEEZNS1_14transform_implILb0ES3_S6_N6thrust23THRUST_200600_302600_NS6detail15normal_iteratorINS9_7pointerIS5_NS9_11hip_rocprim3tagENS9_11use_defaultESF_EEEENSB_INSC_IlSE_SF_SF_EEEEZNS1_13binary_searchIS3_S6_NSB_INS9_10device_ptrIS5_EEEESH_SJ_NS1_21lower_bound_search_opENSA_16wrapped_functionINS9_7greaterIS5_EEbEEEE10hipError_tPvRmT1_T2_T3_mmT4_T5_P12ihipStream_tbEUlRKS5_E_EEST_SX_SY_mSZ_S12_bEUlT_E_NS1_11comp_targetILNS1_3genE10ELNS1_11target_archE1200ELNS1_3gpuE4ELNS1_3repE0EEENS1_30default_config_static_selectorELNS0_4arch9wavefront6targetE0EEEvSW_.numbered_sgpr, 0
	.set _ZN7rocprim17ROCPRIM_400000_NS6detail17trampoline_kernelINS0_14default_configENS1_27lower_bound_config_selectorI14custom_numericlEEZNS1_14transform_implILb0ES3_S6_N6thrust23THRUST_200600_302600_NS6detail15normal_iteratorINS9_7pointerIS5_NS9_11hip_rocprim3tagENS9_11use_defaultESF_EEEENSB_INSC_IlSE_SF_SF_EEEEZNS1_13binary_searchIS3_S6_NSB_INS9_10device_ptrIS5_EEEESH_SJ_NS1_21lower_bound_search_opENSA_16wrapped_functionINS9_7greaterIS5_EEbEEEE10hipError_tPvRmT1_T2_T3_mmT4_T5_P12ihipStream_tbEUlRKS5_E_EEST_SX_SY_mSZ_S12_bEUlT_E_NS1_11comp_targetILNS1_3genE10ELNS1_11target_archE1200ELNS1_3gpuE4ELNS1_3repE0EEENS1_30default_config_static_selectorELNS0_4arch9wavefront6targetE0EEEvSW_.num_named_barrier, 0
	.set _ZN7rocprim17ROCPRIM_400000_NS6detail17trampoline_kernelINS0_14default_configENS1_27lower_bound_config_selectorI14custom_numericlEEZNS1_14transform_implILb0ES3_S6_N6thrust23THRUST_200600_302600_NS6detail15normal_iteratorINS9_7pointerIS5_NS9_11hip_rocprim3tagENS9_11use_defaultESF_EEEENSB_INSC_IlSE_SF_SF_EEEEZNS1_13binary_searchIS3_S6_NSB_INS9_10device_ptrIS5_EEEESH_SJ_NS1_21lower_bound_search_opENSA_16wrapped_functionINS9_7greaterIS5_EEbEEEE10hipError_tPvRmT1_T2_T3_mmT4_T5_P12ihipStream_tbEUlRKS5_E_EEST_SX_SY_mSZ_S12_bEUlT_E_NS1_11comp_targetILNS1_3genE10ELNS1_11target_archE1200ELNS1_3gpuE4ELNS1_3repE0EEENS1_30default_config_static_selectorELNS0_4arch9wavefront6targetE0EEEvSW_.private_seg_size, 0
	.set _ZN7rocprim17ROCPRIM_400000_NS6detail17trampoline_kernelINS0_14default_configENS1_27lower_bound_config_selectorI14custom_numericlEEZNS1_14transform_implILb0ES3_S6_N6thrust23THRUST_200600_302600_NS6detail15normal_iteratorINS9_7pointerIS5_NS9_11hip_rocprim3tagENS9_11use_defaultESF_EEEENSB_INSC_IlSE_SF_SF_EEEEZNS1_13binary_searchIS3_S6_NSB_INS9_10device_ptrIS5_EEEESH_SJ_NS1_21lower_bound_search_opENSA_16wrapped_functionINS9_7greaterIS5_EEbEEEE10hipError_tPvRmT1_T2_T3_mmT4_T5_P12ihipStream_tbEUlRKS5_E_EEST_SX_SY_mSZ_S12_bEUlT_E_NS1_11comp_targetILNS1_3genE10ELNS1_11target_archE1200ELNS1_3gpuE4ELNS1_3repE0EEENS1_30default_config_static_selectorELNS0_4arch9wavefront6targetE0EEEvSW_.uses_vcc, 0
	.set _ZN7rocprim17ROCPRIM_400000_NS6detail17trampoline_kernelINS0_14default_configENS1_27lower_bound_config_selectorI14custom_numericlEEZNS1_14transform_implILb0ES3_S6_N6thrust23THRUST_200600_302600_NS6detail15normal_iteratorINS9_7pointerIS5_NS9_11hip_rocprim3tagENS9_11use_defaultESF_EEEENSB_INSC_IlSE_SF_SF_EEEEZNS1_13binary_searchIS3_S6_NSB_INS9_10device_ptrIS5_EEEESH_SJ_NS1_21lower_bound_search_opENSA_16wrapped_functionINS9_7greaterIS5_EEbEEEE10hipError_tPvRmT1_T2_T3_mmT4_T5_P12ihipStream_tbEUlRKS5_E_EEST_SX_SY_mSZ_S12_bEUlT_E_NS1_11comp_targetILNS1_3genE10ELNS1_11target_archE1200ELNS1_3gpuE4ELNS1_3repE0EEENS1_30default_config_static_selectorELNS0_4arch9wavefront6targetE0EEEvSW_.uses_flat_scratch, 0
	.set _ZN7rocprim17ROCPRIM_400000_NS6detail17trampoline_kernelINS0_14default_configENS1_27lower_bound_config_selectorI14custom_numericlEEZNS1_14transform_implILb0ES3_S6_N6thrust23THRUST_200600_302600_NS6detail15normal_iteratorINS9_7pointerIS5_NS9_11hip_rocprim3tagENS9_11use_defaultESF_EEEENSB_INSC_IlSE_SF_SF_EEEEZNS1_13binary_searchIS3_S6_NSB_INS9_10device_ptrIS5_EEEESH_SJ_NS1_21lower_bound_search_opENSA_16wrapped_functionINS9_7greaterIS5_EEbEEEE10hipError_tPvRmT1_T2_T3_mmT4_T5_P12ihipStream_tbEUlRKS5_E_EEST_SX_SY_mSZ_S12_bEUlT_E_NS1_11comp_targetILNS1_3genE10ELNS1_11target_archE1200ELNS1_3gpuE4ELNS1_3repE0EEENS1_30default_config_static_selectorELNS0_4arch9wavefront6targetE0EEEvSW_.has_dyn_sized_stack, 0
	.set _ZN7rocprim17ROCPRIM_400000_NS6detail17trampoline_kernelINS0_14default_configENS1_27lower_bound_config_selectorI14custom_numericlEEZNS1_14transform_implILb0ES3_S6_N6thrust23THRUST_200600_302600_NS6detail15normal_iteratorINS9_7pointerIS5_NS9_11hip_rocprim3tagENS9_11use_defaultESF_EEEENSB_INSC_IlSE_SF_SF_EEEEZNS1_13binary_searchIS3_S6_NSB_INS9_10device_ptrIS5_EEEESH_SJ_NS1_21lower_bound_search_opENSA_16wrapped_functionINS9_7greaterIS5_EEbEEEE10hipError_tPvRmT1_T2_T3_mmT4_T5_P12ihipStream_tbEUlRKS5_E_EEST_SX_SY_mSZ_S12_bEUlT_E_NS1_11comp_targetILNS1_3genE10ELNS1_11target_archE1200ELNS1_3gpuE4ELNS1_3repE0EEENS1_30default_config_static_selectorELNS0_4arch9wavefront6targetE0EEEvSW_.has_recursion, 0
	.set _ZN7rocprim17ROCPRIM_400000_NS6detail17trampoline_kernelINS0_14default_configENS1_27lower_bound_config_selectorI14custom_numericlEEZNS1_14transform_implILb0ES3_S6_N6thrust23THRUST_200600_302600_NS6detail15normal_iteratorINS9_7pointerIS5_NS9_11hip_rocprim3tagENS9_11use_defaultESF_EEEENSB_INSC_IlSE_SF_SF_EEEEZNS1_13binary_searchIS3_S6_NSB_INS9_10device_ptrIS5_EEEESH_SJ_NS1_21lower_bound_search_opENSA_16wrapped_functionINS9_7greaterIS5_EEbEEEE10hipError_tPvRmT1_T2_T3_mmT4_T5_P12ihipStream_tbEUlRKS5_E_EEST_SX_SY_mSZ_S12_bEUlT_E_NS1_11comp_targetILNS1_3genE10ELNS1_11target_archE1200ELNS1_3gpuE4ELNS1_3repE0EEENS1_30default_config_static_selectorELNS0_4arch9wavefront6targetE0EEEvSW_.has_indirect_call, 0
	.section	.AMDGPU.csdata,"",@progbits
; Kernel info:
; codeLenInByte = 0
; TotalNumSgprs: 0
; NumVgprs: 0
; ScratchSize: 0
; MemoryBound: 0
; FloatMode: 240
; IeeeMode: 1
; LDSByteSize: 0 bytes/workgroup (compile time only)
; SGPRBlocks: 0
; VGPRBlocks: 0
; NumSGPRsForWavesPerEU: 1
; NumVGPRsForWavesPerEU: 1
; NamedBarCnt: 0
; Occupancy: 16
; WaveLimiterHint : 0
; COMPUTE_PGM_RSRC2:SCRATCH_EN: 0
; COMPUTE_PGM_RSRC2:USER_SGPR: 2
; COMPUTE_PGM_RSRC2:TRAP_HANDLER: 0
; COMPUTE_PGM_RSRC2:TGID_X_EN: 1
; COMPUTE_PGM_RSRC2:TGID_Y_EN: 0
; COMPUTE_PGM_RSRC2:TGID_Z_EN: 0
; COMPUTE_PGM_RSRC2:TIDIG_COMP_CNT: 0
	.section	.text._ZN7rocprim17ROCPRIM_400000_NS6detail17trampoline_kernelINS0_14default_configENS1_27lower_bound_config_selectorI14custom_numericlEEZNS1_14transform_implILb0ES3_S6_N6thrust23THRUST_200600_302600_NS6detail15normal_iteratorINS9_7pointerIS5_NS9_11hip_rocprim3tagENS9_11use_defaultESF_EEEENSB_INSC_IlSE_SF_SF_EEEEZNS1_13binary_searchIS3_S6_NSB_INS9_10device_ptrIS5_EEEESH_SJ_NS1_21lower_bound_search_opENSA_16wrapped_functionINS9_7greaterIS5_EEbEEEE10hipError_tPvRmT1_T2_T3_mmT4_T5_P12ihipStream_tbEUlRKS5_E_EEST_SX_SY_mSZ_S12_bEUlT_E_NS1_11comp_targetILNS1_3genE9ELNS1_11target_archE1100ELNS1_3gpuE3ELNS1_3repE0EEENS1_30default_config_static_selectorELNS0_4arch9wavefront6targetE0EEEvSW_,"axG",@progbits,_ZN7rocprim17ROCPRIM_400000_NS6detail17trampoline_kernelINS0_14default_configENS1_27lower_bound_config_selectorI14custom_numericlEEZNS1_14transform_implILb0ES3_S6_N6thrust23THRUST_200600_302600_NS6detail15normal_iteratorINS9_7pointerIS5_NS9_11hip_rocprim3tagENS9_11use_defaultESF_EEEENSB_INSC_IlSE_SF_SF_EEEEZNS1_13binary_searchIS3_S6_NSB_INS9_10device_ptrIS5_EEEESH_SJ_NS1_21lower_bound_search_opENSA_16wrapped_functionINS9_7greaterIS5_EEbEEEE10hipError_tPvRmT1_T2_T3_mmT4_T5_P12ihipStream_tbEUlRKS5_E_EEST_SX_SY_mSZ_S12_bEUlT_E_NS1_11comp_targetILNS1_3genE9ELNS1_11target_archE1100ELNS1_3gpuE3ELNS1_3repE0EEENS1_30default_config_static_selectorELNS0_4arch9wavefront6targetE0EEEvSW_,comdat
	.protected	_ZN7rocprim17ROCPRIM_400000_NS6detail17trampoline_kernelINS0_14default_configENS1_27lower_bound_config_selectorI14custom_numericlEEZNS1_14transform_implILb0ES3_S6_N6thrust23THRUST_200600_302600_NS6detail15normal_iteratorINS9_7pointerIS5_NS9_11hip_rocprim3tagENS9_11use_defaultESF_EEEENSB_INSC_IlSE_SF_SF_EEEEZNS1_13binary_searchIS3_S6_NSB_INS9_10device_ptrIS5_EEEESH_SJ_NS1_21lower_bound_search_opENSA_16wrapped_functionINS9_7greaterIS5_EEbEEEE10hipError_tPvRmT1_T2_T3_mmT4_T5_P12ihipStream_tbEUlRKS5_E_EEST_SX_SY_mSZ_S12_bEUlT_E_NS1_11comp_targetILNS1_3genE9ELNS1_11target_archE1100ELNS1_3gpuE3ELNS1_3repE0EEENS1_30default_config_static_selectorELNS0_4arch9wavefront6targetE0EEEvSW_ ; -- Begin function _ZN7rocprim17ROCPRIM_400000_NS6detail17trampoline_kernelINS0_14default_configENS1_27lower_bound_config_selectorI14custom_numericlEEZNS1_14transform_implILb0ES3_S6_N6thrust23THRUST_200600_302600_NS6detail15normal_iteratorINS9_7pointerIS5_NS9_11hip_rocprim3tagENS9_11use_defaultESF_EEEENSB_INSC_IlSE_SF_SF_EEEEZNS1_13binary_searchIS3_S6_NSB_INS9_10device_ptrIS5_EEEESH_SJ_NS1_21lower_bound_search_opENSA_16wrapped_functionINS9_7greaterIS5_EEbEEEE10hipError_tPvRmT1_T2_T3_mmT4_T5_P12ihipStream_tbEUlRKS5_E_EEST_SX_SY_mSZ_S12_bEUlT_E_NS1_11comp_targetILNS1_3genE9ELNS1_11target_archE1100ELNS1_3gpuE3ELNS1_3repE0EEENS1_30default_config_static_selectorELNS0_4arch9wavefront6targetE0EEEvSW_
	.globl	_ZN7rocprim17ROCPRIM_400000_NS6detail17trampoline_kernelINS0_14default_configENS1_27lower_bound_config_selectorI14custom_numericlEEZNS1_14transform_implILb0ES3_S6_N6thrust23THRUST_200600_302600_NS6detail15normal_iteratorINS9_7pointerIS5_NS9_11hip_rocprim3tagENS9_11use_defaultESF_EEEENSB_INSC_IlSE_SF_SF_EEEEZNS1_13binary_searchIS3_S6_NSB_INS9_10device_ptrIS5_EEEESH_SJ_NS1_21lower_bound_search_opENSA_16wrapped_functionINS9_7greaterIS5_EEbEEEE10hipError_tPvRmT1_T2_T3_mmT4_T5_P12ihipStream_tbEUlRKS5_E_EEST_SX_SY_mSZ_S12_bEUlT_E_NS1_11comp_targetILNS1_3genE9ELNS1_11target_archE1100ELNS1_3gpuE3ELNS1_3repE0EEENS1_30default_config_static_selectorELNS0_4arch9wavefront6targetE0EEEvSW_
	.p2align	8
	.type	_ZN7rocprim17ROCPRIM_400000_NS6detail17trampoline_kernelINS0_14default_configENS1_27lower_bound_config_selectorI14custom_numericlEEZNS1_14transform_implILb0ES3_S6_N6thrust23THRUST_200600_302600_NS6detail15normal_iteratorINS9_7pointerIS5_NS9_11hip_rocprim3tagENS9_11use_defaultESF_EEEENSB_INSC_IlSE_SF_SF_EEEEZNS1_13binary_searchIS3_S6_NSB_INS9_10device_ptrIS5_EEEESH_SJ_NS1_21lower_bound_search_opENSA_16wrapped_functionINS9_7greaterIS5_EEbEEEE10hipError_tPvRmT1_T2_T3_mmT4_T5_P12ihipStream_tbEUlRKS5_E_EEST_SX_SY_mSZ_S12_bEUlT_E_NS1_11comp_targetILNS1_3genE9ELNS1_11target_archE1100ELNS1_3gpuE3ELNS1_3repE0EEENS1_30default_config_static_selectorELNS0_4arch9wavefront6targetE0EEEvSW_,@function
_ZN7rocprim17ROCPRIM_400000_NS6detail17trampoline_kernelINS0_14default_configENS1_27lower_bound_config_selectorI14custom_numericlEEZNS1_14transform_implILb0ES3_S6_N6thrust23THRUST_200600_302600_NS6detail15normal_iteratorINS9_7pointerIS5_NS9_11hip_rocprim3tagENS9_11use_defaultESF_EEEENSB_INSC_IlSE_SF_SF_EEEEZNS1_13binary_searchIS3_S6_NSB_INS9_10device_ptrIS5_EEEESH_SJ_NS1_21lower_bound_search_opENSA_16wrapped_functionINS9_7greaterIS5_EEbEEEE10hipError_tPvRmT1_T2_T3_mmT4_T5_P12ihipStream_tbEUlRKS5_E_EEST_SX_SY_mSZ_S12_bEUlT_E_NS1_11comp_targetILNS1_3genE9ELNS1_11target_archE1100ELNS1_3gpuE3ELNS1_3repE0EEENS1_30default_config_static_selectorELNS0_4arch9wavefront6targetE0EEEvSW_: ; @_ZN7rocprim17ROCPRIM_400000_NS6detail17trampoline_kernelINS0_14default_configENS1_27lower_bound_config_selectorI14custom_numericlEEZNS1_14transform_implILb0ES3_S6_N6thrust23THRUST_200600_302600_NS6detail15normal_iteratorINS9_7pointerIS5_NS9_11hip_rocprim3tagENS9_11use_defaultESF_EEEENSB_INSC_IlSE_SF_SF_EEEEZNS1_13binary_searchIS3_S6_NSB_INS9_10device_ptrIS5_EEEESH_SJ_NS1_21lower_bound_search_opENSA_16wrapped_functionINS9_7greaterIS5_EEbEEEE10hipError_tPvRmT1_T2_T3_mmT4_T5_P12ihipStream_tbEUlRKS5_E_EEST_SX_SY_mSZ_S12_bEUlT_E_NS1_11comp_targetILNS1_3genE9ELNS1_11target_archE1100ELNS1_3gpuE3ELNS1_3repE0EEENS1_30default_config_static_selectorELNS0_4arch9wavefront6targetE0EEEvSW_
; %bb.0:
	.section	.rodata,"a",@progbits
	.p2align	6, 0x0
	.amdhsa_kernel _ZN7rocprim17ROCPRIM_400000_NS6detail17trampoline_kernelINS0_14default_configENS1_27lower_bound_config_selectorI14custom_numericlEEZNS1_14transform_implILb0ES3_S6_N6thrust23THRUST_200600_302600_NS6detail15normal_iteratorINS9_7pointerIS5_NS9_11hip_rocprim3tagENS9_11use_defaultESF_EEEENSB_INSC_IlSE_SF_SF_EEEEZNS1_13binary_searchIS3_S6_NSB_INS9_10device_ptrIS5_EEEESH_SJ_NS1_21lower_bound_search_opENSA_16wrapped_functionINS9_7greaterIS5_EEbEEEE10hipError_tPvRmT1_T2_T3_mmT4_T5_P12ihipStream_tbEUlRKS5_E_EEST_SX_SY_mSZ_S12_bEUlT_E_NS1_11comp_targetILNS1_3genE9ELNS1_11target_archE1100ELNS1_3gpuE3ELNS1_3repE0EEENS1_30default_config_static_selectorELNS0_4arch9wavefront6targetE0EEEvSW_
		.amdhsa_group_segment_fixed_size 0
		.amdhsa_private_segment_fixed_size 0
		.amdhsa_kernarg_size 56
		.amdhsa_user_sgpr_count 2
		.amdhsa_user_sgpr_dispatch_ptr 0
		.amdhsa_user_sgpr_queue_ptr 0
		.amdhsa_user_sgpr_kernarg_segment_ptr 1
		.amdhsa_user_sgpr_dispatch_id 0
		.amdhsa_user_sgpr_kernarg_preload_length 0
		.amdhsa_user_sgpr_kernarg_preload_offset 0
		.amdhsa_user_sgpr_private_segment_size 0
		.amdhsa_wavefront_size32 1
		.amdhsa_uses_dynamic_stack 0
		.amdhsa_enable_private_segment 0
		.amdhsa_system_sgpr_workgroup_id_x 1
		.amdhsa_system_sgpr_workgroup_id_y 0
		.amdhsa_system_sgpr_workgroup_id_z 0
		.amdhsa_system_sgpr_workgroup_info 0
		.amdhsa_system_vgpr_workitem_id 0
		.amdhsa_next_free_vgpr 1
		.amdhsa_next_free_sgpr 1
		.amdhsa_named_barrier_count 0
		.amdhsa_reserve_vcc 0
		.amdhsa_float_round_mode_32 0
		.amdhsa_float_round_mode_16_64 0
		.amdhsa_float_denorm_mode_32 3
		.amdhsa_float_denorm_mode_16_64 3
		.amdhsa_fp16_overflow 0
		.amdhsa_memory_ordered 1
		.amdhsa_forward_progress 1
		.amdhsa_inst_pref_size 0
		.amdhsa_round_robin_scheduling 0
		.amdhsa_exception_fp_ieee_invalid_op 0
		.amdhsa_exception_fp_denorm_src 0
		.amdhsa_exception_fp_ieee_div_zero 0
		.amdhsa_exception_fp_ieee_overflow 0
		.amdhsa_exception_fp_ieee_underflow 0
		.amdhsa_exception_fp_ieee_inexact 0
		.amdhsa_exception_int_div_zero 0
	.end_amdhsa_kernel
	.section	.text._ZN7rocprim17ROCPRIM_400000_NS6detail17trampoline_kernelINS0_14default_configENS1_27lower_bound_config_selectorI14custom_numericlEEZNS1_14transform_implILb0ES3_S6_N6thrust23THRUST_200600_302600_NS6detail15normal_iteratorINS9_7pointerIS5_NS9_11hip_rocprim3tagENS9_11use_defaultESF_EEEENSB_INSC_IlSE_SF_SF_EEEEZNS1_13binary_searchIS3_S6_NSB_INS9_10device_ptrIS5_EEEESH_SJ_NS1_21lower_bound_search_opENSA_16wrapped_functionINS9_7greaterIS5_EEbEEEE10hipError_tPvRmT1_T2_T3_mmT4_T5_P12ihipStream_tbEUlRKS5_E_EEST_SX_SY_mSZ_S12_bEUlT_E_NS1_11comp_targetILNS1_3genE9ELNS1_11target_archE1100ELNS1_3gpuE3ELNS1_3repE0EEENS1_30default_config_static_selectorELNS0_4arch9wavefront6targetE0EEEvSW_,"axG",@progbits,_ZN7rocprim17ROCPRIM_400000_NS6detail17trampoline_kernelINS0_14default_configENS1_27lower_bound_config_selectorI14custom_numericlEEZNS1_14transform_implILb0ES3_S6_N6thrust23THRUST_200600_302600_NS6detail15normal_iteratorINS9_7pointerIS5_NS9_11hip_rocprim3tagENS9_11use_defaultESF_EEEENSB_INSC_IlSE_SF_SF_EEEEZNS1_13binary_searchIS3_S6_NSB_INS9_10device_ptrIS5_EEEESH_SJ_NS1_21lower_bound_search_opENSA_16wrapped_functionINS9_7greaterIS5_EEbEEEE10hipError_tPvRmT1_T2_T3_mmT4_T5_P12ihipStream_tbEUlRKS5_E_EEST_SX_SY_mSZ_S12_bEUlT_E_NS1_11comp_targetILNS1_3genE9ELNS1_11target_archE1100ELNS1_3gpuE3ELNS1_3repE0EEENS1_30default_config_static_selectorELNS0_4arch9wavefront6targetE0EEEvSW_,comdat
.Lfunc_end55:
	.size	_ZN7rocprim17ROCPRIM_400000_NS6detail17trampoline_kernelINS0_14default_configENS1_27lower_bound_config_selectorI14custom_numericlEEZNS1_14transform_implILb0ES3_S6_N6thrust23THRUST_200600_302600_NS6detail15normal_iteratorINS9_7pointerIS5_NS9_11hip_rocprim3tagENS9_11use_defaultESF_EEEENSB_INSC_IlSE_SF_SF_EEEEZNS1_13binary_searchIS3_S6_NSB_INS9_10device_ptrIS5_EEEESH_SJ_NS1_21lower_bound_search_opENSA_16wrapped_functionINS9_7greaterIS5_EEbEEEE10hipError_tPvRmT1_T2_T3_mmT4_T5_P12ihipStream_tbEUlRKS5_E_EEST_SX_SY_mSZ_S12_bEUlT_E_NS1_11comp_targetILNS1_3genE9ELNS1_11target_archE1100ELNS1_3gpuE3ELNS1_3repE0EEENS1_30default_config_static_selectorELNS0_4arch9wavefront6targetE0EEEvSW_, .Lfunc_end55-_ZN7rocprim17ROCPRIM_400000_NS6detail17trampoline_kernelINS0_14default_configENS1_27lower_bound_config_selectorI14custom_numericlEEZNS1_14transform_implILb0ES3_S6_N6thrust23THRUST_200600_302600_NS6detail15normal_iteratorINS9_7pointerIS5_NS9_11hip_rocprim3tagENS9_11use_defaultESF_EEEENSB_INSC_IlSE_SF_SF_EEEEZNS1_13binary_searchIS3_S6_NSB_INS9_10device_ptrIS5_EEEESH_SJ_NS1_21lower_bound_search_opENSA_16wrapped_functionINS9_7greaterIS5_EEbEEEE10hipError_tPvRmT1_T2_T3_mmT4_T5_P12ihipStream_tbEUlRKS5_E_EEST_SX_SY_mSZ_S12_bEUlT_E_NS1_11comp_targetILNS1_3genE9ELNS1_11target_archE1100ELNS1_3gpuE3ELNS1_3repE0EEENS1_30default_config_static_selectorELNS0_4arch9wavefront6targetE0EEEvSW_
                                        ; -- End function
	.set _ZN7rocprim17ROCPRIM_400000_NS6detail17trampoline_kernelINS0_14default_configENS1_27lower_bound_config_selectorI14custom_numericlEEZNS1_14transform_implILb0ES3_S6_N6thrust23THRUST_200600_302600_NS6detail15normal_iteratorINS9_7pointerIS5_NS9_11hip_rocprim3tagENS9_11use_defaultESF_EEEENSB_INSC_IlSE_SF_SF_EEEEZNS1_13binary_searchIS3_S6_NSB_INS9_10device_ptrIS5_EEEESH_SJ_NS1_21lower_bound_search_opENSA_16wrapped_functionINS9_7greaterIS5_EEbEEEE10hipError_tPvRmT1_T2_T3_mmT4_T5_P12ihipStream_tbEUlRKS5_E_EEST_SX_SY_mSZ_S12_bEUlT_E_NS1_11comp_targetILNS1_3genE9ELNS1_11target_archE1100ELNS1_3gpuE3ELNS1_3repE0EEENS1_30default_config_static_selectorELNS0_4arch9wavefront6targetE0EEEvSW_.num_vgpr, 0
	.set _ZN7rocprim17ROCPRIM_400000_NS6detail17trampoline_kernelINS0_14default_configENS1_27lower_bound_config_selectorI14custom_numericlEEZNS1_14transform_implILb0ES3_S6_N6thrust23THRUST_200600_302600_NS6detail15normal_iteratorINS9_7pointerIS5_NS9_11hip_rocprim3tagENS9_11use_defaultESF_EEEENSB_INSC_IlSE_SF_SF_EEEEZNS1_13binary_searchIS3_S6_NSB_INS9_10device_ptrIS5_EEEESH_SJ_NS1_21lower_bound_search_opENSA_16wrapped_functionINS9_7greaterIS5_EEbEEEE10hipError_tPvRmT1_T2_T3_mmT4_T5_P12ihipStream_tbEUlRKS5_E_EEST_SX_SY_mSZ_S12_bEUlT_E_NS1_11comp_targetILNS1_3genE9ELNS1_11target_archE1100ELNS1_3gpuE3ELNS1_3repE0EEENS1_30default_config_static_selectorELNS0_4arch9wavefront6targetE0EEEvSW_.num_agpr, 0
	.set _ZN7rocprim17ROCPRIM_400000_NS6detail17trampoline_kernelINS0_14default_configENS1_27lower_bound_config_selectorI14custom_numericlEEZNS1_14transform_implILb0ES3_S6_N6thrust23THRUST_200600_302600_NS6detail15normal_iteratorINS9_7pointerIS5_NS9_11hip_rocprim3tagENS9_11use_defaultESF_EEEENSB_INSC_IlSE_SF_SF_EEEEZNS1_13binary_searchIS3_S6_NSB_INS9_10device_ptrIS5_EEEESH_SJ_NS1_21lower_bound_search_opENSA_16wrapped_functionINS9_7greaterIS5_EEbEEEE10hipError_tPvRmT1_T2_T3_mmT4_T5_P12ihipStream_tbEUlRKS5_E_EEST_SX_SY_mSZ_S12_bEUlT_E_NS1_11comp_targetILNS1_3genE9ELNS1_11target_archE1100ELNS1_3gpuE3ELNS1_3repE0EEENS1_30default_config_static_selectorELNS0_4arch9wavefront6targetE0EEEvSW_.numbered_sgpr, 0
	.set _ZN7rocprim17ROCPRIM_400000_NS6detail17trampoline_kernelINS0_14default_configENS1_27lower_bound_config_selectorI14custom_numericlEEZNS1_14transform_implILb0ES3_S6_N6thrust23THRUST_200600_302600_NS6detail15normal_iteratorINS9_7pointerIS5_NS9_11hip_rocprim3tagENS9_11use_defaultESF_EEEENSB_INSC_IlSE_SF_SF_EEEEZNS1_13binary_searchIS3_S6_NSB_INS9_10device_ptrIS5_EEEESH_SJ_NS1_21lower_bound_search_opENSA_16wrapped_functionINS9_7greaterIS5_EEbEEEE10hipError_tPvRmT1_T2_T3_mmT4_T5_P12ihipStream_tbEUlRKS5_E_EEST_SX_SY_mSZ_S12_bEUlT_E_NS1_11comp_targetILNS1_3genE9ELNS1_11target_archE1100ELNS1_3gpuE3ELNS1_3repE0EEENS1_30default_config_static_selectorELNS0_4arch9wavefront6targetE0EEEvSW_.num_named_barrier, 0
	.set _ZN7rocprim17ROCPRIM_400000_NS6detail17trampoline_kernelINS0_14default_configENS1_27lower_bound_config_selectorI14custom_numericlEEZNS1_14transform_implILb0ES3_S6_N6thrust23THRUST_200600_302600_NS6detail15normal_iteratorINS9_7pointerIS5_NS9_11hip_rocprim3tagENS9_11use_defaultESF_EEEENSB_INSC_IlSE_SF_SF_EEEEZNS1_13binary_searchIS3_S6_NSB_INS9_10device_ptrIS5_EEEESH_SJ_NS1_21lower_bound_search_opENSA_16wrapped_functionINS9_7greaterIS5_EEbEEEE10hipError_tPvRmT1_T2_T3_mmT4_T5_P12ihipStream_tbEUlRKS5_E_EEST_SX_SY_mSZ_S12_bEUlT_E_NS1_11comp_targetILNS1_3genE9ELNS1_11target_archE1100ELNS1_3gpuE3ELNS1_3repE0EEENS1_30default_config_static_selectorELNS0_4arch9wavefront6targetE0EEEvSW_.private_seg_size, 0
	.set _ZN7rocprim17ROCPRIM_400000_NS6detail17trampoline_kernelINS0_14default_configENS1_27lower_bound_config_selectorI14custom_numericlEEZNS1_14transform_implILb0ES3_S6_N6thrust23THRUST_200600_302600_NS6detail15normal_iteratorINS9_7pointerIS5_NS9_11hip_rocprim3tagENS9_11use_defaultESF_EEEENSB_INSC_IlSE_SF_SF_EEEEZNS1_13binary_searchIS3_S6_NSB_INS9_10device_ptrIS5_EEEESH_SJ_NS1_21lower_bound_search_opENSA_16wrapped_functionINS9_7greaterIS5_EEbEEEE10hipError_tPvRmT1_T2_T3_mmT4_T5_P12ihipStream_tbEUlRKS5_E_EEST_SX_SY_mSZ_S12_bEUlT_E_NS1_11comp_targetILNS1_3genE9ELNS1_11target_archE1100ELNS1_3gpuE3ELNS1_3repE0EEENS1_30default_config_static_selectorELNS0_4arch9wavefront6targetE0EEEvSW_.uses_vcc, 0
	.set _ZN7rocprim17ROCPRIM_400000_NS6detail17trampoline_kernelINS0_14default_configENS1_27lower_bound_config_selectorI14custom_numericlEEZNS1_14transform_implILb0ES3_S6_N6thrust23THRUST_200600_302600_NS6detail15normal_iteratorINS9_7pointerIS5_NS9_11hip_rocprim3tagENS9_11use_defaultESF_EEEENSB_INSC_IlSE_SF_SF_EEEEZNS1_13binary_searchIS3_S6_NSB_INS9_10device_ptrIS5_EEEESH_SJ_NS1_21lower_bound_search_opENSA_16wrapped_functionINS9_7greaterIS5_EEbEEEE10hipError_tPvRmT1_T2_T3_mmT4_T5_P12ihipStream_tbEUlRKS5_E_EEST_SX_SY_mSZ_S12_bEUlT_E_NS1_11comp_targetILNS1_3genE9ELNS1_11target_archE1100ELNS1_3gpuE3ELNS1_3repE0EEENS1_30default_config_static_selectorELNS0_4arch9wavefront6targetE0EEEvSW_.uses_flat_scratch, 0
	.set _ZN7rocprim17ROCPRIM_400000_NS6detail17trampoline_kernelINS0_14default_configENS1_27lower_bound_config_selectorI14custom_numericlEEZNS1_14transform_implILb0ES3_S6_N6thrust23THRUST_200600_302600_NS6detail15normal_iteratorINS9_7pointerIS5_NS9_11hip_rocprim3tagENS9_11use_defaultESF_EEEENSB_INSC_IlSE_SF_SF_EEEEZNS1_13binary_searchIS3_S6_NSB_INS9_10device_ptrIS5_EEEESH_SJ_NS1_21lower_bound_search_opENSA_16wrapped_functionINS9_7greaterIS5_EEbEEEE10hipError_tPvRmT1_T2_T3_mmT4_T5_P12ihipStream_tbEUlRKS5_E_EEST_SX_SY_mSZ_S12_bEUlT_E_NS1_11comp_targetILNS1_3genE9ELNS1_11target_archE1100ELNS1_3gpuE3ELNS1_3repE0EEENS1_30default_config_static_selectorELNS0_4arch9wavefront6targetE0EEEvSW_.has_dyn_sized_stack, 0
	.set _ZN7rocprim17ROCPRIM_400000_NS6detail17trampoline_kernelINS0_14default_configENS1_27lower_bound_config_selectorI14custom_numericlEEZNS1_14transform_implILb0ES3_S6_N6thrust23THRUST_200600_302600_NS6detail15normal_iteratorINS9_7pointerIS5_NS9_11hip_rocprim3tagENS9_11use_defaultESF_EEEENSB_INSC_IlSE_SF_SF_EEEEZNS1_13binary_searchIS3_S6_NSB_INS9_10device_ptrIS5_EEEESH_SJ_NS1_21lower_bound_search_opENSA_16wrapped_functionINS9_7greaterIS5_EEbEEEE10hipError_tPvRmT1_T2_T3_mmT4_T5_P12ihipStream_tbEUlRKS5_E_EEST_SX_SY_mSZ_S12_bEUlT_E_NS1_11comp_targetILNS1_3genE9ELNS1_11target_archE1100ELNS1_3gpuE3ELNS1_3repE0EEENS1_30default_config_static_selectorELNS0_4arch9wavefront6targetE0EEEvSW_.has_recursion, 0
	.set _ZN7rocprim17ROCPRIM_400000_NS6detail17trampoline_kernelINS0_14default_configENS1_27lower_bound_config_selectorI14custom_numericlEEZNS1_14transform_implILb0ES3_S6_N6thrust23THRUST_200600_302600_NS6detail15normal_iteratorINS9_7pointerIS5_NS9_11hip_rocprim3tagENS9_11use_defaultESF_EEEENSB_INSC_IlSE_SF_SF_EEEEZNS1_13binary_searchIS3_S6_NSB_INS9_10device_ptrIS5_EEEESH_SJ_NS1_21lower_bound_search_opENSA_16wrapped_functionINS9_7greaterIS5_EEbEEEE10hipError_tPvRmT1_T2_T3_mmT4_T5_P12ihipStream_tbEUlRKS5_E_EEST_SX_SY_mSZ_S12_bEUlT_E_NS1_11comp_targetILNS1_3genE9ELNS1_11target_archE1100ELNS1_3gpuE3ELNS1_3repE0EEENS1_30default_config_static_selectorELNS0_4arch9wavefront6targetE0EEEvSW_.has_indirect_call, 0
	.section	.AMDGPU.csdata,"",@progbits
; Kernel info:
; codeLenInByte = 0
; TotalNumSgprs: 0
; NumVgprs: 0
; ScratchSize: 0
; MemoryBound: 0
; FloatMode: 240
; IeeeMode: 1
; LDSByteSize: 0 bytes/workgroup (compile time only)
; SGPRBlocks: 0
; VGPRBlocks: 0
; NumSGPRsForWavesPerEU: 1
; NumVGPRsForWavesPerEU: 1
; NamedBarCnt: 0
; Occupancy: 16
; WaveLimiterHint : 0
; COMPUTE_PGM_RSRC2:SCRATCH_EN: 0
; COMPUTE_PGM_RSRC2:USER_SGPR: 2
; COMPUTE_PGM_RSRC2:TRAP_HANDLER: 0
; COMPUTE_PGM_RSRC2:TGID_X_EN: 1
; COMPUTE_PGM_RSRC2:TGID_Y_EN: 0
; COMPUTE_PGM_RSRC2:TGID_Z_EN: 0
; COMPUTE_PGM_RSRC2:TIDIG_COMP_CNT: 0
	.section	.text._ZN7rocprim17ROCPRIM_400000_NS6detail17trampoline_kernelINS0_14default_configENS1_27lower_bound_config_selectorI14custom_numericlEEZNS1_14transform_implILb0ES3_S6_N6thrust23THRUST_200600_302600_NS6detail15normal_iteratorINS9_7pointerIS5_NS9_11hip_rocprim3tagENS9_11use_defaultESF_EEEENSB_INSC_IlSE_SF_SF_EEEEZNS1_13binary_searchIS3_S6_NSB_INS9_10device_ptrIS5_EEEESH_SJ_NS1_21lower_bound_search_opENSA_16wrapped_functionINS9_7greaterIS5_EEbEEEE10hipError_tPvRmT1_T2_T3_mmT4_T5_P12ihipStream_tbEUlRKS5_E_EEST_SX_SY_mSZ_S12_bEUlT_E_NS1_11comp_targetILNS1_3genE8ELNS1_11target_archE1030ELNS1_3gpuE2ELNS1_3repE0EEENS1_30default_config_static_selectorELNS0_4arch9wavefront6targetE0EEEvSW_,"axG",@progbits,_ZN7rocprim17ROCPRIM_400000_NS6detail17trampoline_kernelINS0_14default_configENS1_27lower_bound_config_selectorI14custom_numericlEEZNS1_14transform_implILb0ES3_S6_N6thrust23THRUST_200600_302600_NS6detail15normal_iteratorINS9_7pointerIS5_NS9_11hip_rocprim3tagENS9_11use_defaultESF_EEEENSB_INSC_IlSE_SF_SF_EEEEZNS1_13binary_searchIS3_S6_NSB_INS9_10device_ptrIS5_EEEESH_SJ_NS1_21lower_bound_search_opENSA_16wrapped_functionINS9_7greaterIS5_EEbEEEE10hipError_tPvRmT1_T2_T3_mmT4_T5_P12ihipStream_tbEUlRKS5_E_EEST_SX_SY_mSZ_S12_bEUlT_E_NS1_11comp_targetILNS1_3genE8ELNS1_11target_archE1030ELNS1_3gpuE2ELNS1_3repE0EEENS1_30default_config_static_selectorELNS0_4arch9wavefront6targetE0EEEvSW_,comdat
	.protected	_ZN7rocprim17ROCPRIM_400000_NS6detail17trampoline_kernelINS0_14default_configENS1_27lower_bound_config_selectorI14custom_numericlEEZNS1_14transform_implILb0ES3_S6_N6thrust23THRUST_200600_302600_NS6detail15normal_iteratorINS9_7pointerIS5_NS9_11hip_rocprim3tagENS9_11use_defaultESF_EEEENSB_INSC_IlSE_SF_SF_EEEEZNS1_13binary_searchIS3_S6_NSB_INS9_10device_ptrIS5_EEEESH_SJ_NS1_21lower_bound_search_opENSA_16wrapped_functionINS9_7greaterIS5_EEbEEEE10hipError_tPvRmT1_T2_T3_mmT4_T5_P12ihipStream_tbEUlRKS5_E_EEST_SX_SY_mSZ_S12_bEUlT_E_NS1_11comp_targetILNS1_3genE8ELNS1_11target_archE1030ELNS1_3gpuE2ELNS1_3repE0EEENS1_30default_config_static_selectorELNS0_4arch9wavefront6targetE0EEEvSW_ ; -- Begin function _ZN7rocprim17ROCPRIM_400000_NS6detail17trampoline_kernelINS0_14default_configENS1_27lower_bound_config_selectorI14custom_numericlEEZNS1_14transform_implILb0ES3_S6_N6thrust23THRUST_200600_302600_NS6detail15normal_iteratorINS9_7pointerIS5_NS9_11hip_rocprim3tagENS9_11use_defaultESF_EEEENSB_INSC_IlSE_SF_SF_EEEEZNS1_13binary_searchIS3_S6_NSB_INS9_10device_ptrIS5_EEEESH_SJ_NS1_21lower_bound_search_opENSA_16wrapped_functionINS9_7greaterIS5_EEbEEEE10hipError_tPvRmT1_T2_T3_mmT4_T5_P12ihipStream_tbEUlRKS5_E_EEST_SX_SY_mSZ_S12_bEUlT_E_NS1_11comp_targetILNS1_3genE8ELNS1_11target_archE1030ELNS1_3gpuE2ELNS1_3repE0EEENS1_30default_config_static_selectorELNS0_4arch9wavefront6targetE0EEEvSW_
	.globl	_ZN7rocprim17ROCPRIM_400000_NS6detail17trampoline_kernelINS0_14default_configENS1_27lower_bound_config_selectorI14custom_numericlEEZNS1_14transform_implILb0ES3_S6_N6thrust23THRUST_200600_302600_NS6detail15normal_iteratorINS9_7pointerIS5_NS9_11hip_rocprim3tagENS9_11use_defaultESF_EEEENSB_INSC_IlSE_SF_SF_EEEEZNS1_13binary_searchIS3_S6_NSB_INS9_10device_ptrIS5_EEEESH_SJ_NS1_21lower_bound_search_opENSA_16wrapped_functionINS9_7greaterIS5_EEbEEEE10hipError_tPvRmT1_T2_T3_mmT4_T5_P12ihipStream_tbEUlRKS5_E_EEST_SX_SY_mSZ_S12_bEUlT_E_NS1_11comp_targetILNS1_3genE8ELNS1_11target_archE1030ELNS1_3gpuE2ELNS1_3repE0EEENS1_30default_config_static_selectorELNS0_4arch9wavefront6targetE0EEEvSW_
	.p2align	8
	.type	_ZN7rocprim17ROCPRIM_400000_NS6detail17trampoline_kernelINS0_14default_configENS1_27lower_bound_config_selectorI14custom_numericlEEZNS1_14transform_implILb0ES3_S6_N6thrust23THRUST_200600_302600_NS6detail15normal_iteratorINS9_7pointerIS5_NS9_11hip_rocprim3tagENS9_11use_defaultESF_EEEENSB_INSC_IlSE_SF_SF_EEEEZNS1_13binary_searchIS3_S6_NSB_INS9_10device_ptrIS5_EEEESH_SJ_NS1_21lower_bound_search_opENSA_16wrapped_functionINS9_7greaterIS5_EEbEEEE10hipError_tPvRmT1_T2_T3_mmT4_T5_P12ihipStream_tbEUlRKS5_E_EEST_SX_SY_mSZ_S12_bEUlT_E_NS1_11comp_targetILNS1_3genE8ELNS1_11target_archE1030ELNS1_3gpuE2ELNS1_3repE0EEENS1_30default_config_static_selectorELNS0_4arch9wavefront6targetE0EEEvSW_,@function
_ZN7rocprim17ROCPRIM_400000_NS6detail17trampoline_kernelINS0_14default_configENS1_27lower_bound_config_selectorI14custom_numericlEEZNS1_14transform_implILb0ES3_S6_N6thrust23THRUST_200600_302600_NS6detail15normal_iteratorINS9_7pointerIS5_NS9_11hip_rocprim3tagENS9_11use_defaultESF_EEEENSB_INSC_IlSE_SF_SF_EEEEZNS1_13binary_searchIS3_S6_NSB_INS9_10device_ptrIS5_EEEESH_SJ_NS1_21lower_bound_search_opENSA_16wrapped_functionINS9_7greaterIS5_EEbEEEE10hipError_tPvRmT1_T2_T3_mmT4_T5_P12ihipStream_tbEUlRKS5_E_EEST_SX_SY_mSZ_S12_bEUlT_E_NS1_11comp_targetILNS1_3genE8ELNS1_11target_archE1030ELNS1_3gpuE2ELNS1_3repE0EEENS1_30default_config_static_selectorELNS0_4arch9wavefront6targetE0EEEvSW_: ; @_ZN7rocprim17ROCPRIM_400000_NS6detail17trampoline_kernelINS0_14default_configENS1_27lower_bound_config_selectorI14custom_numericlEEZNS1_14transform_implILb0ES3_S6_N6thrust23THRUST_200600_302600_NS6detail15normal_iteratorINS9_7pointerIS5_NS9_11hip_rocprim3tagENS9_11use_defaultESF_EEEENSB_INSC_IlSE_SF_SF_EEEEZNS1_13binary_searchIS3_S6_NSB_INS9_10device_ptrIS5_EEEESH_SJ_NS1_21lower_bound_search_opENSA_16wrapped_functionINS9_7greaterIS5_EEbEEEE10hipError_tPvRmT1_T2_T3_mmT4_T5_P12ihipStream_tbEUlRKS5_E_EEST_SX_SY_mSZ_S12_bEUlT_E_NS1_11comp_targetILNS1_3genE8ELNS1_11target_archE1030ELNS1_3gpuE2ELNS1_3repE0EEENS1_30default_config_static_selectorELNS0_4arch9wavefront6targetE0EEEvSW_
; %bb.0:
	.section	.rodata,"a",@progbits
	.p2align	6, 0x0
	.amdhsa_kernel _ZN7rocprim17ROCPRIM_400000_NS6detail17trampoline_kernelINS0_14default_configENS1_27lower_bound_config_selectorI14custom_numericlEEZNS1_14transform_implILb0ES3_S6_N6thrust23THRUST_200600_302600_NS6detail15normal_iteratorINS9_7pointerIS5_NS9_11hip_rocprim3tagENS9_11use_defaultESF_EEEENSB_INSC_IlSE_SF_SF_EEEEZNS1_13binary_searchIS3_S6_NSB_INS9_10device_ptrIS5_EEEESH_SJ_NS1_21lower_bound_search_opENSA_16wrapped_functionINS9_7greaterIS5_EEbEEEE10hipError_tPvRmT1_T2_T3_mmT4_T5_P12ihipStream_tbEUlRKS5_E_EEST_SX_SY_mSZ_S12_bEUlT_E_NS1_11comp_targetILNS1_3genE8ELNS1_11target_archE1030ELNS1_3gpuE2ELNS1_3repE0EEENS1_30default_config_static_selectorELNS0_4arch9wavefront6targetE0EEEvSW_
		.amdhsa_group_segment_fixed_size 0
		.amdhsa_private_segment_fixed_size 0
		.amdhsa_kernarg_size 56
		.amdhsa_user_sgpr_count 2
		.amdhsa_user_sgpr_dispatch_ptr 0
		.amdhsa_user_sgpr_queue_ptr 0
		.amdhsa_user_sgpr_kernarg_segment_ptr 1
		.amdhsa_user_sgpr_dispatch_id 0
		.amdhsa_user_sgpr_kernarg_preload_length 0
		.amdhsa_user_sgpr_kernarg_preload_offset 0
		.amdhsa_user_sgpr_private_segment_size 0
		.amdhsa_wavefront_size32 1
		.amdhsa_uses_dynamic_stack 0
		.amdhsa_enable_private_segment 0
		.amdhsa_system_sgpr_workgroup_id_x 1
		.amdhsa_system_sgpr_workgroup_id_y 0
		.amdhsa_system_sgpr_workgroup_id_z 0
		.amdhsa_system_sgpr_workgroup_info 0
		.amdhsa_system_vgpr_workitem_id 0
		.amdhsa_next_free_vgpr 1
		.amdhsa_next_free_sgpr 1
		.amdhsa_named_barrier_count 0
		.amdhsa_reserve_vcc 0
		.amdhsa_float_round_mode_32 0
		.amdhsa_float_round_mode_16_64 0
		.amdhsa_float_denorm_mode_32 3
		.amdhsa_float_denorm_mode_16_64 3
		.amdhsa_fp16_overflow 0
		.amdhsa_memory_ordered 1
		.amdhsa_forward_progress 1
		.amdhsa_inst_pref_size 0
		.amdhsa_round_robin_scheduling 0
		.amdhsa_exception_fp_ieee_invalid_op 0
		.amdhsa_exception_fp_denorm_src 0
		.amdhsa_exception_fp_ieee_div_zero 0
		.amdhsa_exception_fp_ieee_overflow 0
		.amdhsa_exception_fp_ieee_underflow 0
		.amdhsa_exception_fp_ieee_inexact 0
		.amdhsa_exception_int_div_zero 0
	.end_amdhsa_kernel
	.section	.text._ZN7rocprim17ROCPRIM_400000_NS6detail17trampoline_kernelINS0_14default_configENS1_27lower_bound_config_selectorI14custom_numericlEEZNS1_14transform_implILb0ES3_S6_N6thrust23THRUST_200600_302600_NS6detail15normal_iteratorINS9_7pointerIS5_NS9_11hip_rocprim3tagENS9_11use_defaultESF_EEEENSB_INSC_IlSE_SF_SF_EEEEZNS1_13binary_searchIS3_S6_NSB_INS9_10device_ptrIS5_EEEESH_SJ_NS1_21lower_bound_search_opENSA_16wrapped_functionINS9_7greaterIS5_EEbEEEE10hipError_tPvRmT1_T2_T3_mmT4_T5_P12ihipStream_tbEUlRKS5_E_EEST_SX_SY_mSZ_S12_bEUlT_E_NS1_11comp_targetILNS1_3genE8ELNS1_11target_archE1030ELNS1_3gpuE2ELNS1_3repE0EEENS1_30default_config_static_selectorELNS0_4arch9wavefront6targetE0EEEvSW_,"axG",@progbits,_ZN7rocprim17ROCPRIM_400000_NS6detail17trampoline_kernelINS0_14default_configENS1_27lower_bound_config_selectorI14custom_numericlEEZNS1_14transform_implILb0ES3_S6_N6thrust23THRUST_200600_302600_NS6detail15normal_iteratorINS9_7pointerIS5_NS9_11hip_rocprim3tagENS9_11use_defaultESF_EEEENSB_INSC_IlSE_SF_SF_EEEEZNS1_13binary_searchIS3_S6_NSB_INS9_10device_ptrIS5_EEEESH_SJ_NS1_21lower_bound_search_opENSA_16wrapped_functionINS9_7greaterIS5_EEbEEEE10hipError_tPvRmT1_T2_T3_mmT4_T5_P12ihipStream_tbEUlRKS5_E_EEST_SX_SY_mSZ_S12_bEUlT_E_NS1_11comp_targetILNS1_3genE8ELNS1_11target_archE1030ELNS1_3gpuE2ELNS1_3repE0EEENS1_30default_config_static_selectorELNS0_4arch9wavefront6targetE0EEEvSW_,comdat
.Lfunc_end56:
	.size	_ZN7rocprim17ROCPRIM_400000_NS6detail17trampoline_kernelINS0_14default_configENS1_27lower_bound_config_selectorI14custom_numericlEEZNS1_14transform_implILb0ES3_S6_N6thrust23THRUST_200600_302600_NS6detail15normal_iteratorINS9_7pointerIS5_NS9_11hip_rocprim3tagENS9_11use_defaultESF_EEEENSB_INSC_IlSE_SF_SF_EEEEZNS1_13binary_searchIS3_S6_NSB_INS9_10device_ptrIS5_EEEESH_SJ_NS1_21lower_bound_search_opENSA_16wrapped_functionINS9_7greaterIS5_EEbEEEE10hipError_tPvRmT1_T2_T3_mmT4_T5_P12ihipStream_tbEUlRKS5_E_EEST_SX_SY_mSZ_S12_bEUlT_E_NS1_11comp_targetILNS1_3genE8ELNS1_11target_archE1030ELNS1_3gpuE2ELNS1_3repE0EEENS1_30default_config_static_selectorELNS0_4arch9wavefront6targetE0EEEvSW_, .Lfunc_end56-_ZN7rocprim17ROCPRIM_400000_NS6detail17trampoline_kernelINS0_14default_configENS1_27lower_bound_config_selectorI14custom_numericlEEZNS1_14transform_implILb0ES3_S6_N6thrust23THRUST_200600_302600_NS6detail15normal_iteratorINS9_7pointerIS5_NS9_11hip_rocprim3tagENS9_11use_defaultESF_EEEENSB_INSC_IlSE_SF_SF_EEEEZNS1_13binary_searchIS3_S6_NSB_INS9_10device_ptrIS5_EEEESH_SJ_NS1_21lower_bound_search_opENSA_16wrapped_functionINS9_7greaterIS5_EEbEEEE10hipError_tPvRmT1_T2_T3_mmT4_T5_P12ihipStream_tbEUlRKS5_E_EEST_SX_SY_mSZ_S12_bEUlT_E_NS1_11comp_targetILNS1_3genE8ELNS1_11target_archE1030ELNS1_3gpuE2ELNS1_3repE0EEENS1_30default_config_static_selectorELNS0_4arch9wavefront6targetE0EEEvSW_
                                        ; -- End function
	.set _ZN7rocprim17ROCPRIM_400000_NS6detail17trampoline_kernelINS0_14default_configENS1_27lower_bound_config_selectorI14custom_numericlEEZNS1_14transform_implILb0ES3_S6_N6thrust23THRUST_200600_302600_NS6detail15normal_iteratorINS9_7pointerIS5_NS9_11hip_rocprim3tagENS9_11use_defaultESF_EEEENSB_INSC_IlSE_SF_SF_EEEEZNS1_13binary_searchIS3_S6_NSB_INS9_10device_ptrIS5_EEEESH_SJ_NS1_21lower_bound_search_opENSA_16wrapped_functionINS9_7greaterIS5_EEbEEEE10hipError_tPvRmT1_T2_T3_mmT4_T5_P12ihipStream_tbEUlRKS5_E_EEST_SX_SY_mSZ_S12_bEUlT_E_NS1_11comp_targetILNS1_3genE8ELNS1_11target_archE1030ELNS1_3gpuE2ELNS1_3repE0EEENS1_30default_config_static_selectorELNS0_4arch9wavefront6targetE0EEEvSW_.num_vgpr, 0
	.set _ZN7rocprim17ROCPRIM_400000_NS6detail17trampoline_kernelINS0_14default_configENS1_27lower_bound_config_selectorI14custom_numericlEEZNS1_14transform_implILb0ES3_S6_N6thrust23THRUST_200600_302600_NS6detail15normal_iteratorINS9_7pointerIS5_NS9_11hip_rocprim3tagENS9_11use_defaultESF_EEEENSB_INSC_IlSE_SF_SF_EEEEZNS1_13binary_searchIS3_S6_NSB_INS9_10device_ptrIS5_EEEESH_SJ_NS1_21lower_bound_search_opENSA_16wrapped_functionINS9_7greaterIS5_EEbEEEE10hipError_tPvRmT1_T2_T3_mmT4_T5_P12ihipStream_tbEUlRKS5_E_EEST_SX_SY_mSZ_S12_bEUlT_E_NS1_11comp_targetILNS1_3genE8ELNS1_11target_archE1030ELNS1_3gpuE2ELNS1_3repE0EEENS1_30default_config_static_selectorELNS0_4arch9wavefront6targetE0EEEvSW_.num_agpr, 0
	.set _ZN7rocprim17ROCPRIM_400000_NS6detail17trampoline_kernelINS0_14default_configENS1_27lower_bound_config_selectorI14custom_numericlEEZNS1_14transform_implILb0ES3_S6_N6thrust23THRUST_200600_302600_NS6detail15normal_iteratorINS9_7pointerIS5_NS9_11hip_rocprim3tagENS9_11use_defaultESF_EEEENSB_INSC_IlSE_SF_SF_EEEEZNS1_13binary_searchIS3_S6_NSB_INS9_10device_ptrIS5_EEEESH_SJ_NS1_21lower_bound_search_opENSA_16wrapped_functionINS9_7greaterIS5_EEbEEEE10hipError_tPvRmT1_T2_T3_mmT4_T5_P12ihipStream_tbEUlRKS5_E_EEST_SX_SY_mSZ_S12_bEUlT_E_NS1_11comp_targetILNS1_3genE8ELNS1_11target_archE1030ELNS1_3gpuE2ELNS1_3repE0EEENS1_30default_config_static_selectorELNS0_4arch9wavefront6targetE0EEEvSW_.numbered_sgpr, 0
	.set _ZN7rocprim17ROCPRIM_400000_NS6detail17trampoline_kernelINS0_14default_configENS1_27lower_bound_config_selectorI14custom_numericlEEZNS1_14transform_implILb0ES3_S6_N6thrust23THRUST_200600_302600_NS6detail15normal_iteratorINS9_7pointerIS5_NS9_11hip_rocprim3tagENS9_11use_defaultESF_EEEENSB_INSC_IlSE_SF_SF_EEEEZNS1_13binary_searchIS3_S6_NSB_INS9_10device_ptrIS5_EEEESH_SJ_NS1_21lower_bound_search_opENSA_16wrapped_functionINS9_7greaterIS5_EEbEEEE10hipError_tPvRmT1_T2_T3_mmT4_T5_P12ihipStream_tbEUlRKS5_E_EEST_SX_SY_mSZ_S12_bEUlT_E_NS1_11comp_targetILNS1_3genE8ELNS1_11target_archE1030ELNS1_3gpuE2ELNS1_3repE0EEENS1_30default_config_static_selectorELNS0_4arch9wavefront6targetE0EEEvSW_.num_named_barrier, 0
	.set _ZN7rocprim17ROCPRIM_400000_NS6detail17trampoline_kernelINS0_14default_configENS1_27lower_bound_config_selectorI14custom_numericlEEZNS1_14transform_implILb0ES3_S6_N6thrust23THRUST_200600_302600_NS6detail15normal_iteratorINS9_7pointerIS5_NS9_11hip_rocprim3tagENS9_11use_defaultESF_EEEENSB_INSC_IlSE_SF_SF_EEEEZNS1_13binary_searchIS3_S6_NSB_INS9_10device_ptrIS5_EEEESH_SJ_NS1_21lower_bound_search_opENSA_16wrapped_functionINS9_7greaterIS5_EEbEEEE10hipError_tPvRmT1_T2_T3_mmT4_T5_P12ihipStream_tbEUlRKS5_E_EEST_SX_SY_mSZ_S12_bEUlT_E_NS1_11comp_targetILNS1_3genE8ELNS1_11target_archE1030ELNS1_3gpuE2ELNS1_3repE0EEENS1_30default_config_static_selectorELNS0_4arch9wavefront6targetE0EEEvSW_.private_seg_size, 0
	.set _ZN7rocprim17ROCPRIM_400000_NS6detail17trampoline_kernelINS0_14default_configENS1_27lower_bound_config_selectorI14custom_numericlEEZNS1_14transform_implILb0ES3_S6_N6thrust23THRUST_200600_302600_NS6detail15normal_iteratorINS9_7pointerIS5_NS9_11hip_rocprim3tagENS9_11use_defaultESF_EEEENSB_INSC_IlSE_SF_SF_EEEEZNS1_13binary_searchIS3_S6_NSB_INS9_10device_ptrIS5_EEEESH_SJ_NS1_21lower_bound_search_opENSA_16wrapped_functionINS9_7greaterIS5_EEbEEEE10hipError_tPvRmT1_T2_T3_mmT4_T5_P12ihipStream_tbEUlRKS5_E_EEST_SX_SY_mSZ_S12_bEUlT_E_NS1_11comp_targetILNS1_3genE8ELNS1_11target_archE1030ELNS1_3gpuE2ELNS1_3repE0EEENS1_30default_config_static_selectorELNS0_4arch9wavefront6targetE0EEEvSW_.uses_vcc, 0
	.set _ZN7rocprim17ROCPRIM_400000_NS6detail17trampoline_kernelINS0_14default_configENS1_27lower_bound_config_selectorI14custom_numericlEEZNS1_14transform_implILb0ES3_S6_N6thrust23THRUST_200600_302600_NS6detail15normal_iteratorINS9_7pointerIS5_NS9_11hip_rocprim3tagENS9_11use_defaultESF_EEEENSB_INSC_IlSE_SF_SF_EEEEZNS1_13binary_searchIS3_S6_NSB_INS9_10device_ptrIS5_EEEESH_SJ_NS1_21lower_bound_search_opENSA_16wrapped_functionINS9_7greaterIS5_EEbEEEE10hipError_tPvRmT1_T2_T3_mmT4_T5_P12ihipStream_tbEUlRKS5_E_EEST_SX_SY_mSZ_S12_bEUlT_E_NS1_11comp_targetILNS1_3genE8ELNS1_11target_archE1030ELNS1_3gpuE2ELNS1_3repE0EEENS1_30default_config_static_selectorELNS0_4arch9wavefront6targetE0EEEvSW_.uses_flat_scratch, 0
	.set _ZN7rocprim17ROCPRIM_400000_NS6detail17trampoline_kernelINS0_14default_configENS1_27lower_bound_config_selectorI14custom_numericlEEZNS1_14transform_implILb0ES3_S6_N6thrust23THRUST_200600_302600_NS6detail15normal_iteratorINS9_7pointerIS5_NS9_11hip_rocprim3tagENS9_11use_defaultESF_EEEENSB_INSC_IlSE_SF_SF_EEEEZNS1_13binary_searchIS3_S6_NSB_INS9_10device_ptrIS5_EEEESH_SJ_NS1_21lower_bound_search_opENSA_16wrapped_functionINS9_7greaterIS5_EEbEEEE10hipError_tPvRmT1_T2_T3_mmT4_T5_P12ihipStream_tbEUlRKS5_E_EEST_SX_SY_mSZ_S12_bEUlT_E_NS1_11comp_targetILNS1_3genE8ELNS1_11target_archE1030ELNS1_3gpuE2ELNS1_3repE0EEENS1_30default_config_static_selectorELNS0_4arch9wavefront6targetE0EEEvSW_.has_dyn_sized_stack, 0
	.set _ZN7rocprim17ROCPRIM_400000_NS6detail17trampoline_kernelINS0_14default_configENS1_27lower_bound_config_selectorI14custom_numericlEEZNS1_14transform_implILb0ES3_S6_N6thrust23THRUST_200600_302600_NS6detail15normal_iteratorINS9_7pointerIS5_NS9_11hip_rocprim3tagENS9_11use_defaultESF_EEEENSB_INSC_IlSE_SF_SF_EEEEZNS1_13binary_searchIS3_S6_NSB_INS9_10device_ptrIS5_EEEESH_SJ_NS1_21lower_bound_search_opENSA_16wrapped_functionINS9_7greaterIS5_EEbEEEE10hipError_tPvRmT1_T2_T3_mmT4_T5_P12ihipStream_tbEUlRKS5_E_EEST_SX_SY_mSZ_S12_bEUlT_E_NS1_11comp_targetILNS1_3genE8ELNS1_11target_archE1030ELNS1_3gpuE2ELNS1_3repE0EEENS1_30default_config_static_selectorELNS0_4arch9wavefront6targetE0EEEvSW_.has_recursion, 0
	.set _ZN7rocprim17ROCPRIM_400000_NS6detail17trampoline_kernelINS0_14default_configENS1_27lower_bound_config_selectorI14custom_numericlEEZNS1_14transform_implILb0ES3_S6_N6thrust23THRUST_200600_302600_NS6detail15normal_iteratorINS9_7pointerIS5_NS9_11hip_rocprim3tagENS9_11use_defaultESF_EEEENSB_INSC_IlSE_SF_SF_EEEEZNS1_13binary_searchIS3_S6_NSB_INS9_10device_ptrIS5_EEEESH_SJ_NS1_21lower_bound_search_opENSA_16wrapped_functionINS9_7greaterIS5_EEbEEEE10hipError_tPvRmT1_T2_T3_mmT4_T5_P12ihipStream_tbEUlRKS5_E_EEST_SX_SY_mSZ_S12_bEUlT_E_NS1_11comp_targetILNS1_3genE8ELNS1_11target_archE1030ELNS1_3gpuE2ELNS1_3repE0EEENS1_30default_config_static_selectorELNS0_4arch9wavefront6targetE0EEEvSW_.has_indirect_call, 0
	.section	.AMDGPU.csdata,"",@progbits
; Kernel info:
; codeLenInByte = 0
; TotalNumSgprs: 0
; NumVgprs: 0
; ScratchSize: 0
; MemoryBound: 0
; FloatMode: 240
; IeeeMode: 1
; LDSByteSize: 0 bytes/workgroup (compile time only)
; SGPRBlocks: 0
; VGPRBlocks: 0
; NumSGPRsForWavesPerEU: 1
; NumVGPRsForWavesPerEU: 1
; NamedBarCnt: 0
; Occupancy: 16
; WaveLimiterHint : 0
; COMPUTE_PGM_RSRC2:SCRATCH_EN: 0
; COMPUTE_PGM_RSRC2:USER_SGPR: 2
; COMPUTE_PGM_RSRC2:TRAP_HANDLER: 0
; COMPUTE_PGM_RSRC2:TGID_X_EN: 1
; COMPUTE_PGM_RSRC2:TGID_Y_EN: 0
; COMPUTE_PGM_RSRC2:TGID_Z_EN: 0
; COMPUTE_PGM_RSRC2:TIDIG_COMP_CNT: 0
	.section	.text._ZN6thrust23THRUST_200600_302600_NS11hip_rocprim14__parallel_for6kernelILj256ENS1_20__uninitialized_fill7functorINS0_7pointerIiNS1_3tagENS0_16tagged_referenceIiS7_EENS0_11use_defaultEEEiEEmLj1EEEvT0_T1_SE_,"axG",@progbits,_ZN6thrust23THRUST_200600_302600_NS11hip_rocprim14__parallel_for6kernelILj256ENS1_20__uninitialized_fill7functorINS0_7pointerIiNS1_3tagENS0_16tagged_referenceIiS7_EENS0_11use_defaultEEEiEEmLj1EEEvT0_T1_SE_,comdat
	.protected	_ZN6thrust23THRUST_200600_302600_NS11hip_rocprim14__parallel_for6kernelILj256ENS1_20__uninitialized_fill7functorINS0_7pointerIiNS1_3tagENS0_16tagged_referenceIiS7_EENS0_11use_defaultEEEiEEmLj1EEEvT0_T1_SE_ ; -- Begin function _ZN6thrust23THRUST_200600_302600_NS11hip_rocprim14__parallel_for6kernelILj256ENS1_20__uninitialized_fill7functorINS0_7pointerIiNS1_3tagENS0_16tagged_referenceIiS7_EENS0_11use_defaultEEEiEEmLj1EEEvT0_T1_SE_
	.globl	_ZN6thrust23THRUST_200600_302600_NS11hip_rocprim14__parallel_for6kernelILj256ENS1_20__uninitialized_fill7functorINS0_7pointerIiNS1_3tagENS0_16tagged_referenceIiS7_EENS0_11use_defaultEEEiEEmLj1EEEvT0_T1_SE_
	.p2align	8
	.type	_ZN6thrust23THRUST_200600_302600_NS11hip_rocprim14__parallel_for6kernelILj256ENS1_20__uninitialized_fill7functorINS0_7pointerIiNS1_3tagENS0_16tagged_referenceIiS7_EENS0_11use_defaultEEEiEEmLj1EEEvT0_T1_SE_,@function
_ZN6thrust23THRUST_200600_302600_NS11hip_rocprim14__parallel_for6kernelILj256ENS1_20__uninitialized_fill7functorINS0_7pointerIiNS1_3tagENS0_16tagged_referenceIiS7_EENS0_11use_defaultEEEiEEmLj1EEEvT0_T1_SE_: ; @_ZN6thrust23THRUST_200600_302600_NS11hip_rocprim14__parallel_for6kernelILj256ENS1_20__uninitialized_fill7functorINS0_7pointerIiNS1_3tagENS0_16tagged_referenceIiS7_EENS0_11use_defaultEEEiEEmLj1EEEvT0_T1_SE_
; %bb.0:
	s_load_b128 s[8:11], s[0:1], 0x10
	s_bfe_u32 s2, ttmp6, 0x4000c
	s_and_b32 s3, ttmp6, 15
	s_add_co_i32 s2, s2, 1
	s_getreg_b32 s4, hwreg(HW_REG_IB_STS2, 6, 4)
	s_mul_i32 s2, ttmp9, s2
	s_delay_alu instid0(SALU_CYCLE_1)
	s_add_co_i32 s3, s3, s2
	s_cmp_eq_u32 s4, 0
	s_load_b96 s[4:6], s[0:1], 0x0
	s_wait_xcnt 0x0
	s_cselect_b32 s0, ttmp9, s3
	s_mov_b32 s1, 0
	s_lshl_b32 s0, s0, 8
	s_wait_kmcnt 0x0
	s_add_nc_u64 s[0:1], s[10:11], s[0:1]
	s_delay_alu instid0(SALU_CYCLE_1) | instskip(NEXT) | instid1(SALU_CYCLE_1)
	s_sub_nc_u64 s[2:3], s[8:9], s[0:1]
	v_cmp_lt_u64_e64 s3, 0xff, s[2:3]
	s_and_b32 vcc_lo, exec_lo, s3
	s_mov_b32 s3, -1
	s_cbranch_vccz .LBB57_3
; %bb.1:
	s_and_not1_b32 vcc_lo, exec_lo, s3
	s_cbranch_vccz .LBB57_6
.LBB57_2:
	s_endpgm
.LBB57_3:
	v_cmp_gt_u32_e32 vcc_lo, s2, v0
	s_and_saveexec_b32 s2, vcc_lo
	s_cbranch_execz .LBB57_5
; %bb.4:
	v_mov_b32_e32 v1, s6
	s_lshl_b64 s[8:9], s[0:1], 2
	s_delay_alu instid0(SALU_CYCLE_1)
	s_add_nc_u64 s[8:9], s[4:5], s[8:9]
	flat_store_b32 v0, v1, s[8:9] scale_offset
.LBB57_5:
	s_wait_xcnt 0x0
	s_or_b32 exec_lo, exec_lo, s2
	s_cbranch_execnz .LBB57_2
.LBB57_6:
	v_mov_b32_e32 v1, s6
	s_lshl_b64 s[0:1], s[0:1], 2
	s_delay_alu instid0(SALU_CYCLE_1)
	s_add_nc_u64 s[0:1], s[4:5], s[0:1]
	flat_store_b32 v0, v1, s[0:1] scale_offset
	s_endpgm
	.section	.rodata,"a",@progbits
	.p2align	6, 0x0
	.amdhsa_kernel _ZN6thrust23THRUST_200600_302600_NS11hip_rocprim14__parallel_for6kernelILj256ENS1_20__uninitialized_fill7functorINS0_7pointerIiNS1_3tagENS0_16tagged_referenceIiS7_EENS0_11use_defaultEEEiEEmLj1EEEvT0_T1_SE_
		.amdhsa_group_segment_fixed_size 0
		.amdhsa_private_segment_fixed_size 0
		.amdhsa_kernarg_size 32
		.amdhsa_user_sgpr_count 2
		.amdhsa_user_sgpr_dispatch_ptr 0
		.amdhsa_user_sgpr_queue_ptr 0
		.amdhsa_user_sgpr_kernarg_segment_ptr 1
		.amdhsa_user_sgpr_dispatch_id 0
		.amdhsa_user_sgpr_kernarg_preload_length 0
		.amdhsa_user_sgpr_kernarg_preload_offset 0
		.amdhsa_user_sgpr_private_segment_size 0
		.amdhsa_wavefront_size32 1
		.amdhsa_uses_dynamic_stack 0
		.amdhsa_enable_private_segment 0
		.amdhsa_system_sgpr_workgroup_id_x 1
		.amdhsa_system_sgpr_workgroup_id_y 0
		.amdhsa_system_sgpr_workgroup_id_z 0
		.amdhsa_system_sgpr_workgroup_info 0
		.amdhsa_system_vgpr_workitem_id 0
		.amdhsa_next_free_vgpr 2
		.amdhsa_next_free_sgpr 12
		.amdhsa_named_barrier_count 0
		.amdhsa_reserve_vcc 1
		.amdhsa_float_round_mode_32 0
		.amdhsa_float_round_mode_16_64 0
		.amdhsa_float_denorm_mode_32 3
		.amdhsa_float_denorm_mode_16_64 3
		.amdhsa_fp16_overflow 0
		.amdhsa_memory_ordered 1
		.amdhsa_forward_progress 1
		.amdhsa_inst_pref_size 2
		.amdhsa_round_robin_scheduling 0
		.amdhsa_exception_fp_ieee_invalid_op 0
		.amdhsa_exception_fp_denorm_src 0
		.amdhsa_exception_fp_ieee_div_zero 0
		.amdhsa_exception_fp_ieee_overflow 0
		.amdhsa_exception_fp_ieee_underflow 0
		.amdhsa_exception_fp_ieee_inexact 0
		.amdhsa_exception_int_div_zero 0
	.end_amdhsa_kernel
	.section	.text._ZN6thrust23THRUST_200600_302600_NS11hip_rocprim14__parallel_for6kernelILj256ENS1_20__uninitialized_fill7functorINS0_7pointerIiNS1_3tagENS0_16tagged_referenceIiS7_EENS0_11use_defaultEEEiEEmLj1EEEvT0_T1_SE_,"axG",@progbits,_ZN6thrust23THRUST_200600_302600_NS11hip_rocprim14__parallel_for6kernelILj256ENS1_20__uninitialized_fill7functorINS0_7pointerIiNS1_3tagENS0_16tagged_referenceIiS7_EENS0_11use_defaultEEEiEEmLj1EEEvT0_T1_SE_,comdat
.Lfunc_end57:
	.size	_ZN6thrust23THRUST_200600_302600_NS11hip_rocprim14__parallel_for6kernelILj256ENS1_20__uninitialized_fill7functorINS0_7pointerIiNS1_3tagENS0_16tagged_referenceIiS7_EENS0_11use_defaultEEEiEEmLj1EEEvT0_T1_SE_, .Lfunc_end57-_ZN6thrust23THRUST_200600_302600_NS11hip_rocprim14__parallel_for6kernelILj256ENS1_20__uninitialized_fill7functorINS0_7pointerIiNS1_3tagENS0_16tagged_referenceIiS7_EENS0_11use_defaultEEEiEEmLj1EEEvT0_T1_SE_
                                        ; -- End function
	.set _ZN6thrust23THRUST_200600_302600_NS11hip_rocprim14__parallel_for6kernelILj256ENS1_20__uninitialized_fill7functorINS0_7pointerIiNS1_3tagENS0_16tagged_referenceIiS7_EENS0_11use_defaultEEEiEEmLj1EEEvT0_T1_SE_.num_vgpr, 2
	.set _ZN6thrust23THRUST_200600_302600_NS11hip_rocprim14__parallel_for6kernelILj256ENS1_20__uninitialized_fill7functorINS0_7pointerIiNS1_3tagENS0_16tagged_referenceIiS7_EENS0_11use_defaultEEEiEEmLj1EEEvT0_T1_SE_.num_agpr, 0
	.set _ZN6thrust23THRUST_200600_302600_NS11hip_rocprim14__parallel_for6kernelILj256ENS1_20__uninitialized_fill7functorINS0_7pointerIiNS1_3tagENS0_16tagged_referenceIiS7_EENS0_11use_defaultEEEiEEmLj1EEEvT0_T1_SE_.numbered_sgpr, 12
	.set _ZN6thrust23THRUST_200600_302600_NS11hip_rocprim14__parallel_for6kernelILj256ENS1_20__uninitialized_fill7functorINS0_7pointerIiNS1_3tagENS0_16tagged_referenceIiS7_EENS0_11use_defaultEEEiEEmLj1EEEvT0_T1_SE_.num_named_barrier, 0
	.set _ZN6thrust23THRUST_200600_302600_NS11hip_rocprim14__parallel_for6kernelILj256ENS1_20__uninitialized_fill7functorINS0_7pointerIiNS1_3tagENS0_16tagged_referenceIiS7_EENS0_11use_defaultEEEiEEmLj1EEEvT0_T1_SE_.private_seg_size, 0
	.set _ZN6thrust23THRUST_200600_302600_NS11hip_rocprim14__parallel_for6kernelILj256ENS1_20__uninitialized_fill7functorINS0_7pointerIiNS1_3tagENS0_16tagged_referenceIiS7_EENS0_11use_defaultEEEiEEmLj1EEEvT0_T1_SE_.uses_vcc, 1
	.set _ZN6thrust23THRUST_200600_302600_NS11hip_rocprim14__parallel_for6kernelILj256ENS1_20__uninitialized_fill7functorINS0_7pointerIiNS1_3tagENS0_16tagged_referenceIiS7_EENS0_11use_defaultEEEiEEmLj1EEEvT0_T1_SE_.uses_flat_scratch, 0
	.set _ZN6thrust23THRUST_200600_302600_NS11hip_rocprim14__parallel_for6kernelILj256ENS1_20__uninitialized_fill7functorINS0_7pointerIiNS1_3tagENS0_16tagged_referenceIiS7_EENS0_11use_defaultEEEiEEmLj1EEEvT0_T1_SE_.has_dyn_sized_stack, 0
	.set _ZN6thrust23THRUST_200600_302600_NS11hip_rocprim14__parallel_for6kernelILj256ENS1_20__uninitialized_fill7functorINS0_7pointerIiNS1_3tagENS0_16tagged_referenceIiS7_EENS0_11use_defaultEEEiEEmLj1EEEvT0_T1_SE_.has_recursion, 0
	.set _ZN6thrust23THRUST_200600_302600_NS11hip_rocprim14__parallel_for6kernelILj256ENS1_20__uninitialized_fill7functorINS0_7pointerIiNS1_3tagENS0_16tagged_referenceIiS7_EENS0_11use_defaultEEEiEEmLj1EEEvT0_T1_SE_.has_indirect_call, 0
	.section	.AMDGPU.csdata,"",@progbits
; Kernel info:
; codeLenInByte = 204
; TotalNumSgprs: 14
; NumVgprs: 2
; ScratchSize: 0
; MemoryBound: 0
; FloatMode: 240
; IeeeMode: 1
; LDSByteSize: 0 bytes/workgroup (compile time only)
; SGPRBlocks: 0
; VGPRBlocks: 0
; NumSGPRsForWavesPerEU: 14
; NumVGPRsForWavesPerEU: 2
; NamedBarCnt: 0
; Occupancy: 16
; WaveLimiterHint : 0
; COMPUTE_PGM_RSRC2:SCRATCH_EN: 0
; COMPUTE_PGM_RSRC2:USER_SGPR: 2
; COMPUTE_PGM_RSRC2:TRAP_HANDLER: 0
; COMPUTE_PGM_RSRC2:TGID_X_EN: 1
; COMPUTE_PGM_RSRC2:TGID_Y_EN: 0
; COMPUTE_PGM_RSRC2:TGID_Z_EN: 0
; COMPUTE_PGM_RSRC2:TIDIG_COMP_CNT: 0
	.section	.text._ZN7rocprim17ROCPRIM_400000_NS6detail17trampoline_kernelINS0_14default_configENS1_27lower_bound_config_selectorIilEEZNS1_14transform_implILb0ES3_S5_N6thrust23THRUST_200600_302600_NS6detail15normal_iteratorINS8_7pointerIiNS8_11hip_rocprim3tagENS8_11use_defaultESE_EEEENSA_INSB_IlSD_SE_SE_EEEEZNS1_13binary_searchIS3_S5_NSA_INSB_IiSD_NS8_16tagged_referenceIiSD_EESE_EEEESG_SI_NS1_21lower_bound_search_opENS9_16wrapped_functionINS8_7greaterIiEEbEEEE10hipError_tPvRmT1_T2_T3_mmT4_T5_P12ihipStream_tbEUlRKiE_EEST_SX_SY_mSZ_S12_bEUlT_E_NS1_11comp_targetILNS1_3genE0ELNS1_11target_archE4294967295ELNS1_3gpuE0ELNS1_3repE0EEENS1_30default_config_static_selectorELNS0_4arch9wavefront6targetE0EEEvSW_,"axG",@progbits,_ZN7rocprim17ROCPRIM_400000_NS6detail17trampoline_kernelINS0_14default_configENS1_27lower_bound_config_selectorIilEEZNS1_14transform_implILb0ES3_S5_N6thrust23THRUST_200600_302600_NS6detail15normal_iteratorINS8_7pointerIiNS8_11hip_rocprim3tagENS8_11use_defaultESE_EEEENSA_INSB_IlSD_SE_SE_EEEEZNS1_13binary_searchIS3_S5_NSA_INSB_IiSD_NS8_16tagged_referenceIiSD_EESE_EEEESG_SI_NS1_21lower_bound_search_opENS9_16wrapped_functionINS8_7greaterIiEEbEEEE10hipError_tPvRmT1_T2_T3_mmT4_T5_P12ihipStream_tbEUlRKiE_EEST_SX_SY_mSZ_S12_bEUlT_E_NS1_11comp_targetILNS1_3genE0ELNS1_11target_archE4294967295ELNS1_3gpuE0ELNS1_3repE0EEENS1_30default_config_static_selectorELNS0_4arch9wavefront6targetE0EEEvSW_,comdat
	.protected	_ZN7rocprim17ROCPRIM_400000_NS6detail17trampoline_kernelINS0_14default_configENS1_27lower_bound_config_selectorIilEEZNS1_14transform_implILb0ES3_S5_N6thrust23THRUST_200600_302600_NS6detail15normal_iteratorINS8_7pointerIiNS8_11hip_rocprim3tagENS8_11use_defaultESE_EEEENSA_INSB_IlSD_SE_SE_EEEEZNS1_13binary_searchIS3_S5_NSA_INSB_IiSD_NS8_16tagged_referenceIiSD_EESE_EEEESG_SI_NS1_21lower_bound_search_opENS9_16wrapped_functionINS8_7greaterIiEEbEEEE10hipError_tPvRmT1_T2_T3_mmT4_T5_P12ihipStream_tbEUlRKiE_EEST_SX_SY_mSZ_S12_bEUlT_E_NS1_11comp_targetILNS1_3genE0ELNS1_11target_archE4294967295ELNS1_3gpuE0ELNS1_3repE0EEENS1_30default_config_static_selectorELNS0_4arch9wavefront6targetE0EEEvSW_ ; -- Begin function _ZN7rocprim17ROCPRIM_400000_NS6detail17trampoline_kernelINS0_14default_configENS1_27lower_bound_config_selectorIilEEZNS1_14transform_implILb0ES3_S5_N6thrust23THRUST_200600_302600_NS6detail15normal_iteratorINS8_7pointerIiNS8_11hip_rocprim3tagENS8_11use_defaultESE_EEEENSA_INSB_IlSD_SE_SE_EEEEZNS1_13binary_searchIS3_S5_NSA_INSB_IiSD_NS8_16tagged_referenceIiSD_EESE_EEEESG_SI_NS1_21lower_bound_search_opENS9_16wrapped_functionINS8_7greaterIiEEbEEEE10hipError_tPvRmT1_T2_T3_mmT4_T5_P12ihipStream_tbEUlRKiE_EEST_SX_SY_mSZ_S12_bEUlT_E_NS1_11comp_targetILNS1_3genE0ELNS1_11target_archE4294967295ELNS1_3gpuE0ELNS1_3repE0EEENS1_30default_config_static_selectorELNS0_4arch9wavefront6targetE0EEEvSW_
	.globl	_ZN7rocprim17ROCPRIM_400000_NS6detail17trampoline_kernelINS0_14default_configENS1_27lower_bound_config_selectorIilEEZNS1_14transform_implILb0ES3_S5_N6thrust23THRUST_200600_302600_NS6detail15normal_iteratorINS8_7pointerIiNS8_11hip_rocprim3tagENS8_11use_defaultESE_EEEENSA_INSB_IlSD_SE_SE_EEEEZNS1_13binary_searchIS3_S5_NSA_INSB_IiSD_NS8_16tagged_referenceIiSD_EESE_EEEESG_SI_NS1_21lower_bound_search_opENS9_16wrapped_functionINS8_7greaterIiEEbEEEE10hipError_tPvRmT1_T2_T3_mmT4_T5_P12ihipStream_tbEUlRKiE_EEST_SX_SY_mSZ_S12_bEUlT_E_NS1_11comp_targetILNS1_3genE0ELNS1_11target_archE4294967295ELNS1_3gpuE0ELNS1_3repE0EEENS1_30default_config_static_selectorELNS0_4arch9wavefront6targetE0EEEvSW_
	.p2align	8
	.type	_ZN7rocprim17ROCPRIM_400000_NS6detail17trampoline_kernelINS0_14default_configENS1_27lower_bound_config_selectorIilEEZNS1_14transform_implILb0ES3_S5_N6thrust23THRUST_200600_302600_NS6detail15normal_iteratorINS8_7pointerIiNS8_11hip_rocprim3tagENS8_11use_defaultESE_EEEENSA_INSB_IlSD_SE_SE_EEEEZNS1_13binary_searchIS3_S5_NSA_INSB_IiSD_NS8_16tagged_referenceIiSD_EESE_EEEESG_SI_NS1_21lower_bound_search_opENS9_16wrapped_functionINS8_7greaterIiEEbEEEE10hipError_tPvRmT1_T2_T3_mmT4_T5_P12ihipStream_tbEUlRKiE_EEST_SX_SY_mSZ_S12_bEUlT_E_NS1_11comp_targetILNS1_3genE0ELNS1_11target_archE4294967295ELNS1_3gpuE0ELNS1_3repE0EEENS1_30default_config_static_selectorELNS0_4arch9wavefront6targetE0EEEvSW_,@function
_ZN7rocprim17ROCPRIM_400000_NS6detail17trampoline_kernelINS0_14default_configENS1_27lower_bound_config_selectorIilEEZNS1_14transform_implILb0ES3_S5_N6thrust23THRUST_200600_302600_NS6detail15normal_iteratorINS8_7pointerIiNS8_11hip_rocprim3tagENS8_11use_defaultESE_EEEENSA_INSB_IlSD_SE_SE_EEEEZNS1_13binary_searchIS3_S5_NSA_INSB_IiSD_NS8_16tagged_referenceIiSD_EESE_EEEESG_SI_NS1_21lower_bound_search_opENS9_16wrapped_functionINS8_7greaterIiEEbEEEE10hipError_tPvRmT1_T2_T3_mmT4_T5_P12ihipStream_tbEUlRKiE_EEST_SX_SY_mSZ_S12_bEUlT_E_NS1_11comp_targetILNS1_3genE0ELNS1_11target_archE4294967295ELNS1_3gpuE0ELNS1_3repE0EEENS1_30default_config_static_selectorELNS0_4arch9wavefront6targetE0EEEvSW_: ; @_ZN7rocprim17ROCPRIM_400000_NS6detail17trampoline_kernelINS0_14default_configENS1_27lower_bound_config_selectorIilEEZNS1_14transform_implILb0ES3_S5_N6thrust23THRUST_200600_302600_NS6detail15normal_iteratorINS8_7pointerIiNS8_11hip_rocprim3tagENS8_11use_defaultESE_EEEENSA_INSB_IlSD_SE_SE_EEEEZNS1_13binary_searchIS3_S5_NSA_INSB_IiSD_NS8_16tagged_referenceIiSD_EESE_EEEESG_SI_NS1_21lower_bound_search_opENS9_16wrapped_functionINS8_7greaterIiEEbEEEE10hipError_tPvRmT1_T2_T3_mmT4_T5_P12ihipStream_tbEUlRKiE_EEST_SX_SY_mSZ_S12_bEUlT_E_NS1_11comp_targetILNS1_3genE0ELNS1_11target_archE4294967295ELNS1_3gpuE0ELNS1_3repE0EEENS1_30default_config_static_selectorELNS0_4arch9wavefront6targetE0EEEvSW_
; %bb.0:
	s_clause 0x3
	s_load_b128 s[12:15], s[0:1], 0x0
	s_load_b128 s[4:7], s[0:1], 0x18
	s_load_b32 s16, s[0:1], 0x38
	s_load_b64 s[8:9], s[0:1], 0x28
	s_bfe_u32 s2, ttmp6, 0x4000c
	s_and_b32 s3, ttmp6, 15
	s_add_co_i32 s2, s2, 1
	s_getreg_b32 s10, hwreg(HW_REG_IB_STS2, 6, 4)
	s_mul_i32 s2, ttmp9, s2
	s_delay_alu instid0(SALU_CYCLE_1)
	s_add_co_i32 s17, s3, s2
	s_wait_kmcnt 0x0
	s_lshl_b64 s[2:3], s[14:15], 2
	s_lshl_b64 s[14:15], s[14:15], 3
	s_cmp_eq_u32 s10, 0
	s_add_nc_u64 s[10:11], s[12:13], s[2:3]
	s_cselect_b32 s12, ttmp9, s17
	s_add_co_i32 s16, s16, -1
	s_add_nc_u64 s[2:3], s[4:5], s[14:15]
	s_lshl_b32 s4, s12, 8
	s_mov_b32 s5, 0
	s_cmp_lg_u32 s12, s16
	s_mov_b32 s12, -1
	s_cbranch_scc0 .LBB58_7
; %bb.1:
	s_cmp_eq_u64 s[8:9], 0
	s_cbranch_scc1 .LBB58_5
; %bb.2:
	s_lshl_b64 s[12:13], s[4:5], 2
	v_mov_b64_e32 v[2:3], 0
	s_add_nc_u64 s[12:13], s[10:11], s[12:13]
	v_mov_b64_e32 v[4:5], s[8:9]
	flat_load_b32 v1, v0, s[12:13] scale_offset
	s_wait_xcnt 0x0
	s_mov_b32 s12, 0
.LBB58_3:                               ; =>This Inner Loop Header: Depth=1
	v_sub_nc_u64_e32 v[6:7], v[4:5], v[2:3]
	s_delay_alu instid0(VALU_DEP_1) | instskip(SKIP_1) | instid1(VALU_DEP_2)
	v_lshrrev_b64 v[8:9], 1, v[6:7]
	v_lshrrev_b64 v[6:7], 6, v[6:7]
	v_add_nc_u64_e32 v[8:9], v[8:9], v[2:3]
	s_delay_alu instid0(VALU_DEP_1) | instskip(NEXT) | instid1(VALU_DEP_1)
	v_add_nc_u64_e32 v[6:7], v[8:9], v[6:7]
	v_lshl_add_u64 v[8:9], v[6:7], 2, s[6:7]
	global_load_b32 v10, v[8:9], off
	s_wait_xcnt 0x0
	v_add_nc_u64_e32 v[8:9], 1, v[6:7]
	s_wait_loadcnt_dscnt 0x0
	v_cmp_gt_i32_e32 vcc_lo, v10, v1
	v_dual_cndmask_b32 v5, v7, v5 :: v_dual_cndmask_b32 v4, v6, v4
	s_delay_alu instid0(VALU_DEP_3) | instskip(NEXT) | instid1(VALU_DEP_1)
	v_dual_cndmask_b32 v3, v3, v9 :: v_dual_cndmask_b32 v2, v2, v8
	v_cmp_ge_u64_e32 vcc_lo, v[2:3], v[4:5]
	s_or_b32 s12, vcc_lo, s12
	s_delay_alu instid0(SALU_CYCLE_1)
	s_and_not1_b32 exec_lo, exec_lo, s12
	s_cbranch_execnz .LBB58_3
; %bb.4:
	s_or_b32 exec_lo, exec_lo, s12
	s_branch .LBB58_6
.LBB58_5:
	v_mov_b64_e32 v[2:3], 0
.LBB58_6:
	s_lshl_b64 s[12:13], s[4:5], 3
	s_delay_alu instid0(SALU_CYCLE_1)
	s_add_nc_u64 s[14:15], s[2:3], s[12:13]
	s_mov_b32 s12, 0
	flat_store_b64 v0, v[2:3], s[14:15] scale_offset
.LBB58_7:
	s_and_b32 vcc_lo, exec_lo, s12
	s_cbranch_vccz .LBB58_16
; %bb.8:
	s_load_b32 s0, s[0:1], 0x10
                                        ; implicit-def: $vgpr1
	s_wait_kmcnt 0x0
	s_sub_co_i32 s1, s0, s4
	s_delay_alu instid0(SALU_CYCLE_1)
	v_cmp_le_u32_e64 s0, s1, v0
	v_cmp_gt_u32_e32 vcc_lo, s1, v0
	s_and_saveexec_b32 s1, vcc_lo
	s_cbranch_execz .LBB58_10
; %bb.9:
	s_lshl_b64 s[12:13], s[4:5], 2
	s_delay_alu instid0(SALU_CYCLE_1)
	s_add_nc_u64 s[10:11], s[10:11], s[12:13]
	flat_load_b32 v1, v0, s[10:11] scale_offset
.LBB58_10:
	s_wait_xcnt 0x0
	s_or_b32 exec_lo, exec_lo, s1
	v_mov_b64_e32 v[2:3], 0
	s_cmp_lg_u64 s[8:9], 0
	s_cselect_b32 s1, -1, 0
	s_xor_b32 s0, s0, -1
	s_delay_alu instid0(SALU_CYCLE_1) | instskip(NEXT) | instid1(SALU_CYCLE_1)
	s_and_b32 s0, s0, s1
	s_and_saveexec_b32 s1, s0
	s_cbranch_execz .LBB58_14
; %bb.11:
	v_mov_b64_e32 v[2:3], 0
	v_mov_b64_e32 v[4:5], s[8:9]
	s_mov_b32 s8, 0
.LBB58_12:                              ; =>This Inner Loop Header: Depth=1
	s_delay_alu instid0(VALU_DEP_1) | instskip(NEXT) | instid1(VALU_DEP_1)
	v_sub_nc_u64_e32 v[6:7], v[4:5], v[2:3]
	v_lshrrev_b64 v[8:9], 1, v[6:7]
	v_lshrrev_b64 v[6:7], 6, v[6:7]
	s_delay_alu instid0(VALU_DEP_2) | instskip(NEXT) | instid1(VALU_DEP_1)
	v_add_nc_u64_e32 v[8:9], v[8:9], v[2:3]
	v_add_nc_u64_e32 v[6:7], v[8:9], v[6:7]
	s_delay_alu instid0(VALU_DEP_1)
	v_lshl_add_u64 v[8:9], v[6:7], 2, s[6:7]
	global_load_b32 v10, v[8:9], off
	s_wait_xcnt 0x0
	v_add_nc_u64_e32 v[8:9], 1, v[6:7]
	s_wait_loadcnt_dscnt 0x0
	v_cmp_gt_i32_e64 s0, v10, v1
	s_delay_alu instid0(VALU_DEP_1) | instskip(NEXT) | instid1(VALU_DEP_3)
	v_dual_cndmask_b32 v5, v7, v5, s0 :: v_dual_cndmask_b32 v4, v6, v4, s0
	v_dual_cndmask_b32 v3, v3, v9, s0 :: v_dual_cndmask_b32 v2, v2, v8, s0
	s_delay_alu instid0(VALU_DEP_1) | instskip(SKIP_1) | instid1(SALU_CYCLE_1)
	v_cmp_ge_u64_e64 s0, v[2:3], v[4:5]
	s_or_b32 s8, s0, s8
	s_and_not1_b32 exec_lo, exec_lo, s8
	s_cbranch_execnz .LBB58_12
; %bb.13:
	s_or_b32 exec_lo, exec_lo, s8
.LBB58_14:
	s_delay_alu instid0(SALU_CYCLE_1)
	s_or_b32 exec_lo, exec_lo, s1
	s_and_saveexec_b32 s0, vcc_lo
	s_cbranch_execz .LBB58_16
; %bb.15:
	s_lshl_b64 s[0:1], s[4:5], 3
	s_delay_alu instid0(SALU_CYCLE_1)
	s_add_nc_u64 s[0:1], s[2:3], s[0:1]
	flat_store_b64 v0, v[2:3], s[0:1] scale_offset
.LBB58_16:
	s_endpgm
	.section	.rodata,"a",@progbits
	.p2align	6, 0x0
	.amdhsa_kernel _ZN7rocprim17ROCPRIM_400000_NS6detail17trampoline_kernelINS0_14default_configENS1_27lower_bound_config_selectorIilEEZNS1_14transform_implILb0ES3_S5_N6thrust23THRUST_200600_302600_NS6detail15normal_iteratorINS8_7pointerIiNS8_11hip_rocprim3tagENS8_11use_defaultESE_EEEENSA_INSB_IlSD_SE_SE_EEEEZNS1_13binary_searchIS3_S5_NSA_INSB_IiSD_NS8_16tagged_referenceIiSD_EESE_EEEESG_SI_NS1_21lower_bound_search_opENS9_16wrapped_functionINS8_7greaterIiEEbEEEE10hipError_tPvRmT1_T2_T3_mmT4_T5_P12ihipStream_tbEUlRKiE_EEST_SX_SY_mSZ_S12_bEUlT_E_NS1_11comp_targetILNS1_3genE0ELNS1_11target_archE4294967295ELNS1_3gpuE0ELNS1_3repE0EEENS1_30default_config_static_selectorELNS0_4arch9wavefront6targetE0EEEvSW_
		.amdhsa_group_segment_fixed_size 0
		.amdhsa_private_segment_fixed_size 0
		.amdhsa_kernarg_size 312
		.amdhsa_user_sgpr_count 2
		.amdhsa_user_sgpr_dispatch_ptr 0
		.amdhsa_user_sgpr_queue_ptr 0
		.amdhsa_user_sgpr_kernarg_segment_ptr 1
		.amdhsa_user_sgpr_dispatch_id 0
		.amdhsa_user_sgpr_kernarg_preload_length 0
		.amdhsa_user_sgpr_kernarg_preload_offset 0
		.amdhsa_user_sgpr_private_segment_size 0
		.amdhsa_wavefront_size32 1
		.amdhsa_uses_dynamic_stack 0
		.amdhsa_enable_private_segment 0
		.amdhsa_system_sgpr_workgroup_id_x 1
		.amdhsa_system_sgpr_workgroup_id_y 0
		.amdhsa_system_sgpr_workgroup_id_z 0
		.amdhsa_system_sgpr_workgroup_info 0
		.amdhsa_system_vgpr_workitem_id 0
		.amdhsa_next_free_vgpr 11
		.amdhsa_next_free_sgpr 18
		.amdhsa_named_barrier_count 0
		.amdhsa_reserve_vcc 1
		.amdhsa_float_round_mode_32 0
		.amdhsa_float_round_mode_16_64 0
		.amdhsa_float_denorm_mode_32 3
		.amdhsa_float_denorm_mode_16_64 3
		.amdhsa_fp16_overflow 0
		.amdhsa_memory_ordered 1
		.amdhsa_forward_progress 1
		.amdhsa_inst_pref_size 5
		.amdhsa_round_robin_scheduling 0
		.amdhsa_exception_fp_ieee_invalid_op 0
		.amdhsa_exception_fp_denorm_src 0
		.amdhsa_exception_fp_ieee_div_zero 0
		.amdhsa_exception_fp_ieee_overflow 0
		.amdhsa_exception_fp_ieee_underflow 0
		.amdhsa_exception_fp_ieee_inexact 0
		.amdhsa_exception_int_div_zero 0
	.end_amdhsa_kernel
	.section	.text._ZN7rocprim17ROCPRIM_400000_NS6detail17trampoline_kernelINS0_14default_configENS1_27lower_bound_config_selectorIilEEZNS1_14transform_implILb0ES3_S5_N6thrust23THRUST_200600_302600_NS6detail15normal_iteratorINS8_7pointerIiNS8_11hip_rocprim3tagENS8_11use_defaultESE_EEEENSA_INSB_IlSD_SE_SE_EEEEZNS1_13binary_searchIS3_S5_NSA_INSB_IiSD_NS8_16tagged_referenceIiSD_EESE_EEEESG_SI_NS1_21lower_bound_search_opENS9_16wrapped_functionINS8_7greaterIiEEbEEEE10hipError_tPvRmT1_T2_T3_mmT4_T5_P12ihipStream_tbEUlRKiE_EEST_SX_SY_mSZ_S12_bEUlT_E_NS1_11comp_targetILNS1_3genE0ELNS1_11target_archE4294967295ELNS1_3gpuE0ELNS1_3repE0EEENS1_30default_config_static_selectorELNS0_4arch9wavefront6targetE0EEEvSW_,"axG",@progbits,_ZN7rocprim17ROCPRIM_400000_NS6detail17trampoline_kernelINS0_14default_configENS1_27lower_bound_config_selectorIilEEZNS1_14transform_implILb0ES3_S5_N6thrust23THRUST_200600_302600_NS6detail15normal_iteratorINS8_7pointerIiNS8_11hip_rocprim3tagENS8_11use_defaultESE_EEEENSA_INSB_IlSD_SE_SE_EEEEZNS1_13binary_searchIS3_S5_NSA_INSB_IiSD_NS8_16tagged_referenceIiSD_EESE_EEEESG_SI_NS1_21lower_bound_search_opENS9_16wrapped_functionINS8_7greaterIiEEbEEEE10hipError_tPvRmT1_T2_T3_mmT4_T5_P12ihipStream_tbEUlRKiE_EEST_SX_SY_mSZ_S12_bEUlT_E_NS1_11comp_targetILNS1_3genE0ELNS1_11target_archE4294967295ELNS1_3gpuE0ELNS1_3repE0EEENS1_30default_config_static_selectorELNS0_4arch9wavefront6targetE0EEEvSW_,comdat
.Lfunc_end58:
	.size	_ZN7rocprim17ROCPRIM_400000_NS6detail17trampoline_kernelINS0_14default_configENS1_27lower_bound_config_selectorIilEEZNS1_14transform_implILb0ES3_S5_N6thrust23THRUST_200600_302600_NS6detail15normal_iteratorINS8_7pointerIiNS8_11hip_rocprim3tagENS8_11use_defaultESE_EEEENSA_INSB_IlSD_SE_SE_EEEEZNS1_13binary_searchIS3_S5_NSA_INSB_IiSD_NS8_16tagged_referenceIiSD_EESE_EEEESG_SI_NS1_21lower_bound_search_opENS9_16wrapped_functionINS8_7greaterIiEEbEEEE10hipError_tPvRmT1_T2_T3_mmT4_T5_P12ihipStream_tbEUlRKiE_EEST_SX_SY_mSZ_S12_bEUlT_E_NS1_11comp_targetILNS1_3genE0ELNS1_11target_archE4294967295ELNS1_3gpuE0ELNS1_3repE0EEENS1_30default_config_static_selectorELNS0_4arch9wavefront6targetE0EEEvSW_, .Lfunc_end58-_ZN7rocprim17ROCPRIM_400000_NS6detail17trampoline_kernelINS0_14default_configENS1_27lower_bound_config_selectorIilEEZNS1_14transform_implILb0ES3_S5_N6thrust23THRUST_200600_302600_NS6detail15normal_iteratorINS8_7pointerIiNS8_11hip_rocprim3tagENS8_11use_defaultESE_EEEENSA_INSB_IlSD_SE_SE_EEEEZNS1_13binary_searchIS3_S5_NSA_INSB_IiSD_NS8_16tagged_referenceIiSD_EESE_EEEESG_SI_NS1_21lower_bound_search_opENS9_16wrapped_functionINS8_7greaterIiEEbEEEE10hipError_tPvRmT1_T2_T3_mmT4_T5_P12ihipStream_tbEUlRKiE_EEST_SX_SY_mSZ_S12_bEUlT_E_NS1_11comp_targetILNS1_3genE0ELNS1_11target_archE4294967295ELNS1_3gpuE0ELNS1_3repE0EEENS1_30default_config_static_selectorELNS0_4arch9wavefront6targetE0EEEvSW_
                                        ; -- End function
	.set _ZN7rocprim17ROCPRIM_400000_NS6detail17trampoline_kernelINS0_14default_configENS1_27lower_bound_config_selectorIilEEZNS1_14transform_implILb0ES3_S5_N6thrust23THRUST_200600_302600_NS6detail15normal_iteratorINS8_7pointerIiNS8_11hip_rocprim3tagENS8_11use_defaultESE_EEEENSA_INSB_IlSD_SE_SE_EEEEZNS1_13binary_searchIS3_S5_NSA_INSB_IiSD_NS8_16tagged_referenceIiSD_EESE_EEEESG_SI_NS1_21lower_bound_search_opENS9_16wrapped_functionINS8_7greaterIiEEbEEEE10hipError_tPvRmT1_T2_T3_mmT4_T5_P12ihipStream_tbEUlRKiE_EEST_SX_SY_mSZ_S12_bEUlT_E_NS1_11comp_targetILNS1_3genE0ELNS1_11target_archE4294967295ELNS1_3gpuE0ELNS1_3repE0EEENS1_30default_config_static_selectorELNS0_4arch9wavefront6targetE0EEEvSW_.num_vgpr, 11
	.set _ZN7rocprim17ROCPRIM_400000_NS6detail17trampoline_kernelINS0_14default_configENS1_27lower_bound_config_selectorIilEEZNS1_14transform_implILb0ES3_S5_N6thrust23THRUST_200600_302600_NS6detail15normal_iteratorINS8_7pointerIiNS8_11hip_rocprim3tagENS8_11use_defaultESE_EEEENSA_INSB_IlSD_SE_SE_EEEEZNS1_13binary_searchIS3_S5_NSA_INSB_IiSD_NS8_16tagged_referenceIiSD_EESE_EEEESG_SI_NS1_21lower_bound_search_opENS9_16wrapped_functionINS8_7greaterIiEEbEEEE10hipError_tPvRmT1_T2_T3_mmT4_T5_P12ihipStream_tbEUlRKiE_EEST_SX_SY_mSZ_S12_bEUlT_E_NS1_11comp_targetILNS1_3genE0ELNS1_11target_archE4294967295ELNS1_3gpuE0ELNS1_3repE0EEENS1_30default_config_static_selectorELNS0_4arch9wavefront6targetE0EEEvSW_.num_agpr, 0
	.set _ZN7rocprim17ROCPRIM_400000_NS6detail17trampoline_kernelINS0_14default_configENS1_27lower_bound_config_selectorIilEEZNS1_14transform_implILb0ES3_S5_N6thrust23THRUST_200600_302600_NS6detail15normal_iteratorINS8_7pointerIiNS8_11hip_rocprim3tagENS8_11use_defaultESE_EEEENSA_INSB_IlSD_SE_SE_EEEEZNS1_13binary_searchIS3_S5_NSA_INSB_IiSD_NS8_16tagged_referenceIiSD_EESE_EEEESG_SI_NS1_21lower_bound_search_opENS9_16wrapped_functionINS8_7greaterIiEEbEEEE10hipError_tPvRmT1_T2_T3_mmT4_T5_P12ihipStream_tbEUlRKiE_EEST_SX_SY_mSZ_S12_bEUlT_E_NS1_11comp_targetILNS1_3genE0ELNS1_11target_archE4294967295ELNS1_3gpuE0ELNS1_3repE0EEENS1_30default_config_static_selectorELNS0_4arch9wavefront6targetE0EEEvSW_.numbered_sgpr, 18
	.set _ZN7rocprim17ROCPRIM_400000_NS6detail17trampoline_kernelINS0_14default_configENS1_27lower_bound_config_selectorIilEEZNS1_14transform_implILb0ES3_S5_N6thrust23THRUST_200600_302600_NS6detail15normal_iteratorINS8_7pointerIiNS8_11hip_rocprim3tagENS8_11use_defaultESE_EEEENSA_INSB_IlSD_SE_SE_EEEEZNS1_13binary_searchIS3_S5_NSA_INSB_IiSD_NS8_16tagged_referenceIiSD_EESE_EEEESG_SI_NS1_21lower_bound_search_opENS9_16wrapped_functionINS8_7greaterIiEEbEEEE10hipError_tPvRmT1_T2_T3_mmT4_T5_P12ihipStream_tbEUlRKiE_EEST_SX_SY_mSZ_S12_bEUlT_E_NS1_11comp_targetILNS1_3genE0ELNS1_11target_archE4294967295ELNS1_3gpuE0ELNS1_3repE0EEENS1_30default_config_static_selectorELNS0_4arch9wavefront6targetE0EEEvSW_.num_named_barrier, 0
	.set _ZN7rocprim17ROCPRIM_400000_NS6detail17trampoline_kernelINS0_14default_configENS1_27lower_bound_config_selectorIilEEZNS1_14transform_implILb0ES3_S5_N6thrust23THRUST_200600_302600_NS6detail15normal_iteratorINS8_7pointerIiNS8_11hip_rocprim3tagENS8_11use_defaultESE_EEEENSA_INSB_IlSD_SE_SE_EEEEZNS1_13binary_searchIS3_S5_NSA_INSB_IiSD_NS8_16tagged_referenceIiSD_EESE_EEEESG_SI_NS1_21lower_bound_search_opENS9_16wrapped_functionINS8_7greaterIiEEbEEEE10hipError_tPvRmT1_T2_T3_mmT4_T5_P12ihipStream_tbEUlRKiE_EEST_SX_SY_mSZ_S12_bEUlT_E_NS1_11comp_targetILNS1_3genE0ELNS1_11target_archE4294967295ELNS1_3gpuE0ELNS1_3repE0EEENS1_30default_config_static_selectorELNS0_4arch9wavefront6targetE0EEEvSW_.private_seg_size, 0
	.set _ZN7rocprim17ROCPRIM_400000_NS6detail17trampoline_kernelINS0_14default_configENS1_27lower_bound_config_selectorIilEEZNS1_14transform_implILb0ES3_S5_N6thrust23THRUST_200600_302600_NS6detail15normal_iteratorINS8_7pointerIiNS8_11hip_rocprim3tagENS8_11use_defaultESE_EEEENSA_INSB_IlSD_SE_SE_EEEEZNS1_13binary_searchIS3_S5_NSA_INSB_IiSD_NS8_16tagged_referenceIiSD_EESE_EEEESG_SI_NS1_21lower_bound_search_opENS9_16wrapped_functionINS8_7greaterIiEEbEEEE10hipError_tPvRmT1_T2_T3_mmT4_T5_P12ihipStream_tbEUlRKiE_EEST_SX_SY_mSZ_S12_bEUlT_E_NS1_11comp_targetILNS1_3genE0ELNS1_11target_archE4294967295ELNS1_3gpuE0ELNS1_3repE0EEENS1_30default_config_static_selectorELNS0_4arch9wavefront6targetE0EEEvSW_.uses_vcc, 1
	.set _ZN7rocprim17ROCPRIM_400000_NS6detail17trampoline_kernelINS0_14default_configENS1_27lower_bound_config_selectorIilEEZNS1_14transform_implILb0ES3_S5_N6thrust23THRUST_200600_302600_NS6detail15normal_iteratorINS8_7pointerIiNS8_11hip_rocprim3tagENS8_11use_defaultESE_EEEENSA_INSB_IlSD_SE_SE_EEEEZNS1_13binary_searchIS3_S5_NSA_INSB_IiSD_NS8_16tagged_referenceIiSD_EESE_EEEESG_SI_NS1_21lower_bound_search_opENS9_16wrapped_functionINS8_7greaterIiEEbEEEE10hipError_tPvRmT1_T2_T3_mmT4_T5_P12ihipStream_tbEUlRKiE_EEST_SX_SY_mSZ_S12_bEUlT_E_NS1_11comp_targetILNS1_3genE0ELNS1_11target_archE4294967295ELNS1_3gpuE0ELNS1_3repE0EEENS1_30default_config_static_selectorELNS0_4arch9wavefront6targetE0EEEvSW_.uses_flat_scratch, 0
	.set _ZN7rocprim17ROCPRIM_400000_NS6detail17trampoline_kernelINS0_14default_configENS1_27lower_bound_config_selectorIilEEZNS1_14transform_implILb0ES3_S5_N6thrust23THRUST_200600_302600_NS6detail15normal_iteratorINS8_7pointerIiNS8_11hip_rocprim3tagENS8_11use_defaultESE_EEEENSA_INSB_IlSD_SE_SE_EEEEZNS1_13binary_searchIS3_S5_NSA_INSB_IiSD_NS8_16tagged_referenceIiSD_EESE_EEEESG_SI_NS1_21lower_bound_search_opENS9_16wrapped_functionINS8_7greaterIiEEbEEEE10hipError_tPvRmT1_T2_T3_mmT4_T5_P12ihipStream_tbEUlRKiE_EEST_SX_SY_mSZ_S12_bEUlT_E_NS1_11comp_targetILNS1_3genE0ELNS1_11target_archE4294967295ELNS1_3gpuE0ELNS1_3repE0EEENS1_30default_config_static_selectorELNS0_4arch9wavefront6targetE0EEEvSW_.has_dyn_sized_stack, 0
	.set _ZN7rocprim17ROCPRIM_400000_NS6detail17trampoline_kernelINS0_14default_configENS1_27lower_bound_config_selectorIilEEZNS1_14transform_implILb0ES3_S5_N6thrust23THRUST_200600_302600_NS6detail15normal_iteratorINS8_7pointerIiNS8_11hip_rocprim3tagENS8_11use_defaultESE_EEEENSA_INSB_IlSD_SE_SE_EEEEZNS1_13binary_searchIS3_S5_NSA_INSB_IiSD_NS8_16tagged_referenceIiSD_EESE_EEEESG_SI_NS1_21lower_bound_search_opENS9_16wrapped_functionINS8_7greaterIiEEbEEEE10hipError_tPvRmT1_T2_T3_mmT4_T5_P12ihipStream_tbEUlRKiE_EEST_SX_SY_mSZ_S12_bEUlT_E_NS1_11comp_targetILNS1_3genE0ELNS1_11target_archE4294967295ELNS1_3gpuE0ELNS1_3repE0EEENS1_30default_config_static_selectorELNS0_4arch9wavefront6targetE0EEEvSW_.has_recursion, 0
	.set _ZN7rocprim17ROCPRIM_400000_NS6detail17trampoline_kernelINS0_14default_configENS1_27lower_bound_config_selectorIilEEZNS1_14transform_implILb0ES3_S5_N6thrust23THRUST_200600_302600_NS6detail15normal_iteratorINS8_7pointerIiNS8_11hip_rocprim3tagENS8_11use_defaultESE_EEEENSA_INSB_IlSD_SE_SE_EEEEZNS1_13binary_searchIS3_S5_NSA_INSB_IiSD_NS8_16tagged_referenceIiSD_EESE_EEEESG_SI_NS1_21lower_bound_search_opENS9_16wrapped_functionINS8_7greaterIiEEbEEEE10hipError_tPvRmT1_T2_T3_mmT4_T5_P12ihipStream_tbEUlRKiE_EEST_SX_SY_mSZ_S12_bEUlT_E_NS1_11comp_targetILNS1_3genE0ELNS1_11target_archE4294967295ELNS1_3gpuE0ELNS1_3repE0EEENS1_30default_config_static_selectorELNS0_4arch9wavefront6targetE0EEEvSW_.has_indirect_call, 0
	.section	.AMDGPU.csdata,"",@progbits
; Kernel info:
; codeLenInByte = 620
; TotalNumSgprs: 20
; NumVgprs: 11
; ScratchSize: 0
; MemoryBound: 0
; FloatMode: 240
; IeeeMode: 1
; LDSByteSize: 0 bytes/workgroup (compile time only)
; SGPRBlocks: 0
; VGPRBlocks: 0
; NumSGPRsForWavesPerEU: 20
; NumVGPRsForWavesPerEU: 11
; NamedBarCnt: 0
; Occupancy: 16
; WaveLimiterHint : 0
; COMPUTE_PGM_RSRC2:SCRATCH_EN: 0
; COMPUTE_PGM_RSRC2:USER_SGPR: 2
; COMPUTE_PGM_RSRC2:TRAP_HANDLER: 0
; COMPUTE_PGM_RSRC2:TGID_X_EN: 1
; COMPUTE_PGM_RSRC2:TGID_Y_EN: 0
; COMPUTE_PGM_RSRC2:TGID_Z_EN: 0
; COMPUTE_PGM_RSRC2:TIDIG_COMP_CNT: 0
	.section	.text._ZN7rocprim17ROCPRIM_400000_NS6detail17trampoline_kernelINS0_14default_configENS1_27lower_bound_config_selectorIilEEZNS1_14transform_implILb0ES3_S5_N6thrust23THRUST_200600_302600_NS6detail15normal_iteratorINS8_7pointerIiNS8_11hip_rocprim3tagENS8_11use_defaultESE_EEEENSA_INSB_IlSD_SE_SE_EEEEZNS1_13binary_searchIS3_S5_NSA_INSB_IiSD_NS8_16tagged_referenceIiSD_EESE_EEEESG_SI_NS1_21lower_bound_search_opENS9_16wrapped_functionINS8_7greaterIiEEbEEEE10hipError_tPvRmT1_T2_T3_mmT4_T5_P12ihipStream_tbEUlRKiE_EEST_SX_SY_mSZ_S12_bEUlT_E_NS1_11comp_targetILNS1_3genE5ELNS1_11target_archE942ELNS1_3gpuE9ELNS1_3repE0EEENS1_30default_config_static_selectorELNS0_4arch9wavefront6targetE0EEEvSW_,"axG",@progbits,_ZN7rocprim17ROCPRIM_400000_NS6detail17trampoline_kernelINS0_14default_configENS1_27lower_bound_config_selectorIilEEZNS1_14transform_implILb0ES3_S5_N6thrust23THRUST_200600_302600_NS6detail15normal_iteratorINS8_7pointerIiNS8_11hip_rocprim3tagENS8_11use_defaultESE_EEEENSA_INSB_IlSD_SE_SE_EEEEZNS1_13binary_searchIS3_S5_NSA_INSB_IiSD_NS8_16tagged_referenceIiSD_EESE_EEEESG_SI_NS1_21lower_bound_search_opENS9_16wrapped_functionINS8_7greaterIiEEbEEEE10hipError_tPvRmT1_T2_T3_mmT4_T5_P12ihipStream_tbEUlRKiE_EEST_SX_SY_mSZ_S12_bEUlT_E_NS1_11comp_targetILNS1_3genE5ELNS1_11target_archE942ELNS1_3gpuE9ELNS1_3repE0EEENS1_30default_config_static_selectorELNS0_4arch9wavefront6targetE0EEEvSW_,comdat
	.protected	_ZN7rocprim17ROCPRIM_400000_NS6detail17trampoline_kernelINS0_14default_configENS1_27lower_bound_config_selectorIilEEZNS1_14transform_implILb0ES3_S5_N6thrust23THRUST_200600_302600_NS6detail15normal_iteratorINS8_7pointerIiNS8_11hip_rocprim3tagENS8_11use_defaultESE_EEEENSA_INSB_IlSD_SE_SE_EEEEZNS1_13binary_searchIS3_S5_NSA_INSB_IiSD_NS8_16tagged_referenceIiSD_EESE_EEEESG_SI_NS1_21lower_bound_search_opENS9_16wrapped_functionINS8_7greaterIiEEbEEEE10hipError_tPvRmT1_T2_T3_mmT4_T5_P12ihipStream_tbEUlRKiE_EEST_SX_SY_mSZ_S12_bEUlT_E_NS1_11comp_targetILNS1_3genE5ELNS1_11target_archE942ELNS1_3gpuE9ELNS1_3repE0EEENS1_30default_config_static_selectorELNS0_4arch9wavefront6targetE0EEEvSW_ ; -- Begin function _ZN7rocprim17ROCPRIM_400000_NS6detail17trampoline_kernelINS0_14default_configENS1_27lower_bound_config_selectorIilEEZNS1_14transform_implILb0ES3_S5_N6thrust23THRUST_200600_302600_NS6detail15normal_iteratorINS8_7pointerIiNS8_11hip_rocprim3tagENS8_11use_defaultESE_EEEENSA_INSB_IlSD_SE_SE_EEEEZNS1_13binary_searchIS3_S5_NSA_INSB_IiSD_NS8_16tagged_referenceIiSD_EESE_EEEESG_SI_NS1_21lower_bound_search_opENS9_16wrapped_functionINS8_7greaterIiEEbEEEE10hipError_tPvRmT1_T2_T3_mmT4_T5_P12ihipStream_tbEUlRKiE_EEST_SX_SY_mSZ_S12_bEUlT_E_NS1_11comp_targetILNS1_3genE5ELNS1_11target_archE942ELNS1_3gpuE9ELNS1_3repE0EEENS1_30default_config_static_selectorELNS0_4arch9wavefront6targetE0EEEvSW_
	.globl	_ZN7rocprim17ROCPRIM_400000_NS6detail17trampoline_kernelINS0_14default_configENS1_27lower_bound_config_selectorIilEEZNS1_14transform_implILb0ES3_S5_N6thrust23THRUST_200600_302600_NS6detail15normal_iteratorINS8_7pointerIiNS8_11hip_rocprim3tagENS8_11use_defaultESE_EEEENSA_INSB_IlSD_SE_SE_EEEEZNS1_13binary_searchIS3_S5_NSA_INSB_IiSD_NS8_16tagged_referenceIiSD_EESE_EEEESG_SI_NS1_21lower_bound_search_opENS9_16wrapped_functionINS8_7greaterIiEEbEEEE10hipError_tPvRmT1_T2_T3_mmT4_T5_P12ihipStream_tbEUlRKiE_EEST_SX_SY_mSZ_S12_bEUlT_E_NS1_11comp_targetILNS1_3genE5ELNS1_11target_archE942ELNS1_3gpuE9ELNS1_3repE0EEENS1_30default_config_static_selectorELNS0_4arch9wavefront6targetE0EEEvSW_
	.p2align	8
	.type	_ZN7rocprim17ROCPRIM_400000_NS6detail17trampoline_kernelINS0_14default_configENS1_27lower_bound_config_selectorIilEEZNS1_14transform_implILb0ES3_S5_N6thrust23THRUST_200600_302600_NS6detail15normal_iteratorINS8_7pointerIiNS8_11hip_rocprim3tagENS8_11use_defaultESE_EEEENSA_INSB_IlSD_SE_SE_EEEEZNS1_13binary_searchIS3_S5_NSA_INSB_IiSD_NS8_16tagged_referenceIiSD_EESE_EEEESG_SI_NS1_21lower_bound_search_opENS9_16wrapped_functionINS8_7greaterIiEEbEEEE10hipError_tPvRmT1_T2_T3_mmT4_T5_P12ihipStream_tbEUlRKiE_EEST_SX_SY_mSZ_S12_bEUlT_E_NS1_11comp_targetILNS1_3genE5ELNS1_11target_archE942ELNS1_3gpuE9ELNS1_3repE0EEENS1_30default_config_static_selectorELNS0_4arch9wavefront6targetE0EEEvSW_,@function
_ZN7rocprim17ROCPRIM_400000_NS6detail17trampoline_kernelINS0_14default_configENS1_27lower_bound_config_selectorIilEEZNS1_14transform_implILb0ES3_S5_N6thrust23THRUST_200600_302600_NS6detail15normal_iteratorINS8_7pointerIiNS8_11hip_rocprim3tagENS8_11use_defaultESE_EEEENSA_INSB_IlSD_SE_SE_EEEEZNS1_13binary_searchIS3_S5_NSA_INSB_IiSD_NS8_16tagged_referenceIiSD_EESE_EEEESG_SI_NS1_21lower_bound_search_opENS9_16wrapped_functionINS8_7greaterIiEEbEEEE10hipError_tPvRmT1_T2_T3_mmT4_T5_P12ihipStream_tbEUlRKiE_EEST_SX_SY_mSZ_S12_bEUlT_E_NS1_11comp_targetILNS1_3genE5ELNS1_11target_archE942ELNS1_3gpuE9ELNS1_3repE0EEENS1_30default_config_static_selectorELNS0_4arch9wavefront6targetE0EEEvSW_: ; @_ZN7rocprim17ROCPRIM_400000_NS6detail17trampoline_kernelINS0_14default_configENS1_27lower_bound_config_selectorIilEEZNS1_14transform_implILb0ES3_S5_N6thrust23THRUST_200600_302600_NS6detail15normal_iteratorINS8_7pointerIiNS8_11hip_rocprim3tagENS8_11use_defaultESE_EEEENSA_INSB_IlSD_SE_SE_EEEEZNS1_13binary_searchIS3_S5_NSA_INSB_IiSD_NS8_16tagged_referenceIiSD_EESE_EEEESG_SI_NS1_21lower_bound_search_opENS9_16wrapped_functionINS8_7greaterIiEEbEEEE10hipError_tPvRmT1_T2_T3_mmT4_T5_P12ihipStream_tbEUlRKiE_EEST_SX_SY_mSZ_S12_bEUlT_E_NS1_11comp_targetILNS1_3genE5ELNS1_11target_archE942ELNS1_3gpuE9ELNS1_3repE0EEENS1_30default_config_static_selectorELNS0_4arch9wavefront6targetE0EEEvSW_
; %bb.0:
	.section	.rodata,"a",@progbits
	.p2align	6, 0x0
	.amdhsa_kernel _ZN7rocprim17ROCPRIM_400000_NS6detail17trampoline_kernelINS0_14default_configENS1_27lower_bound_config_selectorIilEEZNS1_14transform_implILb0ES3_S5_N6thrust23THRUST_200600_302600_NS6detail15normal_iteratorINS8_7pointerIiNS8_11hip_rocprim3tagENS8_11use_defaultESE_EEEENSA_INSB_IlSD_SE_SE_EEEEZNS1_13binary_searchIS3_S5_NSA_INSB_IiSD_NS8_16tagged_referenceIiSD_EESE_EEEESG_SI_NS1_21lower_bound_search_opENS9_16wrapped_functionINS8_7greaterIiEEbEEEE10hipError_tPvRmT1_T2_T3_mmT4_T5_P12ihipStream_tbEUlRKiE_EEST_SX_SY_mSZ_S12_bEUlT_E_NS1_11comp_targetILNS1_3genE5ELNS1_11target_archE942ELNS1_3gpuE9ELNS1_3repE0EEENS1_30default_config_static_selectorELNS0_4arch9wavefront6targetE0EEEvSW_
		.amdhsa_group_segment_fixed_size 0
		.amdhsa_private_segment_fixed_size 0
		.amdhsa_kernarg_size 56
		.amdhsa_user_sgpr_count 2
		.amdhsa_user_sgpr_dispatch_ptr 0
		.amdhsa_user_sgpr_queue_ptr 0
		.amdhsa_user_sgpr_kernarg_segment_ptr 1
		.amdhsa_user_sgpr_dispatch_id 0
		.amdhsa_user_sgpr_kernarg_preload_length 0
		.amdhsa_user_sgpr_kernarg_preload_offset 0
		.amdhsa_user_sgpr_private_segment_size 0
		.amdhsa_wavefront_size32 1
		.amdhsa_uses_dynamic_stack 0
		.amdhsa_enable_private_segment 0
		.amdhsa_system_sgpr_workgroup_id_x 1
		.amdhsa_system_sgpr_workgroup_id_y 0
		.amdhsa_system_sgpr_workgroup_id_z 0
		.amdhsa_system_sgpr_workgroup_info 0
		.amdhsa_system_vgpr_workitem_id 0
		.amdhsa_next_free_vgpr 1
		.amdhsa_next_free_sgpr 1
		.amdhsa_named_barrier_count 0
		.amdhsa_reserve_vcc 0
		.amdhsa_float_round_mode_32 0
		.amdhsa_float_round_mode_16_64 0
		.amdhsa_float_denorm_mode_32 3
		.amdhsa_float_denorm_mode_16_64 3
		.amdhsa_fp16_overflow 0
		.amdhsa_memory_ordered 1
		.amdhsa_forward_progress 1
		.amdhsa_inst_pref_size 0
		.amdhsa_round_robin_scheduling 0
		.amdhsa_exception_fp_ieee_invalid_op 0
		.amdhsa_exception_fp_denorm_src 0
		.amdhsa_exception_fp_ieee_div_zero 0
		.amdhsa_exception_fp_ieee_overflow 0
		.amdhsa_exception_fp_ieee_underflow 0
		.amdhsa_exception_fp_ieee_inexact 0
		.amdhsa_exception_int_div_zero 0
	.end_amdhsa_kernel
	.section	.text._ZN7rocprim17ROCPRIM_400000_NS6detail17trampoline_kernelINS0_14default_configENS1_27lower_bound_config_selectorIilEEZNS1_14transform_implILb0ES3_S5_N6thrust23THRUST_200600_302600_NS6detail15normal_iteratorINS8_7pointerIiNS8_11hip_rocprim3tagENS8_11use_defaultESE_EEEENSA_INSB_IlSD_SE_SE_EEEEZNS1_13binary_searchIS3_S5_NSA_INSB_IiSD_NS8_16tagged_referenceIiSD_EESE_EEEESG_SI_NS1_21lower_bound_search_opENS9_16wrapped_functionINS8_7greaterIiEEbEEEE10hipError_tPvRmT1_T2_T3_mmT4_T5_P12ihipStream_tbEUlRKiE_EEST_SX_SY_mSZ_S12_bEUlT_E_NS1_11comp_targetILNS1_3genE5ELNS1_11target_archE942ELNS1_3gpuE9ELNS1_3repE0EEENS1_30default_config_static_selectorELNS0_4arch9wavefront6targetE0EEEvSW_,"axG",@progbits,_ZN7rocprim17ROCPRIM_400000_NS6detail17trampoline_kernelINS0_14default_configENS1_27lower_bound_config_selectorIilEEZNS1_14transform_implILb0ES3_S5_N6thrust23THRUST_200600_302600_NS6detail15normal_iteratorINS8_7pointerIiNS8_11hip_rocprim3tagENS8_11use_defaultESE_EEEENSA_INSB_IlSD_SE_SE_EEEEZNS1_13binary_searchIS3_S5_NSA_INSB_IiSD_NS8_16tagged_referenceIiSD_EESE_EEEESG_SI_NS1_21lower_bound_search_opENS9_16wrapped_functionINS8_7greaterIiEEbEEEE10hipError_tPvRmT1_T2_T3_mmT4_T5_P12ihipStream_tbEUlRKiE_EEST_SX_SY_mSZ_S12_bEUlT_E_NS1_11comp_targetILNS1_3genE5ELNS1_11target_archE942ELNS1_3gpuE9ELNS1_3repE0EEENS1_30default_config_static_selectorELNS0_4arch9wavefront6targetE0EEEvSW_,comdat
.Lfunc_end59:
	.size	_ZN7rocprim17ROCPRIM_400000_NS6detail17trampoline_kernelINS0_14default_configENS1_27lower_bound_config_selectorIilEEZNS1_14transform_implILb0ES3_S5_N6thrust23THRUST_200600_302600_NS6detail15normal_iteratorINS8_7pointerIiNS8_11hip_rocprim3tagENS8_11use_defaultESE_EEEENSA_INSB_IlSD_SE_SE_EEEEZNS1_13binary_searchIS3_S5_NSA_INSB_IiSD_NS8_16tagged_referenceIiSD_EESE_EEEESG_SI_NS1_21lower_bound_search_opENS9_16wrapped_functionINS8_7greaterIiEEbEEEE10hipError_tPvRmT1_T2_T3_mmT4_T5_P12ihipStream_tbEUlRKiE_EEST_SX_SY_mSZ_S12_bEUlT_E_NS1_11comp_targetILNS1_3genE5ELNS1_11target_archE942ELNS1_3gpuE9ELNS1_3repE0EEENS1_30default_config_static_selectorELNS0_4arch9wavefront6targetE0EEEvSW_, .Lfunc_end59-_ZN7rocprim17ROCPRIM_400000_NS6detail17trampoline_kernelINS0_14default_configENS1_27lower_bound_config_selectorIilEEZNS1_14transform_implILb0ES3_S5_N6thrust23THRUST_200600_302600_NS6detail15normal_iteratorINS8_7pointerIiNS8_11hip_rocprim3tagENS8_11use_defaultESE_EEEENSA_INSB_IlSD_SE_SE_EEEEZNS1_13binary_searchIS3_S5_NSA_INSB_IiSD_NS8_16tagged_referenceIiSD_EESE_EEEESG_SI_NS1_21lower_bound_search_opENS9_16wrapped_functionINS8_7greaterIiEEbEEEE10hipError_tPvRmT1_T2_T3_mmT4_T5_P12ihipStream_tbEUlRKiE_EEST_SX_SY_mSZ_S12_bEUlT_E_NS1_11comp_targetILNS1_3genE5ELNS1_11target_archE942ELNS1_3gpuE9ELNS1_3repE0EEENS1_30default_config_static_selectorELNS0_4arch9wavefront6targetE0EEEvSW_
                                        ; -- End function
	.set _ZN7rocprim17ROCPRIM_400000_NS6detail17trampoline_kernelINS0_14default_configENS1_27lower_bound_config_selectorIilEEZNS1_14transform_implILb0ES3_S5_N6thrust23THRUST_200600_302600_NS6detail15normal_iteratorINS8_7pointerIiNS8_11hip_rocprim3tagENS8_11use_defaultESE_EEEENSA_INSB_IlSD_SE_SE_EEEEZNS1_13binary_searchIS3_S5_NSA_INSB_IiSD_NS8_16tagged_referenceIiSD_EESE_EEEESG_SI_NS1_21lower_bound_search_opENS9_16wrapped_functionINS8_7greaterIiEEbEEEE10hipError_tPvRmT1_T2_T3_mmT4_T5_P12ihipStream_tbEUlRKiE_EEST_SX_SY_mSZ_S12_bEUlT_E_NS1_11comp_targetILNS1_3genE5ELNS1_11target_archE942ELNS1_3gpuE9ELNS1_3repE0EEENS1_30default_config_static_selectorELNS0_4arch9wavefront6targetE0EEEvSW_.num_vgpr, 0
	.set _ZN7rocprim17ROCPRIM_400000_NS6detail17trampoline_kernelINS0_14default_configENS1_27lower_bound_config_selectorIilEEZNS1_14transform_implILb0ES3_S5_N6thrust23THRUST_200600_302600_NS6detail15normal_iteratorINS8_7pointerIiNS8_11hip_rocprim3tagENS8_11use_defaultESE_EEEENSA_INSB_IlSD_SE_SE_EEEEZNS1_13binary_searchIS3_S5_NSA_INSB_IiSD_NS8_16tagged_referenceIiSD_EESE_EEEESG_SI_NS1_21lower_bound_search_opENS9_16wrapped_functionINS8_7greaterIiEEbEEEE10hipError_tPvRmT1_T2_T3_mmT4_T5_P12ihipStream_tbEUlRKiE_EEST_SX_SY_mSZ_S12_bEUlT_E_NS1_11comp_targetILNS1_3genE5ELNS1_11target_archE942ELNS1_3gpuE9ELNS1_3repE0EEENS1_30default_config_static_selectorELNS0_4arch9wavefront6targetE0EEEvSW_.num_agpr, 0
	.set _ZN7rocprim17ROCPRIM_400000_NS6detail17trampoline_kernelINS0_14default_configENS1_27lower_bound_config_selectorIilEEZNS1_14transform_implILb0ES3_S5_N6thrust23THRUST_200600_302600_NS6detail15normal_iteratorINS8_7pointerIiNS8_11hip_rocprim3tagENS8_11use_defaultESE_EEEENSA_INSB_IlSD_SE_SE_EEEEZNS1_13binary_searchIS3_S5_NSA_INSB_IiSD_NS8_16tagged_referenceIiSD_EESE_EEEESG_SI_NS1_21lower_bound_search_opENS9_16wrapped_functionINS8_7greaterIiEEbEEEE10hipError_tPvRmT1_T2_T3_mmT4_T5_P12ihipStream_tbEUlRKiE_EEST_SX_SY_mSZ_S12_bEUlT_E_NS1_11comp_targetILNS1_3genE5ELNS1_11target_archE942ELNS1_3gpuE9ELNS1_3repE0EEENS1_30default_config_static_selectorELNS0_4arch9wavefront6targetE0EEEvSW_.numbered_sgpr, 0
	.set _ZN7rocprim17ROCPRIM_400000_NS6detail17trampoline_kernelINS0_14default_configENS1_27lower_bound_config_selectorIilEEZNS1_14transform_implILb0ES3_S5_N6thrust23THRUST_200600_302600_NS6detail15normal_iteratorINS8_7pointerIiNS8_11hip_rocprim3tagENS8_11use_defaultESE_EEEENSA_INSB_IlSD_SE_SE_EEEEZNS1_13binary_searchIS3_S5_NSA_INSB_IiSD_NS8_16tagged_referenceIiSD_EESE_EEEESG_SI_NS1_21lower_bound_search_opENS9_16wrapped_functionINS8_7greaterIiEEbEEEE10hipError_tPvRmT1_T2_T3_mmT4_T5_P12ihipStream_tbEUlRKiE_EEST_SX_SY_mSZ_S12_bEUlT_E_NS1_11comp_targetILNS1_3genE5ELNS1_11target_archE942ELNS1_3gpuE9ELNS1_3repE0EEENS1_30default_config_static_selectorELNS0_4arch9wavefront6targetE0EEEvSW_.num_named_barrier, 0
	.set _ZN7rocprim17ROCPRIM_400000_NS6detail17trampoline_kernelINS0_14default_configENS1_27lower_bound_config_selectorIilEEZNS1_14transform_implILb0ES3_S5_N6thrust23THRUST_200600_302600_NS6detail15normal_iteratorINS8_7pointerIiNS8_11hip_rocprim3tagENS8_11use_defaultESE_EEEENSA_INSB_IlSD_SE_SE_EEEEZNS1_13binary_searchIS3_S5_NSA_INSB_IiSD_NS8_16tagged_referenceIiSD_EESE_EEEESG_SI_NS1_21lower_bound_search_opENS9_16wrapped_functionINS8_7greaterIiEEbEEEE10hipError_tPvRmT1_T2_T3_mmT4_T5_P12ihipStream_tbEUlRKiE_EEST_SX_SY_mSZ_S12_bEUlT_E_NS1_11comp_targetILNS1_3genE5ELNS1_11target_archE942ELNS1_3gpuE9ELNS1_3repE0EEENS1_30default_config_static_selectorELNS0_4arch9wavefront6targetE0EEEvSW_.private_seg_size, 0
	.set _ZN7rocprim17ROCPRIM_400000_NS6detail17trampoline_kernelINS0_14default_configENS1_27lower_bound_config_selectorIilEEZNS1_14transform_implILb0ES3_S5_N6thrust23THRUST_200600_302600_NS6detail15normal_iteratorINS8_7pointerIiNS8_11hip_rocprim3tagENS8_11use_defaultESE_EEEENSA_INSB_IlSD_SE_SE_EEEEZNS1_13binary_searchIS3_S5_NSA_INSB_IiSD_NS8_16tagged_referenceIiSD_EESE_EEEESG_SI_NS1_21lower_bound_search_opENS9_16wrapped_functionINS8_7greaterIiEEbEEEE10hipError_tPvRmT1_T2_T3_mmT4_T5_P12ihipStream_tbEUlRKiE_EEST_SX_SY_mSZ_S12_bEUlT_E_NS1_11comp_targetILNS1_3genE5ELNS1_11target_archE942ELNS1_3gpuE9ELNS1_3repE0EEENS1_30default_config_static_selectorELNS0_4arch9wavefront6targetE0EEEvSW_.uses_vcc, 0
	.set _ZN7rocprim17ROCPRIM_400000_NS6detail17trampoline_kernelINS0_14default_configENS1_27lower_bound_config_selectorIilEEZNS1_14transform_implILb0ES3_S5_N6thrust23THRUST_200600_302600_NS6detail15normal_iteratorINS8_7pointerIiNS8_11hip_rocprim3tagENS8_11use_defaultESE_EEEENSA_INSB_IlSD_SE_SE_EEEEZNS1_13binary_searchIS3_S5_NSA_INSB_IiSD_NS8_16tagged_referenceIiSD_EESE_EEEESG_SI_NS1_21lower_bound_search_opENS9_16wrapped_functionINS8_7greaterIiEEbEEEE10hipError_tPvRmT1_T2_T3_mmT4_T5_P12ihipStream_tbEUlRKiE_EEST_SX_SY_mSZ_S12_bEUlT_E_NS1_11comp_targetILNS1_3genE5ELNS1_11target_archE942ELNS1_3gpuE9ELNS1_3repE0EEENS1_30default_config_static_selectorELNS0_4arch9wavefront6targetE0EEEvSW_.uses_flat_scratch, 0
	.set _ZN7rocprim17ROCPRIM_400000_NS6detail17trampoline_kernelINS0_14default_configENS1_27lower_bound_config_selectorIilEEZNS1_14transform_implILb0ES3_S5_N6thrust23THRUST_200600_302600_NS6detail15normal_iteratorINS8_7pointerIiNS8_11hip_rocprim3tagENS8_11use_defaultESE_EEEENSA_INSB_IlSD_SE_SE_EEEEZNS1_13binary_searchIS3_S5_NSA_INSB_IiSD_NS8_16tagged_referenceIiSD_EESE_EEEESG_SI_NS1_21lower_bound_search_opENS9_16wrapped_functionINS8_7greaterIiEEbEEEE10hipError_tPvRmT1_T2_T3_mmT4_T5_P12ihipStream_tbEUlRKiE_EEST_SX_SY_mSZ_S12_bEUlT_E_NS1_11comp_targetILNS1_3genE5ELNS1_11target_archE942ELNS1_3gpuE9ELNS1_3repE0EEENS1_30default_config_static_selectorELNS0_4arch9wavefront6targetE0EEEvSW_.has_dyn_sized_stack, 0
	.set _ZN7rocprim17ROCPRIM_400000_NS6detail17trampoline_kernelINS0_14default_configENS1_27lower_bound_config_selectorIilEEZNS1_14transform_implILb0ES3_S5_N6thrust23THRUST_200600_302600_NS6detail15normal_iteratorINS8_7pointerIiNS8_11hip_rocprim3tagENS8_11use_defaultESE_EEEENSA_INSB_IlSD_SE_SE_EEEEZNS1_13binary_searchIS3_S5_NSA_INSB_IiSD_NS8_16tagged_referenceIiSD_EESE_EEEESG_SI_NS1_21lower_bound_search_opENS9_16wrapped_functionINS8_7greaterIiEEbEEEE10hipError_tPvRmT1_T2_T3_mmT4_T5_P12ihipStream_tbEUlRKiE_EEST_SX_SY_mSZ_S12_bEUlT_E_NS1_11comp_targetILNS1_3genE5ELNS1_11target_archE942ELNS1_3gpuE9ELNS1_3repE0EEENS1_30default_config_static_selectorELNS0_4arch9wavefront6targetE0EEEvSW_.has_recursion, 0
	.set _ZN7rocprim17ROCPRIM_400000_NS6detail17trampoline_kernelINS0_14default_configENS1_27lower_bound_config_selectorIilEEZNS1_14transform_implILb0ES3_S5_N6thrust23THRUST_200600_302600_NS6detail15normal_iteratorINS8_7pointerIiNS8_11hip_rocprim3tagENS8_11use_defaultESE_EEEENSA_INSB_IlSD_SE_SE_EEEEZNS1_13binary_searchIS3_S5_NSA_INSB_IiSD_NS8_16tagged_referenceIiSD_EESE_EEEESG_SI_NS1_21lower_bound_search_opENS9_16wrapped_functionINS8_7greaterIiEEbEEEE10hipError_tPvRmT1_T2_T3_mmT4_T5_P12ihipStream_tbEUlRKiE_EEST_SX_SY_mSZ_S12_bEUlT_E_NS1_11comp_targetILNS1_3genE5ELNS1_11target_archE942ELNS1_3gpuE9ELNS1_3repE0EEENS1_30default_config_static_selectorELNS0_4arch9wavefront6targetE0EEEvSW_.has_indirect_call, 0
	.section	.AMDGPU.csdata,"",@progbits
; Kernel info:
; codeLenInByte = 0
; TotalNumSgprs: 0
; NumVgprs: 0
; ScratchSize: 0
; MemoryBound: 0
; FloatMode: 240
; IeeeMode: 1
; LDSByteSize: 0 bytes/workgroup (compile time only)
; SGPRBlocks: 0
; VGPRBlocks: 0
; NumSGPRsForWavesPerEU: 1
; NumVGPRsForWavesPerEU: 1
; NamedBarCnt: 0
; Occupancy: 16
; WaveLimiterHint : 0
; COMPUTE_PGM_RSRC2:SCRATCH_EN: 0
; COMPUTE_PGM_RSRC2:USER_SGPR: 2
; COMPUTE_PGM_RSRC2:TRAP_HANDLER: 0
; COMPUTE_PGM_RSRC2:TGID_X_EN: 1
; COMPUTE_PGM_RSRC2:TGID_Y_EN: 0
; COMPUTE_PGM_RSRC2:TGID_Z_EN: 0
; COMPUTE_PGM_RSRC2:TIDIG_COMP_CNT: 0
	.section	.text._ZN7rocprim17ROCPRIM_400000_NS6detail17trampoline_kernelINS0_14default_configENS1_27lower_bound_config_selectorIilEEZNS1_14transform_implILb0ES3_S5_N6thrust23THRUST_200600_302600_NS6detail15normal_iteratorINS8_7pointerIiNS8_11hip_rocprim3tagENS8_11use_defaultESE_EEEENSA_INSB_IlSD_SE_SE_EEEEZNS1_13binary_searchIS3_S5_NSA_INSB_IiSD_NS8_16tagged_referenceIiSD_EESE_EEEESG_SI_NS1_21lower_bound_search_opENS9_16wrapped_functionINS8_7greaterIiEEbEEEE10hipError_tPvRmT1_T2_T3_mmT4_T5_P12ihipStream_tbEUlRKiE_EEST_SX_SY_mSZ_S12_bEUlT_E_NS1_11comp_targetILNS1_3genE4ELNS1_11target_archE910ELNS1_3gpuE8ELNS1_3repE0EEENS1_30default_config_static_selectorELNS0_4arch9wavefront6targetE0EEEvSW_,"axG",@progbits,_ZN7rocprim17ROCPRIM_400000_NS6detail17trampoline_kernelINS0_14default_configENS1_27lower_bound_config_selectorIilEEZNS1_14transform_implILb0ES3_S5_N6thrust23THRUST_200600_302600_NS6detail15normal_iteratorINS8_7pointerIiNS8_11hip_rocprim3tagENS8_11use_defaultESE_EEEENSA_INSB_IlSD_SE_SE_EEEEZNS1_13binary_searchIS3_S5_NSA_INSB_IiSD_NS8_16tagged_referenceIiSD_EESE_EEEESG_SI_NS1_21lower_bound_search_opENS9_16wrapped_functionINS8_7greaterIiEEbEEEE10hipError_tPvRmT1_T2_T3_mmT4_T5_P12ihipStream_tbEUlRKiE_EEST_SX_SY_mSZ_S12_bEUlT_E_NS1_11comp_targetILNS1_3genE4ELNS1_11target_archE910ELNS1_3gpuE8ELNS1_3repE0EEENS1_30default_config_static_selectorELNS0_4arch9wavefront6targetE0EEEvSW_,comdat
	.protected	_ZN7rocprim17ROCPRIM_400000_NS6detail17trampoline_kernelINS0_14default_configENS1_27lower_bound_config_selectorIilEEZNS1_14transform_implILb0ES3_S5_N6thrust23THRUST_200600_302600_NS6detail15normal_iteratorINS8_7pointerIiNS8_11hip_rocprim3tagENS8_11use_defaultESE_EEEENSA_INSB_IlSD_SE_SE_EEEEZNS1_13binary_searchIS3_S5_NSA_INSB_IiSD_NS8_16tagged_referenceIiSD_EESE_EEEESG_SI_NS1_21lower_bound_search_opENS9_16wrapped_functionINS8_7greaterIiEEbEEEE10hipError_tPvRmT1_T2_T3_mmT4_T5_P12ihipStream_tbEUlRKiE_EEST_SX_SY_mSZ_S12_bEUlT_E_NS1_11comp_targetILNS1_3genE4ELNS1_11target_archE910ELNS1_3gpuE8ELNS1_3repE0EEENS1_30default_config_static_selectorELNS0_4arch9wavefront6targetE0EEEvSW_ ; -- Begin function _ZN7rocprim17ROCPRIM_400000_NS6detail17trampoline_kernelINS0_14default_configENS1_27lower_bound_config_selectorIilEEZNS1_14transform_implILb0ES3_S5_N6thrust23THRUST_200600_302600_NS6detail15normal_iteratorINS8_7pointerIiNS8_11hip_rocprim3tagENS8_11use_defaultESE_EEEENSA_INSB_IlSD_SE_SE_EEEEZNS1_13binary_searchIS3_S5_NSA_INSB_IiSD_NS8_16tagged_referenceIiSD_EESE_EEEESG_SI_NS1_21lower_bound_search_opENS9_16wrapped_functionINS8_7greaterIiEEbEEEE10hipError_tPvRmT1_T2_T3_mmT4_T5_P12ihipStream_tbEUlRKiE_EEST_SX_SY_mSZ_S12_bEUlT_E_NS1_11comp_targetILNS1_3genE4ELNS1_11target_archE910ELNS1_3gpuE8ELNS1_3repE0EEENS1_30default_config_static_selectorELNS0_4arch9wavefront6targetE0EEEvSW_
	.globl	_ZN7rocprim17ROCPRIM_400000_NS6detail17trampoline_kernelINS0_14default_configENS1_27lower_bound_config_selectorIilEEZNS1_14transform_implILb0ES3_S5_N6thrust23THRUST_200600_302600_NS6detail15normal_iteratorINS8_7pointerIiNS8_11hip_rocprim3tagENS8_11use_defaultESE_EEEENSA_INSB_IlSD_SE_SE_EEEEZNS1_13binary_searchIS3_S5_NSA_INSB_IiSD_NS8_16tagged_referenceIiSD_EESE_EEEESG_SI_NS1_21lower_bound_search_opENS9_16wrapped_functionINS8_7greaterIiEEbEEEE10hipError_tPvRmT1_T2_T3_mmT4_T5_P12ihipStream_tbEUlRKiE_EEST_SX_SY_mSZ_S12_bEUlT_E_NS1_11comp_targetILNS1_3genE4ELNS1_11target_archE910ELNS1_3gpuE8ELNS1_3repE0EEENS1_30default_config_static_selectorELNS0_4arch9wavefront6targetE0EEEvSW_
	.p2align	8
	.type	_ZN7rocprim17ROCPRIM_400000_NS6detail17trampoline_kernelINS0_14default_configENS1_27lower_bound_config_selectorIilEEZNS1_14transform_implILb0ES3_S5_N6thrust23THRUST_200600_302600_NS6detail15normal_iteratorINS8_7pointerIiNS8_11hip_rocprim3tagENS8_11use_defaultESE_EEEENSA_INSB_IlSD_SE_SE_EEEEZNS1_13binary_searchIS3_S5_NSA_INSB_IiSD_NS8_16tagged_referenceIiSD_EESE_EEEESG_SI_NS1_21lower_bound_search_opENS9_16wrapped_functionINS8_7greaterIiEEbEEEE10hipError_tPvRmT1_T2_T3_mmT4_T5_P12ihipStream_tbEUlRKiE_EEST_SX_SY_mSZ_S12_bEUlT_E_NS1_11comp_targetILNS1_3genE4ELNS1_11target_archE910ELNS1_3gpuE8ELNS1_3repE0EEENS1_30default_config_static_selectorELNS0_4arch9wavefront6targetE0EEEvSW_,@function
_ZN7rocprim17ROCPRIM_400000_NS6detail17trampoline_kernelINS0_14default_configENS1_27lower_bound_config_selectorIilEEZNS1_14transform_implILb0ES3_S5_N6thrust23THRUST_200600_302600_NS6detail15normal_iteratorINS8_7pointerIiNS8_11hip_rocprim3tagENS8_11use_defaultESE_EEEENSA_INSB_IlSD_SE_SE_EEEEZNS1_13binary_searchIS3_S5_NSA_INSB_IiSD_NS8_16tagged_referenceIiSD_EESE_EEEESG_SI_NS1_21lower_bound_search_opENS9_16wrapped_functionINS8_7greaterIiEEbEEEE10hipError_tPvRmT1_T2_T3_mmT4_T5_P12ihipStream_tbEUlRKiE_EEST_SX_SY_mSZ_S12_bEUlT_E_NS1_11comp_targetILNS1_3genE4ELNS1_11target_archE910ELNS1_3gpuE8ELNS1_3repE0EEENS1_30default_config_static_selectorELNS0_4arch9wavefront6targetE0EEEvSW_: ; @_ZN7rocprim17ROCPRIM_400000_NS6detail17trampoline_kernelINS0_14default_configENS1_27lower_bound_config_selectorIilEEZNS1_14transform_implILb0ES3_S5_N6thrust23THRUST_200600_302600_NS6detail15normal_iteratorINS8_7pointerIiNS8_11hip_rocprim3tagENS8_11use_defaultESE_EEEENSA_INSB_IlSD_SE_SE_EEEEZNS1_13binary_searchIS3_S5_NSA_INSB_IiSD_NS8_16tagged_referenceIiSD_EESE_EEEESG_SI_NS1_21lower_bound_search_opENS9_16wrapped_functionINS8_7greaterIiEEbEEEE10hipError_tPvRmT1_T2_T3_mmT4_T5_P12ihipStream_tbEUlRKiE_EEST_SX_SY_mSZ_S12_bEUlT_E_NS1_11comp_targetILNS1_3genE4ELNS1_11target_archE910ELNS1_3gpuE8ELNS1_3repE0EEENS1_30default_config_static_selectorELNS0_4arch9wavefront6targetE0EEEvSW_
; %bb.0:
	.section	.rodata,"a",@progbits
	.p2align	6, 0x0
	.amdhsa_kernel _ZN7rocprim17ROCPRIM_400000_NS6detail17trampoline_kernelINS0_14default_configENS1_27lower_bound_config_selectorIilEEZNS1_14transform_implILb0ES3_S5_N6thrust23THRUST_200600_302600_NS6detail15normal_iteratorINS8_7pointerIiNS8_11hip_rocprim3tagENS8_11use_defaultESE_EEEENSA_INSB_IlSD_SE_SE_EEEEZNS1_13binary_searchIS3_S5_NSA_INSB_IiSD_NS8_16tagged_referenceIiSD_EESE_EEEESG_SI_NS1_21lower_bound_search_opENS9_16wrapped_functionINS8_7greaterIiEEbEEEE10hipError_tPvRmT1_T2_T3_mmT4_T5_P12ihipStream_tbEUlRKiE_EEST_SX_SY_mSZ_S12_bEUlT_E_NS1_11comp_targetILNS1_3genE4ELNS1_11target_archE910ELNS1_3gpuE8ELNS1_3repE0EEENS1_30default_config_static_selectorELNS0_4arch9wavefront6targetE0EEEvSW_
		.amdhsa_group_segment_fixed_size 0
		.amdhsa_private_segment_fixed_size 0
		.amdhsa_kernarg_size 56
		.amdhsa_user_sgpr_count 2
		.amdhsa_user_sgpr_dispatch_ptr 0
		.amdhsa_user_sgpr_queue_ptr 0
		.amdhsa_user_sgpr_kernarg_segment_ptr 1
		.amdhsa_user_sgpr_dispatch_id 0
		.amdhsa_user_sgpr_kernarg_preload_length 0
		.amdhsa_user_sgpr_kernarg_preload_offset 0
		.amdhsa_user_sgpr_private_segment_size 0
		.amdhsa_wavefront_size32 1
		.amdhsa_uses_dynamic_stack 0
		.amdhsa_enable_private_segment 0
		.amdhsa_system_sgpr_workgroup_id_x 1
		.amdhsa_system_sgpr_workgroup_id_y 0
		.amdhsa_system_sgpr_workgroup_id_z 0
		.amdhsa_system_sgpr_workgroup_info 0
		.amdhsa_system_vgpr_workitem_id 0
		.amdhsa_next_free_vgpr 1
		.amdhsa_next_free_sgpr 1
		.amdhsa_named_barrier_count 0
		.amdhsa_reserve_vcc 0
		.amdhsa_float_round_mode_32 0
		.amdhsa_float_round_mode_16_64 0
		.amdhsa_float_denorm_mode_32 3
		.amdhsa_float_denorm_mode_16_64 3
		.amdhsa_fp16_overflow 0
		.amdhsa_memory_ordered 1
		.amdhsa_forward_progress 1
		.amdhsa_inst_pref_size 0
		.amdhsa_round_robin_scheduling 0
		.amdhsa_exception_fp_ieee_invalid_op 0
		.amdhsa_exception_fp_denorm_src 0
		.amdhsa_exception_fp_ieee_div_zero 0
		.amdhsa_exception_fp_ieee_overflow 0
		.amdhsa_exception_fp_ieee_underflow 0
		.amdhsa_exception_fp_ieee_inexact 0
		.amdhsa_exception_int_div_zero 0
	.end_amdhsa_kernel
	.section	.text._ZN7rocprim17ROCPRIM_400000_NS6detail17trampoline_kernelINS0_14default_configENS1_27lower_bound_config_selectorIilEEZNS1_14transform_implILb0ES3_S5_N6thrust23THRUST_200600_302600_NS6detail15normal_iteratorINS8_7pointerIiNS8_11hip_rocprim3tagENS8_11use_defaultESE_EEEENSA_INSB_IlSD_SE_SE_EEEEZNS1_13binary_searchIS3_S5_NSA_INSB_IiSD_NS8_16tagged_referenceIiSD_EESE_EEEESG_SI_NS1_21lower_bound_search_opENS9_16wrapped_functionINS8_7greaterIiEEbEEEE10hipError_tPvRmT1_T2_T3_mmT4_T5_P12ihipStream_tbEUlRKiE_EEST_SX_SY_mSZ_S12_bEUlT_E_NS1_11comp_targetILNS1_3genE4ELNS1_11target_archE910ELNS1_3gpuE8ELNS1_3repE0EEENS1_30default_config_static_selectorELNS0_4arch9wavefront6targetE0EEEvSW_,"axG",@progbits,_ZN7rocprim17ROCPRIM_400000_NS6detail17trampoline_kernelINS0_14default_configENS1_27lower_bound_config_selectorIilEEZNS1_14transform_implILb0ES3_S5_N6thrust23THRUST_200600_302600_NS6detail15normal_iteratorINS8_7pointerIiNS8_11hip_rocprim3tagENS8_11use_defaultESE_EEEENSA_INSB_IlSD_SE_SE_EEEEZNS1_13binary_searchIS3_S5_NSA_INSB_IiSD_NS8_16tagged_referenceIiSD_EESE_EEEESG_SI_NS1_21lower_bound_search_opENS9_16wrapped_functionINS8_7greaterIiEEbEEEE10hipError_tPvRmT1_T2_T3_mmT4_T5_P12ihipStream_tbEUlRKiE_EEST_SX_SY_mSZ_S12_bEUlT_E_NS1_11comp_targetILNS1_3genE4ELNS1_11target_archE910ELNS1_3gpuE8ELNS1_3repE0EEENS1_30default_config_static_selectorELNS0_4arch9wavefront6targetE0EEEvSW_,comdat
.Lfunc_end60:
	.size	_ZN7rocprim17ROCPRIM_400000_NS6detail17trampoline_kernelINS0_14default_configENS1_27lower_bound_config_selectorIilEEZNS1_14transform_implILb0ES3_S5_N6thrust23THRUST_200600_302600_NS6detail15normal_iteratorINS8_7pointerIiNS8_11hip_rocprim3tagENS8_11use_defaultESE_EEEENSA_INSB_IlSD_SE_SE_EEEEZNS1_13binary_searchIS3_S5_NSA_INSB_IiSD_NS8_16tagged_referenceIiSD_EESE_EEEESG_SI_NS1_21lower_bound_search_opENS9_16wrapped_functionINS8_7greaterIiEEbEEEE10hipError_tPvRmT1_T2_T3_mmT4_T5_P12ihipStream_tbEUlRKiE_EEST_SX_SY_mSZ_S12_bEUlT_E_NS1_11comp_targetILNS1_3genE4ELNS1_11target_archE910ELNS1_3gpuE8ELNS1_3repE0EEENS1_30default_config_static_selectorELNS0_4arch9wavefront6targetE0EEEvSW_, .Lfunc_end60-_ZN7rocprim17ROCPRIM_400000_NS6detail17trampoline_kernelINS0_14default_configENS1_27lower_bound_config_selectorIilEEZNS1_14transform_implILb0ES3_S5_N6thrust23THRUST_200600_302600_NS6detail15normal_iteratorINS8_7pointerIiNS8_11hip_rocprim3tagENS8_11use_defaultESE_EEEENSA_INSB_IlSD_SE_SE_EEEEZNS1_13binary_searchIS3_S5_NSA_INSB_IiSD_NS8_16tagged_referenceIiSD_EESE_EEEESG_SI_NS1_21lower_bound_search_opENS9_16wrapped_functionINS8_7greaterIiEEbEEEE10hipError_tPvRmT1_T2_T3_mmT4_T5_P12ihipStream_tbEUlRKiE_EEST_SX_SY_mSZ_S12_bEUlT_E_NS1_11comp_targetILNS1_3genE4ELNS1_11target_archE910ELNS1_3gpuE8ELNS1_3repE0EEENS1_30default_config_static_selectorELNS0_4arch9wavefront6targetE0EEEvSW_
                                        ; -- End function
	.set _ZN7rocprim17ROCPRIM_400000_NS6detail17trampoline_kernelINS0_14default_configENS1_27lower_bound_config_selectorIilEEZNS1_14transform_implILb0ES3_S5_N6thrust23THRUST_200600_302600_NS6detail15normal_iteratorINS8_7pointerIiNS8_11hip_rocprim3tagENS8_11use_defaultESE_EEEENSA_INSB_IlSD_SE_SE_EEEEZNS1_13binary_searchIS3_S5_NSA_INSB_IiSD_NS8_16tagged_referenceIiSD_EESE_EEEESG_SI_NS1_21lower_bound_search_opENS9_16wrapped_functionINS8_7greaterIiEEbEEEE10hipError_tPvRmT1_T2_T3_mmT4_T5_P12ihipStream_tbEUlRKiE_EEST_SX_SY_mSZ_S12_bEUlT_E_NS1_11comp_targetILNS1_3genE4ELNS1_11target_archE910ELNS1_3gpuE8ELNS1_3repE0EEENS1_30default_config_static_selectorELNS0_4arch9wavefront6targetE0EEEvSW_.num_vgpr, 0
	.set _ZN7rocprim17ROCPRIM_400000_NS6detail17trampoline_kernelINS0_14default_configENS1_27lower_bound_config_selectorIilEEZNS1_14transform_implILb0ES3_S5_N6thrust23THRUST_200600_302600_NS6detail15normal_iteratorINS8_7pointerIiNS8_11hip_rocprim3tagENS8_11use_defaultESE_EEEENSA_INSB_IlSD_SE_SE_EEEEZNS1_13binary_searchIS3_S5_NSA_INSB_IiSD_NS8_16tagged_referenceIiSD_EESE_EEEESG_SI_NS1_21lower_bound_search_opENS9_16wrapped_functionINS8_7greaterIiEEbEEEE10hipError_tPvRmT1_T2_T3_mmT4_T5_P12ihipStream_tbEUlRKiE_EEST_SX_SY_mSZ_S12_bEUlT_E_NS1_11comp_targetILNS1_3genE4ELNS1_11target_archE910ELNS1_3gpuE8ELNS1_3repE0EEENS1_30default_config_static_selectorELNS0_4arch9wavefront6targetE0EEEvSW_.num_agpr, 0
	.set _ZN7rocprim17ROCPRIM_400000_NS6detail17trampoline_kernelINS0_14default_configENS1_27lower_bound_config_selectorIilEEZNS1_14transform_implILb0ES3_S5_N6thrust23THRUST_200600_302600_NS6detail15normal_iteratorINS8_7pointerIiNS8_11hip_rocprim3tagENS8_11use_defaultESE_EEEENSA_INSB_IlSD_SE_SE_EEEEZNS1_13binary_searchIS3_S5_NSA_INSB_IiSD_NS8_16tagged_referenceIiSD_EESE_EEEESG_SI_NS1_21lower_bound_search_opENS9_16wrapped_functionINS8_7greaterIiEEbEEEE10hipError_tPvRmT1_T2_T3_mmT4_T5_P12ihipStream_tbEUlRKiE_EEST_SX_SY_mSZ_S12_bEUlT_E_NS1_11comp_targetILNS1_3genE4ELNS1_11target_archE910ELNS1_3gpuE8ELNS1_3repE0EEENS1_30default_config_static_selectorELNS0_4arch9wavefront6targetE0EEEvSW_.numbered_sgpr, 0
	.set _ZN7rocprim17ROCPRIM_400000_NS6detail17trampoline_kernelINS0_14default_configENS1_27lower_bound_config_selectorIilEEZNS1_14transform_implILb0ES3_S5_N6thrust23THRUST_200600_302600_NS6detail15normal_iteratorINS8_7pointerIiNS8_11hip_rocprim3tagENS8_11use_defaultESE_EEEENSA_INSB_IlSD_SE_SE_EEEEZNS1_13binary_searchIS3_S5_NSA_INSB_IiSD_NS8_16tagged_referenceIiSD_EESE_EEEESG_SI_NS1_21lower_bound_search_opENS9_16wrapped_functionINS8_7greaterIiEEbEEEE10hipError_tPvRmT1_T2_T3_mmT4_T5_P12ihipStream_tbEUlRKiE_EEST_SX_SY_mSZ_S12_bEUlT_E_NS1_11comp_targetILNS1_3genE4ELNS1_11target_archE910ELNS1_3gpuE8ELNS1_3repE0EEENS1_30default_config_static_selectorELNS0_4arch9wavefront6targetE0EEEvSW_.num_named_barrier, 0
	.set _ZN7rocprim17ROCPRIM_400000_NS6detail17trampoline_kernelINS0_14default_configENS1_27lower_bound_config_selectorIilEEZNS1_14transform_implILb0ES3_S5_N6thrust23THRUST_200600_302600_NS6detail15normal_iteratorINS8_7pointerIiNS8_11hip_rocprim3tagENS8_11use_defaultESE_EEEENSA_INSB_IlSD_SE_SE_EEEEZNS1_13binary_searchIS3_S5_NSA_INSB_IiSD_NS8_16tagged_referenceIiSD_EESE_EEEESG_SI_NS1_21lower_bound_search_opENS9_16wrapped_functionINS8_7greaterIiEEbEEEE10hipError_tPvRmT1_T2_T3_mmT4_T5_P12ihipStream_tbEUlRKiE_EEST_SX_SY_mSZ_S12_bEUlT_E_NS1_11comp_targetILNS1_3genE4ELNS1_11target_archE910ELNS1_3gpuE8ELNS1_3repE0EEENS1_30default_config_static_selectorELNS0_4arch9wavefront6targetE0EEEvSW_.private_seg_size, 0
	.set _ZN7rocprim17ROCPRIM_400000_NS6detail17trampoline_kernelINS0_14default_configENS1_27lower_bound_config_selectorIilEEZNS1_14transform_implILb0ES3_S5_N6thrust23THRUST_200600_302600_NS6detail15normal_iteratorINS8_7pointerIiNS8_11hip_rocprim3tagENS8_11use_defaultESE_EEEENSA_INSB_IlSD_SE_SE_EEEEZNS1_13binary_searchIS3_S5_NSA_INSB_IiSD_NS8_16tagged_referenceIiSD_EESE_EEEESG_SI_NS1_21lower_bound_search_opENS9_16wrapped_functionINS8_7greaterIiEEbEEEE10hipError_tPvRmT1_T2_T3_mmT4_T5_P12ihipStream_tbEUlRKiE_EEST_SX_SY_mSZ_S12_bEUlT_E_NS1_11comp_targetILNS1_3genE4ELNS1_11target_archE910ELNS1_3gpuE8ELNS1_3repE0EEENS1_30default_config_static_selectorELNS0_4arch9wavefront6targetE0EEEvSW_.uses_vcc, 0
	.set _ZN7rocprim17ROCPRIM_400000_NS6detail17trampoline_kernelINS0_14default_configENS1_27lower_bound_config_selectorIilEEZNS1_14transform_implILb0ES3_S5_N6thrust23THRUST_200600_302600_NS6detail15normal_iteratorINS8_7pointerIiNS8_11hip_rocprim3tagENS8_11use_defaultESE_EEEENSA_INSB_IlSD_SE_SE_EEEEZNS1_13binary_searchIS3_S5_NSA_INSB_IiSD_NS8_16tagged_referenceIiSD_EESE_EEEESG_SI_NS1_21lower_bound_search_opENS9_16wrapped_functionINS8_7greaterIiEEbEEEE10hipError_tPvRmT1_T2_T3_mmT4_T5_P12ihipStream_tbEUlRKiE_EEST_SX_SY_mSZ_S12_bEUlT_E_NS1_11comp_targetILNS1_3genE4ELNS1_11target_archE910ELNS1_3gpuE8ELNS1_3repE0EEENS1_30default_config_static_selectorELNS0_4arch9wavefront6targetE0EEEvSW_.uses_flat_scratch, 0
	.set _ZN7rocprim17ROCPRIM_400000_NS6detail17trampoline_kernelINS0_14default_configENS1_27lower_bound_config_selectorIilEEZNS1_14transform_implILb0ES3_S5_N6thrust23THRUST_200600_302600_NS6detail15normal_iteratorINS8_7pointerIiNS8_11hip_rocprim3tagENS8_11use_defaultESE_EEEENSA_INSB_IlSD_SE_SE_EEEEZNS1_13binary_searchIS3_S5_NSA_INSB_IiSD_NS8_16tagged_referenceIiSD_EESE_EEEESG_SI_NS1_21lower_bound_search_opENS9_16wrapped_functionINS8_7greaterIiEEbEEEE10hipError_tPvRmT1_T2_T3_mmT4_T5_P12ihipStream_tbEUlRKiE_EEST_SX_SY_mSZ_S12_bEUlT_E_NS1_11comp_targetILNS1_3genE4ELNS1_11target_archE910ELNS1_3gpuE8ELNS1_3repE0EEENS1_30default_config_static_selectorELNS0_4arch9wavefront6targetE0EEEvSW_.has_dyn_sized_stack, 0
	.set _ZN7rocprim17ROCPRIM_400000_NS6detail17trampoline_kernelINS0_14default_configENS1_27lower_bound_config_selectorIilEEZNS1_14transform_implILb0ES3_S5_N6thrust23THRUST_200600_302600_NS6detail15normal_iteratorINS8_7pointerIiNS8_11hip_rocprim3tagENS8_11use_defaultESE_EEEENSA_INSB_IlSD_SE_SE_EEEEZNS1_13binary_searchIS3_S5_NSA_INSB_IiSD_NS8_16tagged_referenceIiSD_EESE_EEEESG_SI_NS1_21lower_bound_search_opENS9_16wrapped_functionINS8_7greaterIiEEbEEEE10hipError_tPvRmT1_T2_T3_mmT4_T5_P12ihipStream_tbEUlRKiE_EEST_SX_SY_mSZ_S12_bEUlT_E_NS1_11comp_targetILNS1_3genE4ELNS1_11target_archE910ELNS1_3gpuE8ELNS1_3repE0EEENS1_30default_config_static_selectorELNS0_4arch9wavefront6targetE0EEEvSW_.has_recursion, 0
	.set _ZN7rocprim17ROCPRIM_400000_NS6detail17trampoline_kernelINS0_14default_configENS1_27lower_bound_config_selectorIilEEZNS1_14transform_implILb0ES3_S5_N6thrust23THRUST_200600_302600_NS6detail15normal_iteratorINS8_7pointerIiNS8_11hip_rocprim3tagENS8_11use_defaultESE_EEEENSA_INSB_IlSD_SE_SE_EEEEZNS1_13binary_searchIS3_S5_NSA_INSB_IiSD_NS8_16tagged_referenceIiSD_EESE_EEEESG_SI_NS1_21lower_bound_search_opENS9_16wrapped_functionINS8_7greaterIiEEbEEEE10hipError_tPvRmT1_T2_T3_mmT4_T5_P12ihipStream_tbEUlRKiE_EEST_SX_SY_mSZ_S12_bEUlT_E_NS1_11comp_targetILNS1_3genE4ELNS1_11target_archE910ELNS1_3gpuE8ELNS1_3repE0EEENS1_30default_config_static_selectorELNS0_4arch9wavefront6targetE0EEEvSW_.has_indirect_call, 0
	.section	.AMDGPU.csdata,"",@progbits
; Kernel info:
; codeLenInByte = 0
; TotalNumSgprs: 0
; NumVgprs: 0
; ScratchSize: 0
; MemoryBound: 0
; FloatMode: 240
; IeeeMode: 1
; LDSByteSize: 0 bytes/workgroup (compile time only)
; SGPRBlocks: 0
; VGPRBlocks: 0
; NumSGPRsForWavesPerEU: 1
; NumVGPRsForWavesPerEU: 1
; NamedBarCnt: 0
; Occupancy: 16
; WaveLimiterHint : 0
; COMPUTE_PGM_RSRC2:SCRATCH_EN: 0
; COMPUTE_PGM_RSRC2:USER_SGPR: 2
; COMPUTE_PGM_RSRC2:TRAP_HANDLER: 0
; COMPUTE_PGM_RSRC2:TGID_X_EN: 1
; COMPUTE_PGM_RSRC2:TGID_Y_EN: 0
; COMPUTE_PGM_RSRC2:TGID_Z_EN: 0
; COMPUTE_PGM_RSRC2:TIDIG_COMP_CNT: 0
	.section	.text._ZN7rocprim17ROCPRIM_400000_NS6detail17trampoline_kernelINS0_14default_configENS1_27lower_bound_config_selectorIilEEZNS1_14transform_implILb0ES3_S5_N6thrust23THRUST_200600_302600_NS6detail15normal_iteratorINS8_7pointerIiNS8_11hip_rocprim3tagENS8_11use_defaultESE_EEEENSA_INSB_IlSD_SE_SE_EEEEZNS1_13binary_searchIS3_S5_NSA_INSB_IiSD_NS8_16tagged_referenceIiSD_EESE_EEEESG_SI_NS1_21lower_bound_search_opENS9_16wrapped_functionINS8_7greaterIiEEbEEEE10hipError_tPvRmT1_T2_T3_mmT4_T5_P12ihipStream_tbEUlRKiE_EEST_SX_SY_mSZ_S12_bEUlT_E_NS1_11comp_targetILNS1_3genE3ELNS1_11target_archE908ELNS1_3gpuE7ELNS1_3repE0EEENS1_30default_config_static_selectorELNS0_4arch9wavefront6targetE0EEEvSW_,"axG",@progbits,_ZN7rocprim17ROCPRIM_400000_NS6detail17trampoline_kernelINS0_14default_configENS1_27lower_bound_config_selectorIilEEZNS1_14transform_implILb0ES3_S5_N6thrust23THRUST_200600_302600_NS6detail15normal_iteratorINS8_7pointerIiNS8_11hip_rocprim3tagENS8_11use_defaultESE_EEEENSA_INSB_IlSD_SE_SE_EEEEZNS1_13binary_searchIS3_S5_NSA_INSB_IiSD_NS8_16tagged_referenceIiSD_EESE_EEEESG_SI_NS1_21lower_bound_search_opENS9_16wrapped_functionINS8_7greaterIiEEbEEEE10hipError_tPvRmT1_T2_T3_mmT4_T5_P12ihipStream_tbEUlRKiE_EEST_SX_SY_mSZ_S12_bEUlT_E_NS1_11comp_targetILNS1_3genE3ELNS1_11target_archE908ELNS1_3gpuE7ELNS1_3repE0EEENS1_30default_config_static_selectorELNS0_4arch9wavefront6targetE0EEEvSW_,comdat
	.protected	_ZN7rocprim17ROCPRIM_400000_NS6detail17trampoline_kernelINS0_14default_configENS1_27lower_bound_config_selectorIilEEZNS1_14transform_implILb0ES3_S5_N6thrust23THRUST_200600_302600_NS6detail15normal_iteratorINS8_7pointerIiNS8_11hip_rocprim3tagENS8_11use_defaultESE_EEEENSA_INSB_IlSD_SE_SE_EEEEZNS1_13binary_searchIS3_S5_NSA_INSB_IiSD_NS8_16tagged_referenceIiSD_EESE_EEEESG_SI_NS1_21lower_bound_search_opENS9_16wrapped_functionINS8_7greaterIiEEbEEEE10hipError_tPvRmT1_T2_T3_mmT4_T5_P12ihipStream_tbEUlRKiE_EEST_SX_SY_mSZ_S12_bEUlT_E_NS1_11comp_targetILNS1_3genE3ELNS1_11target_archE908ELNS1_3gpuE7ELNS1_3repE0EEENS1_30default_config_static_selectorELNS0_4arch9wavefront6targetE0EEEvSW_ ; -- Begin function _ZN7rocprim17ROCPRIM_400000_NS6detail17trampoline_kernelINS0_14default_configENS1_27lower_bound_config_selectorIilEEZNS1_14transform_implILb0ES3_S5_N6thrust23THRUST_200600_302600_NS6detail15normal_iteratorINS8_7pointerIiNS8_11hip_rocprim3tagENS8_11use_defaultESE_EEEENSA_INSB_IlSD_SE_SE_EEEEZNS1_13binary_searchIS3_S5_NSA_INSB_IiSD_NS8_16tagged_referenceIiSD_EESE_EEEESG_SI_NS1_21lower_bound_search_opENS9_16wrapped_functionINS8_7greaterIiEEbEEEE10hipError_tPvRmT1_T2_T3_mmT4_T5_P12ihipStream_tbEUlRKiE_EEST_SX_SY_mSZ_S12_bEUlT_E_NS1_11comp_targetILNS1_3genE3ELNS1_11target_archE908ELNS1_3gpuE7ELNS1_3repE0EEENS1_30default_config_static_selectorELNS0_4arch9wavefront6targetE0EEEvSW_
	.globl	_ZN7rocprim17ROCPRIM_400000_NS6detail17trampoline_kernelINS0_14default_configENS1_27lower_bound_config_selectorIilEEZNS1_14transform_implILb0ES3_S5_N6thrust23THRUST_200600_302600_NS6detail15normal_iteratorINS8_7pointerIiNS8_11hip_rocprim3tagENS8_11use_defaultESE_EEEENSA_INSB_IlSD_SE_SE_EEEEZNS1_13binary_searchIS3_S5_NSA_INSB_IiSD_NS8_16tagged_referenceIiSD_EESE_EEEESG_SI_NS1_21lower_bound_search_opENS9_16wrapped_functionINS8_7greaterIiEEbEEEE10hipError_tPvRmT1_T2_T3_mmT4_T5_P12ihipStream_tbEUlRKiE_EEST_SX_SY_mSZ_S12_bEUlT_E_NS1_11comp_targetILNS1_3genE3ELNS1_11target_archE908ELNS1_3gpuE7ELNS1_3repE0EEENS1_30default_config_static_selectorELNS0_4arch9wavefront6targetE0EEEvSW_
	.p2align	8
	.type	_ZN7rocprim17ROCPRIM_400000_NS6detail17trampoline_kernelINS0_14default_configENS1_27lower_bound_config_selectorIilEEZNS1_14transform_implILb0ES3_S5_N6thrust23THRUST_200600_302600_NS6detail15normal_iteratorINS8_7pointerIiNS8_11hip_rocprim3tagENS8_11use_defaultESE_EEEENSA_INSB_IlSD_SE_SE_EEEEZNS1_13binary_searchIS3_S5_NSA_INSB_IiSD_NS8_16tagged_referenceIiSD_EESE_EEEESG_SI_NS1_21lower_bound_search_opENS9_16wrapped_functionINS8_7greaterIiEEbEEEE10hipError_tPvRmT1_T2_T3_mmT4_T5_P12ihipStream_tbEUlRKiE_EEST_SX_SY_mSZ_S12_bEUlT_E_NS1_11comp_targetILNS1_3genE3ELNS1_11target_archE908ELNS1_3gpuE7ELNS1_3repE0EEENS1_30default_config_static_selectorELNS0_4arch9wavefront6targetE0EEEvSW_,@function
_ZN7rocprim17ROCPRIM_400000_NS6detail17trampoline_kernelINS0_14default_configENS1_27lower_bound_config_selectorIilEEZNS1_14transform_implILb0ES3_S5_N6thrust23THRUST_200600_302600_NS6detail15normal_iteratorINS8_7pointerIiNS8_11hip_rocprim3tagENS8_11use_defaultESE_EEEENSA_INSB_IlSD_SE_SE_EEEEZNS1_13binary_searchIS3_S5_NSA_INSB_IiSD_NS8_16tagged_referenceIiSD_EESE_EEEESG_SI_NS1_21lower_bound_search_opENS9_16wrapped_functionINS8_7greaterIiEEbEEEE10hipError_tPvRmT1_T2_T3_mmT4_T5_P12ihipStream_tbEUlRKiE_EEST_SX_SY_mSZ_S12_bEUlT_E_NS1_11comp_targetILNS1_3genE3ELNS1_11target_archE908ELNS1_3gpuE7ELNS1_3repE0EEENS1_30default_config_static_selectorELNS0_4arch9wavefront6targetE0EEEvSW_: ; @_ZN7rocprim17ROCPRIM_400000_NS6detail17trampoline_kernelINS0_14default_configENS1_27lower_bound_config_selectorIilEEZNS1_14transform_implILb0ES3_S5_N6thrust23THRUST_200600_302600_NS6detail15normal_iteratorINS8_7pointerIiNS8_11hip_rocprim3tagENS8_11use_defaultESE_EEEENSA_INSB_IlSD_SE_SE_EEEEZNS1_13binary_searchIS3_S5_NSA_INSB_IiSD_NS8_16tagged_referenceIiSD_EESE_EEEESG_SI_NS1_21lower_bound_search_opENS9_16wrapped_functionINS8_7greaterIiEEbEEEE10hipError_tPvRmT1_T2_T3_mmT4_T5_P12ihipStream_tbEUlRKiE_EEST_SX_SY_mSZ_S12_bEUlT_E_NS1_11comp_targetILNS1_3genE3ELNS1_11target_archE908ELNS1_3gpuE7ELNS1_3repE0EEENS1_30default_config_static_selectorELNS0_4arch9wavefront6targetE0EEEvSW_
; %bb.0:
	.section	.rodata,"a",@progbits
	.p2align	6, 0x0
	.amdhsa_kernel _ZN7rocprim17ROCPRIM_400000_NS6detail17trampoline_kernelINS0_14default_configENS1_27lower_bound_config_selectorIilEEZNS1_14transform_implILb0ES3_S5_N6thrust23THRUST_200600_302600_NS6detail15normal_iteratorINS8_7pointerIiNS8_11hip_rocprim3tagENS8_11use_defaultESE_EEEENSA_INSB_IlSD_SE_SE_EEEEZNS1_13binary_searchIS3_S5_NSA_INSB_IiSD_NS8_16tagged_referenceIiSD_EESE_EEEESG_SI_NS1_21lower_bound_search_opENS9_16wrapped_functionINS8_7greaterIiEEbEEEE10hipError_tPvRmT1_T2_T3_mmT4_T5_P12ihipStream_tbEUlRKiE_EEST_SX_SY_mSZ_S12_bEUlT_E_NS1_11comp_targetILNS1_3genE3ELNS1_11target_archE908ELNS1_3gpuE7ELNS1_3repE0EEENS1_30default_config_static_selectorELNS0_4arch9wavefront6targetE0EEEvSW_
		.amdhsa_group_segment_fixed_size 0
		.amdhsa_private_segment_fixed_size 0
		.amdhsa_kernarg_size 56
		.amdhsa_user_sgpr_count 2
		.amdhsa_user_sgpr_dispatch_ptr 0
		.amdhsa_user_sgpr_queue_ptr 0
		.amdhsa_user_sgpr_kernarg_segment_ptr 1
		.amdhsa_user_sgpr_dispatch_id 0
		.amdhsa_user_sgpr_kernarg_preload_length 0
		.amdhsa_user_sgpr_kernarg_preload_offset 0
		.amdhsa_user_sgpr_private_segment_size 0
		.amdhsa_wavefront_size32 1
		.amdhsa_uses_dynamic_stack 0
		.amdhsa_enable_private_segment 0
		.amdhsa_system_sgpr_workgroup_id_x 1
		.amdhsa_system_sgpr_workgroup_id_y 0
		.amdhsa_system_sgpr_workgroup_id_z 0
		.amdhsa_system_sgpr_workgroup_info 0
		.amdhsa_system_vgpr_workitem_id 0
		.amdhsa_next_free_vgpr 1
		.amdhsa_next_free_sgpr 1
		.amdhsa_named_barrier_count 0
		.amdhsa_reserve_vcc 0
		.amdhsa_float_round_mode_32 0
		.amdhsa_float_round_mode_16_64 0
		.amdhsa_float_denorm_mode_32 3
		.amdhsa_float_denorm_mode_16_64 3
		.amdhsa_fp16_overflow 0
		.amdhsa_memory_ordered 1
		.amdhsa_forward_progress 1
		.amdhsa_inst_pref_size 0
		.amdhsa_round_robin_scheduling 0
		.amdhsa_exception_fp_ieee_invalid_op 0
		.amdhsa_exception_fp_denorm_src 0
		.amdhsa_exception_fp_ieee_div_zero 0
		.amdhsa_exception_fp_ieee_overflow 0
		.amdhsa_exception_fp_ieee_underflow 0
		.amdhsa_exception_fp_ieee_inexact 0
		.amdhsa_exception_int_div_zero 0
	.end_amdhsa_kernel
	.section	.text._ZN7rocprim17ROCPRIM_400000_NS6detail17trampoline_kernelINS0_14default_configENS1_27lower_bound_config_selectorIilEEZNS1_14transform_implILb0ES3_S5_N6thrust23THRUST_200600_302600_NS6detail15normal_iteratorINS8_7pointerIiNS8_11hip_rocprim3tagENS8_11use_defaultESE_EEEENSA_INSB_IlSD_SE_SE_EEEEZNS1_13binary_searchIS3_S5_NSA_INSB_IiSD_NS8_16tagged_referenceIiSD_EESE_EEEESG_SI_NS1_21lower_bound_search_opENS9_16wrapped_functionINS8_7greaterIiEEbEEEE10hipError_tPvRmT1_T2_T3_mmT4_T5_P12ihipStream_tbEUlRKiE_EEST_SX_SY_mSZ_S12_bEUlT_E_NS1_11comp_targetILNS1_3genE3ELNS1_11target_archE908ELNS1_3gpuE7ELNS1_3repE0EEENS1_30default_config_static_selectorELNS0_4arch9wavefront6targetE0EEEvSW_,"axG",@progbits,_ZN7rocprim17ROCPRIM_400000_NS6detail17trampoline_kernelINS0_14default_configENS1_27lower_bound_config_selectorIilEEZNS1_14transform_implILb0ES3_S5_N6thrust23THRUST_200600_302600_NS6detail15normal_iteratorINS8_7pointerIiNS8_11hip_rocprim3tagENS8_11use_defaultESE_EEEENSA_INSB_IlSD_SE_SE_EEEEZNS1_13binary_searchIS3_S5_NSA_INSB_IiSD_NS8_16tagged_referenceIiSD_EESE_EEEESG_SI_NS1_21lower_bound_search_opENS9_16wrapped_functionINS8_7greaterIiEEbEEEE10hipError_tPvRmT1_T2_T3_mmT4_T5_P12ihipStream_tbEUlRKiE_EEST_SX_SY_mSZ_S12_bEUlT_E_NS1_11comp_targetILNS1_3genE3ELNS1_11target_archE908ELNS1_3gpuE7ELNS1_3repE0EEENS1_30default_config_static_selectorELNS0_4arch9wavefront6targetE0EEEvSW_,comdat
.Lfunc_end61:
	.size	_ZN7rocprim17ROCPRIM_400000_NS6detail17trampoline_kernelINS0_14default_configENS1_27lower_bound_config_selectorIilEEZNS1_14transform_implILb0ES3_S5_N6thrust23THRUST_200600_302600_NS6detail15normal_iteratorINS8_7pointerIiNS8_11hip_rocprim3tagENS8_11use_defaultESE_EEEENSA_INSB_IlSD_SE_SE_EEEEZNS1_13binary_searchIS3_S5_NSA_INSB_IiSD_NS8_16tagged_referenceIiSD_EESE_EEEESG_SI_NS1_21lower_bound_search_opENS9_16wrapped_functionINS8_7greaterIiEEbEEEE10hipError_tPvRmT1_T2_T3_mmT4_T5_P12ihipStream_tbEUlRKiE_EEST_SX_SY_mSZ_S12_bEUlT_E_NS1_11comp_targetILNS1_3genE3ELNS1_11target_archE908ELNS1_3gpuE7ELNS1_3repE0EEENS1_30default_config_static_selectorELNS0_4arch9wavefront6targetE0EEEvSW_, .Lfunc_end61-_ZN7rocprim17ROCPRIM_400000_NS6detail17trampoline_kernelINS0_14default_configENS1_27lower_bound_config_selectorIilEEZNS1_14transform_implILb0ES3_S5_N6thrust23THRUST_200600_302600_NS6detail15normal_iteratorINS8_7pointerIiNS8_11hip_rocprim3tagENS8_11use_defaultESE_EEEENSA_INSB_IlSD_SE_SE_EEEEZNS1_13binary_searchIS3_S5_NSA_INSB_IiSD_NS8_16tagged_referenceIiSD_EESE_EEEESG_SI_NS1_21lower_bound_search_opENS9_16wrapped_functionINS8_7greaterIiEEbEEEE10hipError_tPvRmT1_T2_T3_mmT4_T5_P12ihipStream_tbEUlRKiE_EEST_SX_SY_mSZ_S12_bEUlT_E_NS1_11comp_targetILNS1_3genE3ELNS1_11target_archE908ELNS1_3gpuE7ELNS1_3repE0EEENS1_30default_config_static_selectorELNS0_4arch9wavefront6targetE0EEEvSW_
                                        ; -- End function
	.set _ZN7rocprim17ROCPRIM_400000_NS6detail17trampoline_kernelINS0_14default_configENS1_27lower_bound_config_selectorIilEEZNS1_14transform_implILb0ES3_S5_N6thrust23THRUST_200600_302600_NS6detail15normal_iteratorINS8_7pointerIiNS8_11hip_rocprim3tagENS8_11use_defaultESE_EEEENSA_INSB_IlSD_SE_SE_EEEEZNS1_13binary_searchIS3_S5_NSA_INSB_IiSD_NS8_16tagged_referenceIiSD_EESE_EEEESG_SI_NS1_21lower_bound_search_opENS9_16wrapped_functionINS8_7greaterIiEEbEEEE10hipError_tPvRmT1_T2_T3_mmT4_T5_P12ihipStream_tbEUlRKiE_EEST_SX_SY_mSZ_S12_bEUlT_E_NS1_11comp_targetILNS1_3genE3ELNS1_11target_archE908ELNS1_3gpuE7ELNS1_3repE0EEENS1_30default_config_static_selectorELNS0_4arch9wavefront6targetE0EEEvSW_.num_vgpr, 0
	.set _ZN7rocprim17ROCPRIM_400000_NS6detail17trampoline_kernelINS0_14default_configENS1_27lower_bound_config_selectorIilEEZNS1_14transform_implILb0ES3_S5_N6thrust23THRUST_200600_302600_NS6detail15normal_iteratorINS8_7pointerIiNS8_11hip_rocprim3tagENS8_11use_defaultESE_EEEENSA_INSB_IlSD_SE_SE_EEEEZNS1_13binary_searchIS3_S5_NSA_INSB_IiSD_NS8_16tagged_referenceIiSD_EESE_EEEESG_SI_NS1_21lower_bound_search_opENS9_16wrapped_functionINS8_7greaterIiEEbEEEE10hipError_tPvRmT1_T2_T3_mmT4_T5_P12ihipStream_tbEUlRKiE_EEST_SX_SY_mSZ_S12_bEUlT_E_NS1_11comp_targetILNS1_3genE3ELNS1_11target_archE908ELNS1_3gpuE7ELNS1_3repE0EEENS1_30default_config_static_selectorELNS0_4arch9wavefront6targetE0EEEvSW_.num_agpr, 0
	.set _ZN7rocprim17ROCPRIM_400000_NS6detail17trampoline_kernelINS0_14default_configENS1_27lower_bound_config_selectorIilEEZNS1_14transform_implILb0ES3_S5_N6thrust23THRUST_200600_302600_NS6detail15normal_iteratorINS8_7pointerIiNS8_11hip_rocprim3tagENS8_11use_defaultESE_EEEENSA_INSB_IlSD_SE_SE_EEEEZNS1_13binary_searchIS3_S5_NSA_INSB_IiSD_NS8_16tagged_referenceIiSD_EESE_EEEESG_SI_NS1_21lower_bound_search_opENS9_16wrapped_functionINS8_7greaterIiEEbEEEE10hipError_tPvRmT1_T2_T3_mmT4_T5_P12ihipStream_tbEUlRKiE_EEST_SX_SY_mSZ_S12_bEUlT_E_NS1_11comp_targetILNS1_3genE3ELNS1_11target_archE908ELNS1_3gpuE7ELNS1_3repE0EEENS1_30default_config_static_selectorELNS0_4arch9wavefront6targetE0EEEvSW_.numbered_sgpr, 0
	.set _ZN7rocprim17ROCPRIM_400000_NS6detail17trampoline_kernelINS0_14default_configENS1_27lower_bound_config_selectorIilEEZNS1_14transform_implILb0ES3_S5_N6thrust23THRUST_200600_302600_NS6detail15normal_iteratorINS8_7pointerIiNS8_11hip_rocprim3tagENS8_11use_defaultESE_EEEENSA_INSB_IlSD_SE_SE_EEEEZNS1_13binary_searchIS3_S5_NSA_INSB_IiSD_NS8_16tagged_referenceIiSD_EESE_EEEESG_SI_NS1_21lower_bound_search_opENS9_16wrapped_functionINS8_7greaterIiEEbEEEE10hipError_tPvRmT1_T2_T3_mmT4_T5_P12ihipStream_tbEUlRKiE_EEST_SX_SY_mSZ_S12_bEUlT_E_NS1_11comp_targetILNS1_3genE3ELNS1_11target_archE908ELNS1_3gpuE7ELNS1_3repE0EEENS1_30default_config_static_selectorELNS0_4arch9wavefront6targetE0EEEvSW_.num_named_barrier, 0
	.set _ZN7rocprim17ROCPRIM_400000_NS6detail17trampoline_kernelINS0_14default_configENS1_27lower_bound_config_selectorIilEEZNS1_14transform_implILb0ES3_S5_N6thrust23THRUST_200600_302600_NS6detail15normal_iteratorINS8_7pointerIiNS8_11hip_rocprim3tagENS8_11use_defaultESE_EEEENSA_INSB_IlSD_SE_SE_EEEEZNS1_13binary_searchIS3_S5_NSA_INSB_IiSD_NS8_16tagged_referenceIiSD_EESE_EEEESG_SI_NS1_21lower_bound_search_opENS9_16wrapped_functionINS8_7greaterIiEEbEEEE10hipError_tPvRmT1_T2_T3_mmT4_T5_P12ihipStream_tbEUlRKiE_EEST_SX_SY_mSZ_S12_bEUlT_E_NS1_11comp_targetILNS1_3genE3ELNS1_11target_archE908ELNS1_3gpuE7ELNS1_3repE0EEENS1_30default_config_static_selectorELNS0_4arch9wavefront6targetE0EEEvSW_.private_seg_size, 0
	.set _ZN7rocprim17ROCPRIM_400000_NS6detail17trampoline_kernelINS0_14default_configENS1_27lower_bound_config_selectorIilEEZNS1_14transform_implILb0ES3_S5_N6thrust23THRUST_200600_302600_NS6detail15normal_iteratorINS8_7pointerIiNS8_11hip_rocprim3tagENS8_11use_defaultESE_EEEENSA_INSB_IlSD_SE_SE_EEEEZNS1_13binary_searchIS3_S5_NSA_INSB_IiSD_NS8_16tagged_referenceIiSD_EESE_EEEESG_SI_NS1_21lower_bound_search_opENS9_16wrapped_functionINS8_7greaterIiEEbEEEE10hipError_tPvRmT1_T2_T3_mmT4_T5_P12ihipStream_tbEUlRKiE_EEST_SX_SY_mSZ_S12_bEUlT_E_NS1_11comp_targetILNS1_3genE3ELNS1_11target_archE908ELNS1_3gpuE7ELNS1_3repE0EEENS1_30default_config_static_selectorELNS0_4arch9wavefront6targetE0EEEvSW_.uses_vcc, 0
	.set _ZN7rocprim17ROCPRIM_400000_NS6detail17trampoline_kernelINS0_14default_configENS1_27lower_bound_config_selectorIilEEZNS1_14transform_implILb0ES3_S5_N6thrust23THRUST_200600_302600_NS6detail15normal_iteratorINS8_7pointerIiNS8_11hip_rocprim3tagENS8_11use_defaultESE_EEEENSA_INSB_IlSD_SE_SE_EEEEZNS1_13binary_searchIS3_S5_NSA_INSB_IiSD_NS8_16tagged_referenceIiSD_EESE_EEEESG_SI_NS1_21lower_bound_search_opENS9_16wrapped_functionINS8_7greaterIiEEbEEEE10hipError_tPvRmT1_T2_T3_mmT4_T5_P12ihipStream_tbEUlRKiE_EEST_SX_SY_mSZ_S12_bEUlT_E_NS1_11comp_targetILNS1_3genE3ELNS1_11target_archE908ELNS1_3gpuE7ELNS1_3repE0EEENS1_30default_config_static_selectorELNS0_4arch9wavefront6targetE0EEEvSW_.uses_flat_scratch, 0
	.set _ZN7rocprim17ROCPRIM_400000_NS6detail17trampoline_kernelINS0_14default_configENS1_27lower_bound_config_selectorIilEEZNS1_14transform_implILb0ES3_S5_N6thrust23THRUST_200600_302600_NS6detail15normal_iteratorINS8_7pointerIiNS8_11hip_rocprim3tagENS8_11use_defaultESE_EEEENSA_INSB_IlSD_SE_SE_EEEEZNS1_13binary_searchIS3_S5_NSA_INSB_IiSD_NS8_16tagged_referenceIiSD_EESE_EEEESG_SI_NS1_21lower_bound_search_opENS9_16wrapped_functionINS8_7greaterIiEEbEEEE10hipError_tPvRmT1_T2_T3_mmT4_T5_P12ihipStream_tbEUlRKiE_EEST_SX_SY_mSZ_S12_bEUlT_E_NS1_11comp_targetILNS1_3genE3ELNS1_11target_archE908ELNS1_3gpuE7ELNS1_3repE0EEENS1_30default_config_static_selectorELNS0_4arch9wavefront6targetE0EEEvSW_.has_dyn_sized_stack, 0
	.set _ZN7rocprim17ROCPRIM_400000_NS6detail17trampoline_kernelINS0_14default_configENS1_27lower_bound_config_selectorIilEEZNS1_14transform_implILb0ES3_S5_N6thrust23THRUST_200600_302600_NS6detail15normal_iteratorINS8_7pointerIiNS8_11hip_rocprim3tagENS8_11use_defaultESE_EEEENSA_INSB_IlSD_SE_SE_EEEEZNS1_13binary_searchIS3_S5_NSA_INSB_IiSD_NS8_16tagged_referenceIiSD_EESE_EEEESG_SI_NS1_21lower_bound_search_opENS9_16wrapped_functionINS8_7greaterIiEEbEEEE10hipError_tPvRmT1_T2_T3_mmT4_T5_P12ihipStream_tbEUlRKiE_EEST_SX_SY_mSZ_S12_bEUlT_E_NS1_11comp_targetILNS1_3genE3ELNS1_11target_archE908ELNS1_3gpuE7ELNS1_3repE0EEENS1_30default_config_static_selectorELNS0_4arch9wavefront6targetE0EEEvSW_.has_recursion, 0
	.set _ZN7rocprim17ROCPRIM_400000_NS6detail17trampoline_kernelINS0_14default_configENS1_27lower_bound_config_selectorIilEEZNS1_14transform_implILb0ES3_S5_N6thrust23THRUST_200600_302600_NS6detail15normal_iteratorINS8_7pointerIiNS8_11hip_rocprim3tagENS8_11use_defaultESE_EEEENSA_INSB_IlSD_SE_SE_EEEEZNS1_13binary_searchIS3_S5_NSA_INSB_IiSD_NS8_16tagged_referenceIiSD_EESE_EEEESG_SI_NS1_21lower_bound_search_opENS9_16wrapped_functionINS8_7greaterIiEEbEEEE10hipError_tPvRmT1_T2_T3_mmT4_T5_P12ihipStream_tbEUlRKiE_EEST_SX_SY_mSZ_S12_bEUlT_E_NS1_11comp_targetILNS1_3genE3ELNS1_11target_archE908ELNS1_3gpuE7ELNS1_3repE0EEENS1_30default_config_static_selectorELNS0_4arch9wavefront6targetE0EEEvSW_.has_indirect_call, 0
	.section	.AMDGPU.csdata,"",@progbits
; Kernel info:
; codeLenInByte = 0
; TotalNumSgprs: 0
; NumVgprs: 0
; ScratchSize: 0
; MemoryBound: 0
; FloatMode: 240
; IeeeMode: 1
; LDSByteSize: 0 bytes/workgroup (compile time only)
; SGPRBlocks: 0
; VGPRBlocks: 0
; NumSGPRsForWavesPerEU: 1
; NumVGPRsForWavesPerEU: 1
; NamedBarCnt: 0
; Occupancy: 16
; WaveLimiterHint : 0
; COMPUTE_PGM_RSRC2:SCRATCH_EN: 0
; COMPUTE_PGM_RSRC2:USER_SGPR: 2
; COMPUTE_PGM_RSRC2:TRAP_HANDLER: 0
; COMPUTE_PGM_RSRC2:TGID_X_EN: 1
; COMPUTE_PGM_RSRC2:TGID_Y_EN: 0
; COMPUTE_PGM_RSRC2:TGID_Z_EN: 0
; COMPUTE_PGM_RSRC2:TIDIG_COMP_CNT: 0
	.section	.text._ZN7rocprim17ROCPRIM_400000_NS6detail17trampoline_kernelINS0_14default_configENS1_27lower_bound_config_selectorIilEEZNS1_14transform_implILb0ES3_S5_N6thrust23THRUST_200600_302600_NS6detail15normal_iteratorINS8_7pointerIiNS8_11hip_rocprim3tagENS8_11use_defaultESE_EEEENSA_INSB_IlSD_SE_SE_EEEEZNS1_13binary_searchIS3_S5_NSA_INSB_IiSD_NS8_16tagged_referenceIiSD_EESE_EEEESG_SI_NS1_21lower_bound_search_opENS9_16wrapped_functionINS8_7greaterIiEEbEEEE10hipError_tPvRmT1_T2_T3_mmT4_T5_P12ihipStream_tbEUlRKiE_EEST_SX_SY_mSZ_S12_bEUlT_E_NS1_11comp_targetILNS1_3genE2ELNS1_11target_archE906ELNS1_3gpuE6ELNS1_3repE0EEENS1_30default_config_static_selectorELNS0_4arch9wavefront6targetE0EEEvSW_,"axG",@progbits,_ZN7rocprim17ROCPRIM_400000_NS6detail17trampoline_kernelINS0_14default_configENS1_27lower_bound_config_selectorIilEEZNS1_14transform_implILb0ES3_S5_N6thrust23THRUST_200600_302600_NS6detail15normal_iteratorINS8_7pointerIiNS8_11hip_rocprim3tagENS8_11use_defaultESE_EEEENSA_INSB_IlSD_SE_SE_EEEEZNS1_13binary_searchIS3_S5_NSA_INSB_IiSD_NS8_16tagged_referenceIiSD_EESE_EEEESG_SI_NS1_21lower_bound_search_opENS9_16wrapped_functionINS8_7greaterIiEEbEEEE10hipError_tPvRmT1_T2_T3_mmT4_T5_P12ihipStream_tbEUlRKiE_EEST_SX_SY_mSZ_S12_bEUlT_E_NS1_11comp_targetILNS1_3genE2ELNS1_11target_archE906ELNS1_3gpuE6ELNS1_3repE0EEENS1_30default_config_static_selectorELNS0_4arch9wavefront6targetE0EEEvSW_,comdat
	.protected	_ZN7rocprim17ROCPRIM_400000_NS6detail17trampoline_kernelINS0_14default_configENS1_27lower_bound_config_selectorIilEEZNS1_14transform_implILb0ES3_S5_N6thrust23THRUST_200600_302600_NS6detail15normal_iteratorINS8_7pointerIiNS8_11hip_rocprim3tagENS8_11use_defaultESE_EEEENSA_INSB_IlSD_SE_SE_EEEEZNS1_13binary_searchIS3_S5_NSA_INSB_IiSD_NS8_16tagged_referenceIiSD_EESE_EEEESG_SI_NS1_21lower_bound_search_opENS9_16wrapped_functionINS8_7greaterIiEEbEEEE10hipError_tPvRmT1_T2_T3_mmT4_T5_P12ihipStream_tbEUlRKiE_EEST_SX_SY_mSZ_S12_bEUlT_E_NS1_11comp_targetILNS1_3genE2ELNS1_11target_archE906ELNS1_3gpuE6ELNS1_3repE0EEENS1_30default_config_static_selectorELNS0_4arch9wavefront6targetE0EEEvSW_ ; -- Begin function _ZN7rocprim17ROCPRIM_400000_NS6detail17trampoline_kernelINS0_14default_configENS1_27lower_bound_config_selectorIilEEZNS1_14transform_implILb0ES3_S5_N6thrust23THRUST_200600_302600_NS6detail15normal_iteratorINS8_7pointerIiNS8_11hip_rocprim3tagENS8_11use_defaultESE_EEEENSA_INSB_IlSD_SE_SE_EEEEZNS1_13binary_searchIS3_S5_NSA_INSB_IiSD_NS8_16tagged_referenceIiSD_EESE_EEEESG_SI_NS1_21lower_bound_search_opENS9_16wrapped_functionINS8_7greaterIiEEbEEEE10hipError_tPvRmT1_T2_T3_mmT4_T5_P12ihipStream_tbEUlRKiE_EEST_SX_SY_mSZ_S12_bEUlT_E_NS1_11comp_targetILNS1_3genE2ELNS1_11target_archE906ELNS1_3gpuE6ELNS1_3repE0EEENS1_30default_config_static_selectorELNS0_4arch9wavefront6targetE0EEEvSW_
	.globl	_ZN7rocprim17ROCPRIM_400000_NS6detail17trampoline_kernelINS0_14default_configENS1_27lower_bound_config_selectorIilEEZNS1_14transform_implILb0ES3_S5_N6thrust23THRUST_200600_302600_NS6detail15normal_iteratorINS8_7pointerIiNS8_11hip_rocprim3tagENS8_11use_defaultESE_EEEENSA_INSB_IlSD_SE_SE_EEEEZNS1_13binary_searchIS3_S5_NSA_INSB_IiSD_NS8_16tagged_referenceIiSD_EESE_EEEESG_SI_NS1_21lower_bound_search_opENS9_16wrapped_functionINS8_7greaterIiEEbEEEE10hipError_tPvRmT1_T2_T3_mmT4_T5_P12ihipStream_tbEUlRKiE_EEST_SX_SY_mSZ_S12_bEUlT_E_NS1_11comp_targetILNS1_3genE2ELNS1_11target_archE906ELNS1_3gpuE6ELNS1_3repE0EEENS1_30default_config_static_selectorELNS0_4arch9wavefront6targetE0EEEvSW_
	.p2align	8
	.type	_ZN7rocprim17ROCPRIM_400000_NS6detail17trampoline_kernelINS0_14default_configENS1_27lower_bound_config_selectorIilEEZNS1_14transform_implILb0ES3_S5_N6thrust23THRUST_200600_302600_NS6detail15normal_iteratorINS8_7pointerIiNS8_11hip_rocprim3tagENS8_11use_defaultESE_EEEENSA_INSB_IlSD_SE_SE_EEEEZNS1_13binary_searchIS3_S5_NSA_INSB_IiSD_NS8_16tagged_referenceIiSD_EESE_EEEESG_SI_NS1_21lower_bound_search_opENS9_16wrapped_functionINS8_7greaterIiEEbEEEE10hipError_tPvRmT1_T2_T3_mmT4_T5_P12ihipStream_tbEUlRKiE_EEST_SX_SY_mSZ_S12_bEUlT_E_NS1_11comp_targetILNS1_3genE2ELNS1_11target_archE906ELNS1_3gpuE6ELNS1_3repE0EEENS1_30default_config_static_selectorELNS0_4arch9wavefront6targetE0EEEvSW_,@function
_ZN7rocprim17ROCPRIM_400000_NS6detail17trampoline_kernelINS0_14default_configENS1_27lower_bound_config_selectorIilEEZNS1_14transform_implILb0ES3_S5_N6thrust23THRUST_200600_302600_NS6detail15normal_iteratorINS8_7pointerIiNS8_11hip_rocprim3tagENS8_11use_defaultESE_EEEENSA_INSB_IlSD_SE_SE_EEEEZNS1_13binary_searchIS3_S5_NSA_INSB_IiSD_NS8_16tagged_referenceIiSD_EESE_EEEESG_SI_NS1_21lower_bound_search_opENS9_16wrapped_functionINS8_7greaterIiEEbEEEE10hipError_tPvRmT1_T2_T3_mmT4_T5_P12ihipStream_tbEUlRKiE_EEST_SX_SY_mSZ_S12_bEUlT_E_NS1_11comp_targetILNS1_3genE2ELNS1_11target_archE906ELNS1_3gpuE6ELNS1_3repE0EEENS1_30default_config_static_selectorELNS0_4arch9wavefront6targetE0EEEvSW_: ; @_ZN7rocprim17ROCPRIM_400000_NS6detail17trampoline_kernelINS0_14default_configENS1_27lower_bound_config_selectorIilEEZNS1_14transform_implILb0ES3_S5_N6thrust23THRUST_200600_302600_NS6detail15normal_iteratorINS8_7pointerIiNS8_11hip_rocprim3tagENS8_11use_defaultESE_EEEENSA_INSB_IlSD_SE_SE_EEEEZNS1_13binary_searchIS3_S5_NSA_INSB_IiSD_NS8_16tagged_referenceIiSD_EESE_EEEESG_SI_NS1_21lower_bound_search_opENS9_16wrapped_functionINS8_7greaterIiEEbEEEE10hipError_tPvRmT1_T2_T3_mmT4_T5_P12ihipStream_tbEUlRKiE_EEST_SX_SY_mSZ_S12_bEUlT_E_NS1_11comp_targetILNS1_3genE2ELNS1_11target_archE906ELNS1_3gpuE6ELNS1_3repE0EEENS1_30default_config_static_selectorELNS0_4arch9wavefront6targetE0EEEvSW_
; %bb.0:
	.section	.rodata,"a",@progbits
	.p2align	6, 0x0
	.amdhsa_kernel _ZN7rocprim17ROCPRIM_400000_NS6detail17trampoline_kernelINS0_14default_configENS1_27lower_bound_config_selectorIilEEZNS1_14transform_implILb0ES3_S5_N6thrust23THRUST_200600_302600_NS6detail15normal_iteratorINS8_7pointerIiNS8_11hip_rocprim3tagENS8_11use_defaultESE_EEEENSA_INSB_IlSD_SE_SE_EEEEZNS1_13binary_searchIS3_S5_NSA_INSB_IiSD_NS8_16tagged_referenceIiSD_EESE_EEEESG_SI_NS1_21lower_bound_search_opENS9_16wrapped_functionINS8_7greaterIiEEbEEEE10hipError_tPvRmT1_T2_T3_mmT4_T5_P12ihipStream_tbEUlRKiE_EEST_SX_SY_mSZ_S12_bEUlT_E_NS1_11comp_targetILNS1_3genE2ELNS1_11target_archE906ELNS1_3gpuE6ELNS1_3repE0EEENS1_30default_config_static_selectorELNS0_4arch9wavefront6targetE0EEEvSW_
		.amdhsa_group_segment_fixed_size 0
		.amdhsa_private_segment_fixed_size 0
		.amdhsa_kernarg_size 56
		.amdhsa_user_sgpr_count 2
		.amdhsa_user_sgpr_dispatch_ptr 0
		.amdhsa_user_sgpr_queue_ptr 0
		.amdhsa_user_sgpr_kernarg_segment_ptr 1
		.amdhsa_user_sgpr_dispatch_id 0
		.amdhsa_user_sgpr_kernarg_preload_length 0
		.amdhsa_user_sgpr_kernarg_preload_offset 0
		.amdhsa_user_sgpr_private_segment_size 0
		.amdhsa_wavefront_size32 1
		.amdhsa_uses_dynamic_stack 0
		.amdhsa_enable_private_segment 0
		.amdhsa_system_sgpr_workgroup_id_x 1
		.amdhsa_system_sgpr_workgroup_id_y 0
		.amdhsa_system_sgpr_workgroup_id_z 0
		.amdhsa_system_sgpr_workgroup_info 0
		.amdhsa_system_vgpr_workitem_id 0
		.amdhsa_next_free_vgpr 1
		.amdhsa_next_free_sgpr 1
		.amdhsa_named_barrier_count 0
		.amdhsa_reserve_vcc 0
		.amdhsa_float_round_mode_32 0
		.amdhsa_float_round_mode_16_64 0
		.amdhsa_float_denorm_mode_32 3
		.amdhsa_float_denorm_mode_16_64 3
		.amdhsa_fp16_overflow 0
		.amdhsa_memory_ordered 1
		.amdhsa_forward_progress 1
		.amdhsa_inst_pref_size 0
		.amdhsa_round_robin_scheduling 0
		.amdhsa_exception_fp_ieee_invalid_op 0
		.amdhsa_exception_fp_denorm_src 0
		.amdhsa_exception_fp_ieee_div_zero 0
		.amdhsa_exception_fp_ieee_overflow 0
		.amdhsa_exception_fp_ieee_underflow 0
		.amdhsa_exception_fp_ieee_inexact 0
		.amdhsa_exception_int_div_zero 0
	.end_amdhsa_kernel
	.section	.text._ZN7rocprim17ROCPRIM_400000_NS6detail17trampoline_kernelINS0_14default_configENS1_27lower_bound_config_selectorIilEEZNS1_14transform_implILb0ES3_S5_N6thrust23THRUST_200600_302600_NS6detail15normal_iteratorINS8_7pointerIiNS8_11hip_rocprim3tagENS8_11use_defaultESE_EEEENSA_INSB_IlSD_SE_SE_EEEEZNS1_13binary_searchIS3_S5_NSA_INSB_IiSD_NS8_16tagged_referenceIiSD_EESE_EEEESG_SI_NS1_21lower_bound_search_opENS9_16wrapped_functionINS8_7greaterIiEEbEEEE10hipError_tPvRmT1_T2_T3_mmT4_T5_P12ihipStream_tbEUlRKiE_EEST_SX_SY_mSZ_S12_bEUlT_E_NS1_11comp_targetILNS1_3genE2ELNS1_11target_archE906ELNS1_3gpuE6ELNS1_3repE0EEENS1_30default_config_static_selectorELNS0_4arch9wavefront6targetE0EEEvSW_,"axG",@progbits,_ZN7rocprim17ROCPRIM_400000_NS6detail17trampoline_kernelINS0_14default_configENS1_27lower_bound_config_selectorIilEEZNS1_14transform_implILb0ES3_S5_N6thrust23THRUST_200600_302600_NS6detail15normal_iteratorINS8_7pointerIiNS8_11hip_rocprim3tagENS8_11use_defaultESE_EEEENSA_INSB_IlSD_SE_SE_EEEEZNS1_13binary_searchIS3_S5_NSA_INSB_IiSD_NS8_16tagged_referenceIiSD_EESE_EEEESG_SI_NS1_21lower_bound_search_opENS9_16wrapped_functionINS8_7greaterIiEEbEEEE10hipError_tPvRmT1_T2_T3_mmT4_T5_P12ihipStream_tbEUlRKiE_EEST_SX_SY_mSZ_S12_bEUlT_E_NS1_11comp_targetILNS1_3genE2ELNS1_11target_archE906ELNS1_3gpuE6ELNS1_3repE0EEENS1_30default_config_static_selectorELNS0_4arch9wavefront6targetE0EEEvSW_,comdat
.Lfunc_end62:
	.size	_ZN7rocprim17ROCPRIM_400000_NS6detail17trampoline_kernelINS0_14default_configENS1_27lower_bound_config_selectorIilEEZNS1_14transform_implILb0ES3_S5_N6thrust23THRUST_200600_302600_NS6detail15normal_iteratorINS8_7pointerIiNS8_11hip_rocprim3tagENS8_11use_defaultESE_EEEENSA_INSB_IlSD_SE_SE_EEEEZNS1_13binary_searchIS3_S5_NSA_INSB_IiSD_NS8_16tagged_referenceIiSD_EESE_EEEESG_SI_NS1_21lower_bound_search_opENS9_16wrapped_functionINS8_7greaterIiEEbEEEE10hipError_tPvRmT1_T2_T3_mmT4_T5_P12ihipStream_tbEUlRKiE_EEST_SX_SY_mSZ_S12_bEUlT_E_NS1_11comp_targetILNS1_3genE2ELNS1_11target_archE906ELNS1_3gpuE6ELNS1_3repE0EEENS1_30default_config_static_selectorELNS0_4arch9wavefront6targetE0EEEvSW_, .Lfunc_end62-_ZN7rocprim17ROCPRIM_400000_NS6detail17trampoline_kernelINS0_14default_configENS1_27lower_bound_config_selectorIilEEZNS1_14transform_implILb0ES3_S5_N6thrust23THRUST_200600_302600_NS6detail15normal_iteratorINS8_7pointerIiNS8_11hip_rocprim3tagENS8_11use_defaultESE_EEEENSA_INSB_IlSD_SE_SE_EEEEZNS1_13binary_searchIS3_S5_NSA_INSB_IiSD_NS8_16tagged_referenceIiSD_EESE_EEEESG_SI_NS1_21lower_bound_search_opENS9_16wrapped_functionINS8_7greaterIiEEbEEEE10hipError_tPvRmT1_T2_T3_mmT4_T5_P12ihipStream_tbEUlRKiE_EEST_SX_SY_mSZ_S12_bEUlT_E_NS1_11comp_targetILNS1_3genE2ELNS1_11target_archE906ELNS1_3gpuE6ELNS1_3repE0EEENS1_30default_config_static_selectorELNS0_4arch9wavefront6targetE0EEEvSW_
                                        ; -- End function
	.set _ZN7rocprim17ROCPRIM_400000_NS6detail17trampoline_kernelINS0_14default_configENS1_27lower_bound_config_selectorIilEEZNS1_14transform_implILb0ES3_S5_N6thrust23THRUST_200600_302600_NS6detail15normal_iteratorINS8_7pointerIiNS8_11hip_rocprim3tagENS8_11use_defaultESE_EEEENSA_INSB_IlSD_SE_SE_EEEEZNS1_13binary_searchIS3_S5_NSA_INSB_IiSD_NS8_16tagged_referenceIiSD_EESE_EEEESG_SI_NS1_21lower_bound_search_opENS9_16wrapped_functionINS8_7greaterIiEEbEEEE10hipError_tPvRmT1_T2_T3_mmT4_T5_P12ihipStream_tbEUlRKiE_EEST_SX_SY_mSZ_S12_bEUlT_E_NS1_11comp_targetILNS1_3genE2ELNS1_11target_archE906ELNS1_3gpuE6ELNS1_3repE0EEENS1_30default_config_static_selectorELNS0_4arch9wavefront6targetE0EEEvSW_.num_vgpr, 0
	.set _ZN7rocprim17ROCPRIM_400000_NS6detail17trampoline_kernelINS0_14default_configENS1_27lower_bound_config_selectorIilEEZNS1_14transform_implILb0ES3_S5_N6thrust23THRUST_200600_302600_NS6detail15normal_iteratorINS8_7pointerIiNS8_11hip_rocprim3tagENS8_11use_defaultESE_EEEENSA_INSB_IlSD_SE_SE_EEEEZNS1_13binary_searchIS3_S5_NSA_INSB_IiSD_NS8_16tagged_referenceIiSD_EESE_EEEESG_SI_NS1_21lower_bound_search_opENS9_16wrapped_functionINS8_7greaterIiEEbEEEE10hipError_tPvRmT1_T2_T3_mmT4_T5_P12ihipStream_tbEUlRKiE_EEST_SX_SY_mSZ_S12_bEUlT_E_NS1_11comp_targetILNS1_3genE2ELNS1_11target_archE906ELNS1_3gpuE6ELNS1_3repE0EEENS1_30default_config_static_selectorELNS0_4arch9wavefront6targetE0EEEvSW_.num_agpr, 0
	.set _ZN7rocprim17ROCPRIM_400000_NS6detail17trampoline_kernelINS0_14default_configENS1_27lower_bound_config_selectorIilEEZNS1_14transform_implILb0ES3_S5_N6thrust23THRUST_200600_302600_NS6detail15normal_iteratorINS8_7pointerIiNS8_11hip_rocprim3tagENS8_11use_defaultESE_EEEENSA_INSB_IlSD_SE_SE_EEEEZNS1_13binary_searchIS3_S5_NSA_INSB_IiSD_NS8_16tagged_referenceIiSD_EESE_EEEESG_SI_NS1_21lower_bound_search_opENS9_16wrapped_functionINS8_7greaterIiEEbEEEE10hipError_tPvRmT1_T2_T3_mmT4_T5_P12ihipStream_tbEUlRKiE_EEST_SX_SY_mSZ_S12_bEUlT_E_NS1_11comp_targetILNS1_3genE2ELNS1_11target_archE906ELNS1_3gpuE6ELNS1_3repE0EEENS1_30default_config_static_selectorELNS0_4arch9wavefront6targetE0EEEvSW_.numbered_sgpr, 0
	.set _ZN7rocprim17ROCPRIM_400000_NS6detail17trampoline_kernelINS0_14default_configENS1_27lower_bound_config_selectorIilEEZNS1_14transform_implILb0ES3_S5_N6thrust23THRUST_200600_302600_NS6detail15normal_iteratorINS8_7pointerIiNS8_11hip_rocprim3tagENS8_11use_defaultESE_EEEENSA_INSB_IlSD_SE_SE_EEEEZNS1_13binary_searchIS3_S5_NSA_INSB_IiSD_NS8_16tagged_referenceIiSD_EESE_EEEESG_SI_NS1_21lower_bound_search_opENS9_16wrapped_functionINS8_7greaterIiEEbEEEE10hipError_tPvRmT1_T2_T3_mmT4_T5_P12ihipStream_tbEUlRKiE_EEST_SX_SY_mSZ_S12_bEUlT_E_NS1_11comp_targetILNS1_3genE2ELNS1_11target_archE906ELNS1_3gpuE6ELNS1_3repE0EEENS1_30default_config_static_selectorELNS0_4arch9wavefront6targetE0EEEvSW_.num_named_barrier, 0
	.set _ZN7rocprim17ROCPRIM_400000_NS6detail17trampoline_kernelINS0_14default_configENS1_27lower_bound_config_selectorIilEEZNS1_14transform_implILb0ES3_S5_N6thrust23THRUST_200600_302600_NS6detail15normal_iteratorINS8_7pointerIiNS8_11hip_rocprim3tagENS8_11use_defaultESE_EEEENSA_INSB_IlSD_SE_SE_EEEEZNS1_13binary_searchIS3_S5_NSA_INSB_IiSD_NS8_16tagged_referenceIiSD_EESE_EEEESG_SI_NS1_21lower_bound_search_opENS9_16wrapped_functionINS8_7greaterIiEEbEEEE10hipError_tPvRmT1_T2_T3_mmT4_T5_P12ihipStream_tbEUlRKiE_EEST_SX_SY_mSZ_S12_bEUlT_E_NS1_11comp_targetILNS1_3genE2ELNS1_11target_archE906ELNS1_3gpuE6ELNS1_3repE0EEENS1_30default_config_static_selectorELNS0_4arch9wavefront6targetE0EEEvSW_.private_seg_size, 0
	.set _ZN7rocprim17ROCPRIM_400000_NS6detail17trampoline_kernelINS0_14default_configENS1_27lower_bound_config_selectorIilEEZNS1_14transform_implILb0ES3_S5_N6thrust23THRUST_200600_302600_NS6detail15normal_iteratorINS8_7pointerIiNS8_11hip_rocprim3tagENS8_11use_defaultESE_EEEENSA_INSB_IlSD_SE_SE_EEEEZNS1_13binary_searchIS3_S5_NSA_INSB_IiSD_NS8_16tagged_referenceIiSD_EESE_EEEESG_SI_NS1_21lower_bound_search_opENS9_16wrapped_functionINS8_7greaterIiEEbEEEE10hipError_tPvRmT1_T2_T3_mmT4_T5_P12ihipStream_tbEUlRKiE_EEST_SX_SY_mSZ_S12_bEUlT_E_NS1_11comp_targetILNS1_3genE2ELNS1_11target_archE906ELNS1_3gpuE6ELNS1_3repE0EEENS1_30default_config_static_selectorELNS0_4arch9wavefront6targetE0EEEvSW_.uses_vcc, 0
	.set _ZN7rocprim17ROCPRIM_400000_NS6detail17trampoline_kernelINS0_14default_configENS1_27lower_bound_config_selectorIilEEZNS1_14transform_implILb0ES3_S5_N6thrust23THRUST_200600_302600_NS6detail15normal_iteratorINS8_7pointerIiNS8_11hip_rocprim3tagENS8_11use_defaultESE_EEEENSA_INSB_IlSD_SE_SE_EEEEZNS1_13binary_searchIS3_S5_NSA_INSB_IiSD_NS8_16tagged_referenceIiSD_EESE_EEEESG_SI_NS1_21lower_bound_search_opENS9_16wrapped_functionINS8_7greaterIiEEbEEEE10hipError_tPvRmT1_T2_T3_mmT4_T5_P12ihipStream_tbEUlRKiE_EEST_SX_SY_mSZ_S12_bEUlT_E_NS1_11comp_targetILNS1_3genE2ELNS1_11target_archE906ELNS1_3gpuE6ELNS1_3repE0EEENS1_30default_config_static_selectorELNS0_4arch9wavefront6targetE0EEEvSW_.uses_flat_scratch, 0
	.set _ZN7rocprim17ROCPRIM_400000_NS6detail17trampoline_kernelINS0_14default_configENS1_27lower_bound_config_selectorIilEEZNS1_14transform_implILb0ES3_S5_N6thrust23THRUST_200600_302600_NS6detail15normal_iteratorINS8_7pointerIiNS8_11hip_rocprim3tagENS8_11use_defaultESE_EEEENSA_INSB_IlSD_SE_SE_EEEEZNS1_13binary_searchIS3_S5_NSA_INSB_IiSD_NS8_16tagged_referenceIiSD_EESE_EEEESG_SI_NS1_21lower_bound_search_opENS9_16wrapped_functionINS8_7greaterIiEEbEEEE10hipError_tPvRmT1_T2_T3_mmT4_T5_P12ihipStream_tbEUlRKiE_EEST_SX_SY_mSZ_S12_bEUlT_E_NS1_11comp_targetILNS1_3genE2ELNS1_11target_archE906ELNS1_3gpuE6ELNS1_3repE0EEENS1_30default_config_static_selectorELNS0_4arch9wavefront6targetE0EEEvSW_.has_dyn_sized_stack, 0
	.set _ZN7rocprim17ROCPRIM_400000_NS6detail17trampoline_kernelINS0_14default_configENS1_27lower_bound_config_selectorIilEEZNS1_14transform_implILb0ES3_S5_N6thrust23THRUST_200600_302600_NS6detail15normal_iteratorINS8_7pointerIiNS8_11hip_rocprim3tagENS8_11use_defaultESE_EEEENSA_INSB_IlSD_SE_SE_EEEEZNS1_13binary_searchIS3_S5_NSA_INSB_IiSD_NS8_16tagged_referenceIiSD_EESE_EEEESG_SI_NS1_21lower_bound_search_opENS9_16wrapped_functionINS8_7greaterIiEEbEEEE10hipError_tPvRmT1_T2_T3_mmT4_T5_P12ihipStream_tbEUlRKiE_EEST_SX_SY_mSZ_S12_bEUlT_E_NS1_11comp_targetILNS1_3genE2ELNS1_11target_archE906ELNS1_3gpuE6ELNS1_3repE0EEENS1_30default_config_static_selectorELNS0_4arch9wavefront6targetE0EEEvSW_.has_recursion, 0
	.set _ZN7rocprim17ROCPRIM_400000_NS6detail17trampoline_kernelINS0_14default_configENS1_27lower_bound_config_selectorIilEEZNS1_14transform_implILb0ES3_S5_N6thrust23THRUST_200600_302600_NS6detail15normal_iteratorINS8_7pointerIiNS8_11hip_rocprim3tagENS8_11use_defaultESE_EEEENSA_INSB_IlSD_SE_SE_EEEEZNS1_13binary_searchIS3_S5_NSA_INSB_IiSD_NS8_16tagged_referenceIiSD_EESE_EEEESG_SI_NS1_21lower_bound_search_opENS9_16wrapped_functionINS8_7greaterIiEEbEEEE10hipError_tPvRmT1_T2_T3_mmT4_T5_P12ihipStream_tbEUlRKiE_EEST_SX_SY_mSZ_S12_bEUlT_E_NS1_11comp_targetILNS1_3genE2ELNS1_11target_archE906ELNS1_3gpuE6ELNS1_3repE0EEENS1_30default_config_static_selectorELNS0_4arch9wavefront6targetE0EEEvSW_.has_indirect_call, 0
	.section	.AMDGPU.csdata,"",@progbits
; Kernel info:
; codeLenInByte = 0
; TotalNumSgprs: 0
; NumVgprs: 0
; ScratchSize: 0
; MemoryBound: 0
; FloatMode: 240
; IeeeMode: 1
; LDSByteSize: 0 bytes/workgroup (compile time only)
; SGPRBlocks: 0
; VGPRBlocks: 0
; NumSGPRsForWavesPerEU: 1
; NumVGPRsForWavesPerEU: 1
; NamedBarCnt: 0
; Occupancy: 16
; WaveLimiterHint : 0
; COMPUTE_PGM_RSRC2:SCRATCH_EN: 0
; COMPUTE_PGM_RSRC2:USER_SGPR: 2
; COMPUTE_PGM_RSRC2:TRAP_HANDLER: 0
; COMPUTE_PGM_RSRC2:TGID_X_EN: 1
; COMPUTE_PGM_RSRC2:TGID_Y_EN: 0
; COMPUTE_PGM_RSRC2:TGID_Z_EN: 0
; COMPUTE_PGM_RSRC2:TIDIG_COMP_CNT: 0
	.section	.text._ZN7rocprim17ROCPRIM_400000_NS6detail17trampoline_kernelINS0_14default_configENS1_27lower_bound_config_selectorIilEEZNS1_14transform_implILb0ES3_S5_N6thrust23THRUST_200600_302600_NS6detail15normal_iteratorINS8_7pointerIiNS8_11hip_rocprim3tagENS8_11use_defaultESE_EEEENSA_INSB_IlSD_SE_SE_EEEEZNS1_13binary_searchIS3_S5_NSA_INSB_IiSD_NS8_16tagged_referenceIiSD_EESE_EEEESG_SI_NS1_21lower_bound_search_opENS9_16wrapped_functionINS8_7greaterIiEEbEEEE10hipError_tPvRmT1_T2_T3_mmT4_T5_P12ihipStream_tbEUlRKiE_EEST_SX_SY_mSZ_S12_bEUlT_E_NS1_11comp_targetILNS1_3genE10ELNS1_11target_archE1201ELNS1_3gpuE5ELNS1_3repE0EEENS1_30default_config_static_selectorELNS0_4arch9wavefront6targetE0EEEvSW_,"axG",@progbits,_ZN7rocprim17ROCPRIM_400000_NS6detail17trampoline_kernelINS0_14default_configENS1_27lower_bound_config_selectorIilEEZNS1_14transform_implILb0ES3_S5_N6thrust23THRUST_200600_302600_NS6detail15normal_iteratorINS8_7pointerIiNS8_11hip_rocprim3tagENS8_11use_defaultESE_EEEENSA_INSB_IlSD_SE_SE_EEEEZNS1_13binary_searchIS3_S5_NSA_INSB_IiSD_NS8_16tagged_referenceIiSD_EESE_EEEESG_SI_NS1_21lower_bound_search_opENS9_16wrapped_functionINS8_7greaterIiEEbEEEE10hipError_tPvRmT1_T2_T3_mmT4_T5_P12ihipStream_tbEUlRKiE_EEST_SX_SY_mSZ_S12_bEUlT_E_NS1_11comp_targetILNS1_3genE10ELNS1_11target_archE1201ELNS1_3gpuE5ELNS1_3repE0EEENS1_30default_config_static_selectorELNS0_4arch9wavefront6targetE0EEEvSW_,comdat
	.protected	_ZN7rocprim17ROCPRIM_400000_NS6detail17trampoline_kernelINS0_14default_configENS1_27lower_bound_config_selectorIilEEZNS1_14transform_implILb0ES3_S5_N6thrust23THRUST_200600_302600_NS6detail15normal_iteratorINS8_7pointerIiNS8_11hip_rocprim3tagENS8_11use_defaultESE_EEEENSA_INSB_IlSD_SE_SE_EEEEZNS1_13binary_searchIS3_S5_NSA_INSB_IiSD_NS8_16tagged_referenceIiSD_EESE_EEEESG_SI_NS1_21lower_bound_search_opENS9_16wrapped_functionINS8_7greaterIiEEbEEEE10hipError_tPvRmT1_T2_T3_mmT4_T5_P12ihipStream_tbEUlRKiE_EEST_SX_SY_mSZ_S12_bEUlT_E_NS1_11comp_targetILNS1_3genE10ELNS1_11target_archE1201ELNS1_3gpuE5ELNS1_3repE0EEENS1_30default_config_static_selectorELNS0_4arch9wavefront6targetE0EEEvSW_ ; -- Begin function _ZN7rocprim17ROCPRIM_400000_NS6detail17trampoline_kernelINS0_14default_configENS1_27lower_bound_config_selectorIilEEZNS1_14transform_implILb0ES3_S5_N6thrust23THRUST_200600_302600_NS6detail15normal_iteratorINS8_7pointerIiNS8_11hip_rocprim3tagENS8_11use_defaultESE_EEEENSA_INSB_IlSD_SE_SE_EEEEZNS1_13binary_searchIS3_S5_NSA_INSB_IiSD_NS8_16tagged_referenceIiSD_EESE_EEEESG_SI_NS1_21lower_bound_search_opENS9_16wrapped_functionINS8_7greaterIiEEbEEEE10hipError_tPvRmT1_T2_T3_mmT4_T5_P12ihipStream_tbEUlRKiE_EEST_SX_SY_mSZ_S12_bEUlT_E_NS1_11comp_targetILNS1_3genE10ELNS1_11target_archE1201ELNS1_3gpuE5ELNS1_3repE0EEENS1_30default_config_static_selectorELNS0_4arch9wavefront6targetE0EEEvSW_
	.globl	_ZN7rocprim17ROCPRIM_400000_NS6detail17trampoline_kernelINS0_14default_configENS1_27lower_bound_config_selectorIilEEZNS1_14transform_implILb0ES3_S5_N6thrust23THRUST_200600_302600_NS6detail15normal_iteratorINS8_7pointerIiNS8_11hip_rocprim3tagENS8_11use_defaultESE_EEEENSA_INSB_IlSD_SE_SE_EEEEZNS1_13binary_searchIS3_S5_NSA_INSB_IiSD_NS8_16tagged_referenceIiSD_EESE_EEEESG_SI_NS1_21lower_bound_search_opENS9_16wrapped_functionINS8_7greaterIiEEbEEEE10hipError_tPvRmT1_T2_T3_mmT4_T5_P12ihipStream_tbEUlRKiE_EEST_SX_SY_mSZ_S12_bEUlT_E_NS1_11comp_targetILNS1_3genE10ELNS1_11target_archE1201ELNS1_3gpuE5ELNS1_3repE0EEENS1_30default_config_static_selectorELNS0_4arch9wavefront6targetE0EEEvSW_
	.p2align	8
	.type	_ZN7rocprim17ROCPRIM_400000_NS6detail17trampoline_kernelINS0_14default_configENS1_27lower_bound_config_selectorIilEEZNS1_14transform_implILb0ES3_S5_N6thrust23THRUST_200600_302600_NS6detail15normal_iteratorINS8_7pointerIiNS8_11hip_rocprim3tagENS8_11use_defaultESE_EEEENSA_INSB_IlSD_SE_SE_EEEEZNS1_13binary_searchIS3_S5_NSA_INSB_IiSD_NS8_16tagged_referenceIiSD_EESE_EEEESG_SI_NS1_21lower_bound_search_opENS9_16wrapped_functionINS8_7greaterIiEEbEEEE10hipError_tPvRmT1_T2_T3_mmT4_T5_P12ihipStream_tbEUlRKiE_EEST_SX_SY_mSZ_S12_bEUlT_E_NS1_11comp_targetILNS1_3genE10ELNS1_11target_archE1201ELNS1_3gpuE5ELNS1_3repE0EEENS1_30default_config_static_selectorELNS0_4arch9wavefront6targetE0EEEvSW_,@function
_ZN7rocprim17ROCPRIM_400000_NS6detail17trampoline_kernelINS0_14default_configENS1_27lower_bound_config_selectorIilEEZNS1_14transform_implILb0ES3_S5_N6thrust23THRUST_200600_302600_NS6detail15normal_iteratorINS8_7pointerIiNS8_11hip_rocprim3tagENS8_11use_defaultESE_EEEENSA_INSB_IlSD_SE_SE_EEEEZNS1_13binary_searchIS3_S5_NSA_INSB_IiSD_NS8_16tagged_referenceIiSD_EESE_EEEESG_SI_NS1_21lower_bound_search_opENS9_16wrapped_functionINS8_7greaterIiEEbEEEE10hipError_tPvRmT1_T2_T3_mmT4_T5_P12ihipStream_tbEUlRKiE_EEST_SX_SY_mSZ_S12_bEUlT_E_NS1_11comp_targetILNS1_3genE10ELNS1_11target_archE1201ELNS1_3gpuE5ELNS1_3repE0EEENS1_30default_config_static_selectorELNS0_4arch9wavefront6targetE0EEEvSW_: ; @_ZN7rocprim17ROCPRIM_400000_NS6detail17trampoline_kernelINS0_14default_configENS1_27lower_bound_config_selectorIilEEZNS1_14transform_implILb0ES3_S5_N6thrust23THRUST_200600_302600_NS6detail15normal_iteratorINS8_7pointerIiNS8_11hip_rocprim3tagENS8_11use_defaultESE_EEEENSA_INSB_IlSD_SE_SE_EEEEZNS1_13binary_searchIS3_S5_NSA_INSB_IiSD_NS8_16tagged_referenceIiSD_EESE_EEEESG_SI_NS1_21lower_bound_search_opENS9_16wrapped_functionINS8_7greaterIiEEbEEEE10hipError_tPvRmT1_T2_T3_mmT4_T5_P12ihipStream_tbEUlRKiE_EEST_SX_SY_mSZ_S12_bEUlT_E_NS1_11comp_targetILNS1_3genE10ELNS1_11target_archE1201ELNS1_3gpuE5ELNS1_3repE0EEENS1_30default_config_static_selectorELNS0_4arch9wavefront6targetE0EEEvSW_
; %bb.0:
	.section	.rodata,"a",@progbits
	.p2align	6, 0x0
	.amdhsa_kernel _ZN7rocprim17ROCPRIM_400000_NS6detail17trampoline_kernelINS0_14default_configENS1_27lower_bound_config_selectorIilEEZNS1_14transform_implILb0ES3_S5_N6thrust23THRUST_200600_302600_NS6detail15normal_iteratorINS8_7pointerIiNS8_11hip_rocprim3tagENS8_11use_defaultESE_EEEENSA_INSB_IlSD_SE_SE_EEEEZNS1_13binary_searchIS3_S5_NSA_INSB_IiSD_NS8_16tagged_referenceIiSD_EESE_EEEESG_SI_NS1_21lower_bound_search_opENS9_16wrapped_functionINS8_7greaterIiEEbEEEE10hipError_tPvRmT1_T2_T3_mmT4_T5_P12ihipStream_tbEUlRKiE_EEST_SX_SY_mSZ_S12_bEUlT_E_NS1_11comp_targetILNS1_3genE10ELNS1_11target_archE1201ELNS1_3gpuE5ELNS1_3repE0EEENS1_30default_config_static_selectorELNS0_4arch9wavefront6targetE0EEEvSW_
		.amdhsa_group_segment_fixed_size 0
		.amdhsa_private_segment_fixed_size 0
		.amdhsa_kernarg_size 56
		.amdhsa_user_sgpr_count 2
		.amdhsa_user_sgpr_dispatch_ptr 0
		.amdhsa_user_sgpr_queue_ptr 0
		.amdhsa_user_sgpr_kernarg_segment_ptr 1
		.amdhsa_user_sgpr_dispatch_id 0
		.amdhsa_user_sgpr_kernarg_preload_length 0
		.amdhsa_user_sgpr_kernarg_preload_offset 0
		.amdhsa_user_sgpr_private_segment_size 0
		.amdhsa_wavefront_size32 1
		.amdhsa_uses_dynamic_stack 0
		.amdhsa_enable_private_segment 0
		.amdhsa_system_sgpr_workgroup_id_x 1
		.amdhsa_system_sgpr_workgroup_id_y 0
		.amdhsa_system_sgpr_workgroup_id_z 0
		.amdhsa_system_sgpr_workgroup_info 0
		.amdhsa_system_vgpr_workitem_id 0
		.amdhsa_next_free_vgpr 1
		.amdhsa_next_free_sgpr 1
		.amdhsa_named_barrier_count 0
		.amdhsa_reserve_vcc 0
		.amdhsa_float_round_mode_32 0
		.amdhsa_float_round_mode_16_64 0
		.amdhsa_float_denorm_mode_32 3
		.amdhsa_float_denorm_mode_16_64 3
		.amdhsa_fp16_overflow 0
		.amdhsa_memory_ordered 1
		.amdhsa_forward_progress 1
		.amdhsa_inst_pref_size 0
		.amdhsa_round_robin_scheduling 0
		.amdhsa_exception_fp_ieee_invalid_op 0
		.amdhsa_exception_fp_denorm_src 0
		.amdhsa_exception_fp_ieee_div_zero 0
		.amdhsa_exception_fp_ieee_overflow 0
		.amdhsa_exception_fp_ieee_underflow 0
		.amdhsa_exception_fp_ieee_inexact 0
		.amdhsa_exception_int_div_zero 0
	.end_amdhsa_kernel
	.section	.text._ZN7rocprim17ROCPRIM_400000_NS6detail17trampoline_kernelINS0_14default_configENS1_27lower_bound_config_selectorIilEEZNS1_14transform_implILb0ES3_S5_N6thrust23THRUST_200600_302600_NS6detail15normal_iteratorINS8_7pointerIiNS8_11hip_rocprim3tagENS8_11use_defaultESE_EEEENSA_INSB_IlSD_SE_SE_EEEEZNS1_13binary_searchIS3_S5_NSA_INSB_IiSD_NS8_16tagged_referenceIiSD_EESE_EEEESG_SI_NS1_21lower_bound_search_opENS9_16wrapped_functionINS8_7greaterIiEEbEEEE10hipError_tPvRmT1_T2_T3_mmT4_T5_P12ihipStream_tbEUlRKiE_EEST_SX_SY_mSZ_S12_bEUlT_E_NS1_11comp_targetILNS1_3genE10ELNS1_11target_archE1201ELNS1_3gpuE5ELNS1_3repE0EEENS1_30default_config_static_selectorELNS0_4arch9wavefront6targetE0EEEvSW_,"axG",@progbits,_ZN7rocprim17ROCPRIM_400000_NS6detail17trampoline_kernelINS0_14default_configENS1_27lower_bound_config_selectorIilEEZNS1_14transform_implILb0ES3_S5_N6thrust23THRUST_200600_302600_NS6detail15normal_iteratorINS8_7pointerIiNS8_11hip_rocprim3tagENS8_11use_defaultESE_EEEENSA_INSB_IlSD_SE_SE_EEEEZNS1_13binary_searchIS3_S5_NSA_INSB_IiSD_NS8_16tagged_referenceIiSD_EESE_EEEESG_SI_NS1_21lower_bound_search_opENS9_16wrapped_functionINS8_7greaterIiEEbEEEE10hipError_tPvRmT1_T2_T3_mmT4_T5_P12ihipStream_tbEUlRKiE_EEST_SX_SY_mSZ_S12_bEUlT_E_NS1_11comp_targetILNS1_3genE10ELNS1_11target_archE1201ELNS1_3gpuE5ELNS1_3repE0EEENS1_30default_config_static_selectorELNS0_4arch9wavefront6targetE0EEEvSW_,comdat
.Lfunc_end63:
	.size	_ZN7rocprim17ROCPRIM_400000_NS6detail17trampoline_kernelINS0_14default_configENS1_27lower_bound_config_selectorIilEEZNS1_14transform_implILb0ES3_S5_N6thrust23THRUST_200600_302600_NS6detail15normal_iteratorINS8_7pointerIiNS8_11hip_rocprim3tagENS8_11use_defaultESE_EEEENSA_INSB_IlSD_SE_SE_EEEEZNS1_13binary_searchIS3_S5_NSA_INSB_IiSD_NS8_16tagged_referenceIiSD_EESE_EEEESG_SI_NS1_21lower_bound_search_opENS9_16wrapped_functionINS8_7greaterIiEEbEEEE10hipError_tPvRmT1_T2_T3_mmT4_T5_P12ihipStream_tbEUlRKiE_EEST_SX_SY_mSZ_S12_bEUlT_E_NS1_11comp_targetILNS1_3genE10ELNS1_11target_archE1201ELNS1_3gpuE5ELNS1_3repE0EEENS1_30default_config_static_selectorELNS0_4arch9wavefront6targetE0EEEvSW_, .Lfunc_end63-_ZN7rocprim17ROCPRIM_400000_NS6detail17trampoline_kernelINS0_14default_configENS1_27lower_bound_config_selectorIilEEZNS1_14transform_implILb0ES3_S5_N6thrust23THRUST_200600_302600_NS6detail15normal_iteratorINS8_7pointerIiNS8_11hip_rocprim3tagENS8_11use_defaultESE_EEEENSA_INSB_IlSD_SE_SE_EEEEZNS1_13binary_searchIS3_S5_NSA_INSB_IiSD_NS8_16tagged_referenceIiSD_EESE_EEEESG_SI_NS1_21lower_bound_search_opENS9_16wrapped_functionINS8_7greaterIiEEbEEEE10hipError_tPvRmT1_T2_T3_mmT4_T5_P12ihipStream_tbEUlRKiE_EEST_SX_SY_mSZ_S12_bEUlT_E_NS1_11comp_targetILNS1_3genE10ELNS1_11target_archE1201ELNS1_3gpuE5ELNS1_3repE0EEENS1_30default_config_static_selectorELNS0_4arch9wavefront6targetE0EEEvSW_
                                        ; -- End function
	.set _ZN7rocprim17ROCPRIM_400000_NS6detail17trampoline_kernelINS0_14default_configENS1_27lower_bound_config_selectorIilEEZNS1_14transform_implILb0ES3_S5_N6thrust23THRUST_200600_302600_NS6detail15normal_iteratorINS8_7pointerIiNS8_11hip_rocprim3tagENS8_11use_defaultESE_EEEENSA_INSB_IlSD_SE_SE_EEEEZNS1_13binary_searchIS3_S5_NSA_INSB_IiSD_NS8_16tagged_referenceIiSD_EESE_EEEESG_SI_NS1_21lower_bound_search_opENS9_16wrapped_functionINS8_7greaterIiEEbEEEE10hipError_tPvRmT1_T2_T3_mmT4_T5_P12ihipStream_tbEUlRKiE_EEST_SX_SY_mSZ_S12_bEUlT_E_NS1_11comp_targetILNS1_3genE10ELNS1_11target_archE1201ELNS1_3gpuE5ELNS1_3repE0EEENS1_30default_config_static_selectorELNS0_4arch9wavefront6targetE0EEEvSW_.num_vgpr, 0
	.set _ZN7rocprim17ROCPRIM_400000_NS6detail17trampoline_kernelINS0_14default_configENS1_27lower_bound_config_selectorIilEEZNS1_14transform_implILb0ES3_S5_N6thrust23THRUST_200600_302600_NS6detail15normal_iteratorINS8_7pointerIiNS8_11hip_rocprim3tagENS8_11use_defaultESE_EEEENSA_INSB_IlSD_SE_SE_EEEEZNS1_13binary_searchIS3_S5_NSA_INSB_IiSD_NS8_16tagged_referenceIiSD_EESE_EEEESG_SI_NS1_21lower_bound_search_opENS9_16wrapped_functionINS8_7greaterIiEEbEEEE10hipError_tPvRmT1_T2_T3_mmT4_T5_P12ihipStream_tbEUlRKiE_EEST_SX_SY_mSZ_S12_bEUlT_E_NS1_11comp_targetILNS1_3genE10ELNS1_11target_archE1201ELNS1_3gpuE5ELNS1_3repE0EEENS1_30default_config_static_selectorELNS0_4arch9wavefront6targetE0EEEvSW_.num_agpr, 0
	.set _ZN7rocprim17ROCPRIM_400000_NS6detail17trampoline_kernelINS0_14default_configENS1_27lower_bound_config_selectorIilEEZNS1_14transform_implILb0ES3_S5_N6thrust23THRUST_200600_302600_NS6detail15normal_iteratorINS8_7pointerIiNS8_11hip_rocprim3tagENS8_11use_defaultESE_EEEENSA_INSB_IlSD_SE_SE_EEEEZNS1_13binary_searchIS3_S5_NSA_INSB_IiSD_NS8_16tagged_referenceIiSD_EESE_EEEESG_SI_NS1_21lower_bound_search_opENS9_16wrapped_functionINS8_7greaterIiEEbEEEE10hipError_tPvRmT1_T2_T3_mmT4_T5_P12ihipStream_tbEUlRKiE_EEST_SX_SY_mSZ_S12_bEUlT_E_NS1_11comp_targetILNS1_3genE10ELNS1_11target_archE1201ELNS1_3gpuE5ELNS1_3repE0EEENS1_30default_config_static_selectorELNS0_4arch9wavefront6targetE0EEEvSW_.numbered_sgpr, 0
	.set _ZN7rocprim17ROCPRIM_400000_NS6detail17trampoline_kernelINS0_14default_configENS1_27lower_bound_config_selectorIilEEZNS1_14transform_implILb0ES3_S5_N6thrust23THRUST_200600_302600_NS6detail15normal_iteratorINS8_7pointerIiNS8_11hip_rocprim3tagENS8_11use_defaultESE_EEEENSA_INSB_IlSD_SE_SE_EEEEZNS1_13binary_searchIS3_S5_NSA_INSB_IiSD_NS8_16tagged_referenceIiSD_EESE_EEEESG_SI_NS1_21lower_bound_search_opENS9_16wrapped_functionINS8_7greaterIiEEbEEEE10hipError_tPvRmT1_T2_T3_mmT4_T5_P12ihipStream_tbEUlRKiE_EEST_SX_SY_mSZ_S12_bEUlT_E_NS1_11comp_targetILNS1_3genE10ELNS1_11target_archE1201ELNS1_3gpuE5ELNS1_3repE0EEENS1_30default_config_static_selectorELNS0_4arch9wavefront6targetE0EEEvSW_.num_named_barrier, 0
	.set _ZN7rocprim17ROCPRIM_400000_NS6detail17trampoline_kernelINS0_14default_configENS1_27lower_bound_config_selectorIilEEZNS1_14transform_implILb0ES3_S5_N6thrust23THRUST_200600_302600_NS6detail15normal_iteratorINS8_7pointerIiNS8_11hip_rocprim3tagENS8_11use_defaultESE_EEEENSA_INSB_IlSD_SE_SE_EEEEZNS1_13binary_searchIS3_S5_NSA_INSB_IiSD_NS8_16tagged_referenceIiSD_EESE_EEEESG_SI_NS1_21lower_bound_search_opENS9_16wrapped_functionINS8_7greaterIiEEbEEEE10hipError_tPvRmT1_T2_T3_mmT4_T5_P12ihipStream_tbEUlRKiE_EEST_SX_SY_mSZ_S12_bEUlT_E_NS1_11comp_targetILNS1_3genE10ELNS1_11target_archE1201ELNS1_3gpuE5ELNS1_3repE0EEENS1_30default_config_static_selectorELNS0_4arch9wavefront6targetE0EEEvSW_.private_seg_size, 0
	.set _ZN7rocprim17ROCPRIM_400000_NS6detail17trampoline_kernelINS0_14default_configENS1_27lower_bound_config_selectorIilEEZNS1_14transform_implILb0ES3_S5_N6thrust23THRUST_200600_302600_NS6detail15normal_iteratorINS8_7pointerIiNS8_11hip_rocprim3tagENS8_11use_defaultESE_EEEENSA_INSB_IlSD_SE_SE_EEEEZNS1_13binary_searchIS3_S5_NSA_INSB_IiSD_NS8_16tagged_referenceIiSD_EESE_EEEESG_SI_NS1_21lower_bound_search_opENS9_16wrapped_functionINS8_7greaterIiEEbEEEE10hipError_tPvRmT1_T2_T3_mmT4_T5_P12ihipStream_tbEUlRKiE_EEST_SX_SY_mSZ_S12_bEUlT_E_NS1_11comp_targetILNS1_3genE10ELNS1_11target_archE1201ELNS1_3gpuE5ELNS1_3repE0EEENS1_30default_config_static_selectorELNS0_4arch9wavefront6targetE0EEEvSW_.uses_vcc, 0
	.set _ZN7rocprim17ROCPRIM_400000_NS6detail17trampoline_kernelINS0_14default_configENS1_27lower_bound_config_selectorIilEEZNS1_14transform_implILb0ES3_S5_N6thrust23THRUST_200600_302600_NS6detail15normal_iteratorINS8_7pointerIiNS8_11hip_rocprim3tagENS8_11use_defaultESE_EEEENSA_INSB_IlSD_SE_SE_EEEEZNS1_13binary_searchIS3_S5_NSA_INSB_IiSD_NS8_16tagged_referenceIiSD_EESE_EEEESG_SI_NS1_21lower_bound_search_opENS9_16wrapped_functionINS8_7greaterIiEEbEEEE10hipError_tPvRmT1_T2_T3_mmT4_T5_P12ihipStream_tbEUlRKiE_EEST_SX_SY_mSZ_S12_bEUlT_E_NS1_11comp_targetILNS1_3genE10ELNS1_11target_archE1201ELNS1_3gpuE5ELNS1_3repE0EEENS1_30default_config_static_selectorELNS0_4arch9wavefront6targetE0EEEvSW_.uses_flat_scratch, 0
	.set _ZN7rocprim17ROCPRIM_400000_NS6detail17trampoline_kernelINS0_14default_configENS1_27lower_bound_config_selectorIilEEZNS1_14transform_implILb0ES3_S5_N6thrust23THRUST_200600_302600_NS6detail15normal_iteratorINS8_7pointerIiNS8_11hip_rocprim3tagENS8_11use_defaultESE_EEEENSA_INSB_IlSD_SE_SE_EEEEZNS1_13binary_searchIS3_S5_NSA_INSB_IiSD_NS8_16tagged_referenceIiSD_EESE_EEEESG_SI_NS1_21lower_bound_search_opENS9_16wrapped_functionINS8_7greaterIiEEbEEEE10hipError_tPvRmT1_T2_T3_mmT4_T5_P12ihipStream_tbEUlRKiE_EEST_SX_SY_mSZ_S12_bEUlT_E_NS1_11comp_targetILNS1_3genE10ELNS1_11target_archE1201ELNS1_3gpuE5ELNS1_3repE0EEENS1_30default_config_static_selectorELNS0_4arch9wavefront6targetE0EEEvSW_.has_dyn_sized_stack, 0
	.set _ZN7rocprim17ROCPRIM_400000_NS6detail17trampoline_kernelINS0_14default_configENS1_27lower_bound_config_selectorIilEEZNS1_14transform_implILb0ES3_S5_N6thrust23THRUST_200600_302600_NS6detail15normal_iteratorINS8_7pointerIiNS8_11hip_rocprim3tagENS8_11use_defaultESE_EEEENSA_INSB_IlSD_SE_SE_EEEEZNS1_13binary_searchIS3_S5_NSA_INSB_IiSD_NS8_16tagged_referenceIiSD_EESE_EEEESG_SI_NS1_21lower_bound_search_opENS9_16wrapped_functionINS8_7greaterIiEEbEEEE10hipError_tPvRmT1_T2_T3_mmT4_T5_P12ihipStream_tbEUlRKiE_EEST_SX_SY_mSZ_S12_bEUlT_E_NS1_11comp_targetILNS1_3genE10ELNS1_11target_archE1201ELNS1_3gpuE5ELNS1_3repE0EEENS1_30default_config_static_selectorELNS0_4arch9wavefront6targetE0EEEvSW_.has_recursion, 0
	.set _ZN7rocprim17ROCPRIM_400000_NS6detail17trampoline_kernelINS0_14default_configENS1_27lower_bound_config_selectorIilEEZNS1_14transform_implILb0ES3_S5_N6thrust23THRUST_200600_302600_NS6detail15normal_iteratorINS8_7pointerIiNS8_11hip_rocprim3tagENS8_11use_defaultESE_EEEENSA_INSB_IlSD_SE_SE_EEEEZNS1_13binary_searchIS3_S5_NSA_INSB_IiSD_NS8_16tagged_referenceIiSD_EESE_EEEESG_SI_NS1_21lower_bound_search_opENS9_16wrapped_functionINS8_7greaterIiEEbEEEE10hipError_tPvRmT1_T2_T3_mmT4_T5_P12ihipStream_tbEUlRKiE_EEST_SX_SY_mSZ_S12_bEUlT_E_NS1_11comp_targetILNS1_3genE10ELNS1_11target_archE1201ELNS1_3gpuE5ELNS1_3repE0EEENS1_30default_config_static_selectorELNS0_4arch9wavefront6targetE0EEEvSW_.has_indirect_call, 0
	.section	.AMDGPU.csdata,"",@progbits
; Kernel info:
; codeLenInByte = 0
; TotalNumSgprs: 0
; NumVgprs: 0
; ScratchSize: 0
; MemoryBound: 0
; FloatMode: 240
; IeeeMode: 1
; LDSByteSize: 0 bytes/workgroup (compile time only)
; SGPRBlocks: 0
; VGPRBlocks: 0
; NumSGPRsForWavesPerEU: 1
; NumVGPRsForWavesPerEU: 1
; NamedBarCnt: 0
; Occupancy: 16
; WaveLimiterHint : 0
; COMPUTE_PGM_RSRC2:SCRATCH_EN: 0
; COMPUTE_PGM_RSRC2:USER_SGPR: 2
; COMPUTE_PGM_RSRC2:TRAP_HANDLER: 0
; COMPUTE_PGM_RSRC2:TGID_X_EN: 1
; COMPUTE_PGM_RSRC2:TGID_Y_EN: 0
; COMPUTE_PGM_RSRC2:TGID_Z_EN: 0
; COMPUTE_PGM_RSRC2:TIDIG_COMP_CNT: 0
	.section	.text._ZN7rocprim17ROCPRIM_400000_NS6detail17trampoline_kernelINS0_14default_configENS1_27lower_bound_config_selectorIilEEZNS1_14transform_implILb0ES3_S5_N6thrust23THRUST_200600_302600_NS6detail15normal_iteratorINS8_7pointerIiNS8_11hip_rocprim3tagENS8_11use_defaultESE_EEEENSA_INSB_IlSD_SE_SE_EEEEZNS1_13binary_searchIS3_S5_NSA_INSB_IiSD_NS8_16tagged_referenceIiSD_EESE_EEEESG_SI_NS1_21lower_bound_search_opENS9_16wrapped_functionINS8_7greaterIiEEbEEEE10hipError_tPvRmT1_T2_T3_mmT4_T5_P12ihipStream_tbEUlRKiE_EEST_SX_SY_mSZ_S12_bEUlT_E_NS1_11comp_targetILNS1_3genE10ELNS1_11target_archE1200ELNS1_3gpuE4ELNS1_3repE0EEENS1_30default_config_static_selectorELNS0_4arch9wavefront6targetE0EEEvSW_,"axG",@progbits,_ZN7rocprim17ROCPRIM_400000_NS6detail17trampoline_kernelINS0_14default_configENS1_27lower_bound_config_selectorIilEEZNS1_14transform_implILb0ES3_S5_N6thrust23THRUST_200600_302600_NS6detail15normal_iteratorINS8_7pointerIiNS8_11hip_rocprim3tagENS8_11use_defaultESE_EEEENSA_INSB_IlSD_SE_SE_EEEEZNS1_13binary_searchIS3_S5_NSA_INSB_IiSD_NS8_16tagged_referenceIiSD_EESE_EEEESG_SI_NS1_21lower_bound_search_opENS9_16wrapped_functionINS8_7greaterIiEEbEEEE10hipError_tPvRmT1_T2_T3_mmT4_T5_P12ihipStream_tbEUlRKiE_EEST_SX_SY_mSZ_S12_bEUlT_E_NS1_11comp_targetILNS1_3genE10ELNS1_11target_archE1200ELNS1_3gpuE4ELNS1_3repE0EEENS1_30default_config_static_selectorELNS0_4arch9wavefront6targetE0EEEvSW_,comdat
	.protected	_ZN7rocprim17ROCPRIM_400000_NS6detail17trampoline_kernelINS0_14default_configENS1_27lower_bound_config_selectorIilEEZNS1_14transform_implILb0ES3_S5_N6thrust23THRUST_200600_302600_NS6detail15normal_iteratorINS8_7pointerIiNS8_11hip_rocprim3tagENS8_11use_defaultESE_EEEENSA_INSB_IlSD_SE_SE_EEEEZNS1_13binary_searchIS3_S5_NSA_INSB_IiSD_NS8_16tagged_referenceIiSD_EESE_EEEESG_SI_NS1_21lower_bound_search_opENS9_16wrapped_functionINS8_7greaterIiEEbEEEE10hipError_tPvRmT1_T2_T3_mmT4_T5_P12ihipStream_tbEUlRKiE_EEST_SX_SY_mSZ_S12_bEUlT_E_NS1_11comp_targetILNS1_3genE10ELNS1_11target_archE1200ELNS1_3gpuE4ELNS1_3repE0EEENS1_30default_config_static_selectorELNS0_4arch9wavefront6targetE0EEEvSW_ ; -- Begin function _ZN7rocprim17ROCPRIM_400000_NS6detail17trampoline_kernelINS0_14default_configENS1_27lower_bound_config_selectorIilEEZNS1_14transform_implILb0ES3_S5_N6thrust23THRUST_200600_302600_NS6detail15normal_iteratorINS8_7pointerIiNS8_11hip_rocprim3tagENS8_11use_defaultESE_EEEENSA_INSB_IlSD_SE_SE_EEEEZNS1_13binary_searchIS3_S5_NSA_INSB_IiSD_NS8_16tagged_referenceIiSD_EESE_EEEESG_SI_NS1_21lower_bound_search_opENS9_16wrapped_functionINS8_7greaterIiEEbEEEE10hipError_tPvRmT1_T2_T3_mmT4_T5_P12ihipStream_tbEUlRKiE_EEST_SX_SY_mSZ_S12_bEUlT_E_NS1_11comp_targetILNS1_3genE10ELNS1_11target_archE1200ELNS1_3gpuE4ELNS1_3repE0EEENS1_30default_config_static_selectorELNS0_4arch9wavefront6targetE0EEEvSW_
	.globl	_ZN7rocprim17ROCPRIM_400000_NS6detail17trampoline_kernelINS0_14default_configENS1_27lower_bound_config_selectorIilEEZNS1_14transform_implILb0ES3_S5_N6thrust23THRUST_200600_302600_NS6detail15normal_iteratorINS8_7pointerIiNS8_11hip_rocprim3tagENS8_11use_defaultESE_EEEENSA_INSB_IlSD_SE_SE_EEEEZNS1_13binary_searchIS3_S5_NSA_INSB_IiSD_NS8_16tagged_referenceIiSD_EESE_EEEESG_SI_NS1_21lower_bound_search_opENS9_16wrapped_functionINS8_7greaterIiEEbEEEE10hipError_tPvRmT1_T2_T3_mmT4_T5_P12ihipStream_tbEUlRKiE_EEST_SX_SY_mSZ_S12_bEUlT_E_NS1_11comp_targetILNS1_3genE10ELNS1_11target_archE1200ELNS1_3gpuE4ELNS1_3repE0EEENS1_30default_config_static_selectorELNS0_4arch9wavefront6targetE0EEEvSW_
	.p2align	8
	.type	_ZN7rocprim17ROCPRIM_400000_NS6detail17trampoline_kernelINS0_14default_configENS1_27lower_bound_config_selectorIilEEZNS1_14transform_implILb0ES3_S5_N6thrust23THRUST_200600_302600_NS6detail15normal_iteratorINS8_7pointerIiNS8_11hip_rocprim3tagENS8_11use_defaultESE_EEEENSA_INSB_IlSD_SE_SE_EEEEZNS1_13binary_searchIS3_S5_NSA_INSB_IiSD_NS8_16tagged_referenceIiSD_EESE_EEEESG_SI_NS1_21lower_bound_search_opENS9_16wrapped_functionINS8_7greaterIiEEbEEEE10hipError_tPvRmT1_T2_T3_mmT4_T5_P12ihipStream_tbEUlRKiE_EEST_SX_SY_mSZ_S12_bEUlT_E_NS1_11comp_targetILNS1_3genE10ELNS1_11target_archE1200ELNS1_3gpuE4ELNS1_3repE0EEENS1_30default_config_static_selectorELNS0_4arch9wavefront6targetE0EEEvSW_,@function
_ZN7rocprim17ROCPRIM_400000_NS6detail17trampoline_kernelINS0_14default_configENS1_27lower_bound_config_selectorIilEEZNS1_14transform_implILb0ES3_S5_N6thrust23THRUST_200600_302600_NS6detail15normal_iteratorINS8_7pointerIiNS8_11hip_rocprim3tagENS8_11use_defaultESE_EEEENSA_INSB_IlSD_SE_SE_EEEEZNS1_13binary_searchIS3_S5_NSA_INSB_IiSD_NS8_16tagged_referenceIiSD_EESE_EEEESG_SI_NS1_21lower_bound_search_opENS9_16wrapped_functionINS8_7greaterIiEEbEEEE10hipError_tPvRmT1_T2_T3_mmT4_T5_P12ihipStream_tbEUlRKiE_EEST_SX_SY_mSZ_S12_bEUlT_E_NS1_11comp_targetILNS1_3genE10ELNS1_11target_archE1200ELNS1_3gpuE4ELNS1_3repE0EEENS1_30default_config_static_selectorELNS0_4arch9wavefront6targetE0EEEvSW_: ; @_ZN7rocprim17ROCPRIM_400000_NS6detail17trampoline_kernelINS0_14default_configENS1_27lower_bound_config_selectorIilEEZNS1_14transform_implILb0ES3_S5_N6thrust23THRUST_200600_302600_NS6detail15normal_iteratorINS8_7pointerIiNS8_11hip_rocprim3tagENS8_11use_defaultESE_EEEENSA_INSB_IlSD_SE_SE_EEEEZNS1_13binary_searchIS3_S5_NSA_INSB_IiSD_NS8_16tagged_referenceIiSD_EESE_EEEESG_SI_NS1_21lower_bound_search_opENS9_16wrapped_functionINS8_7greaterIiEEbEEEE10hipError_tPvRmT1_T2_T3_mmT4_T5_P12ihipStream_tbEUlRKiE_EEST_SX_SY_mSZ_S12_bEUlT_E_NS1_11comp_targetILNS1_3genE10ELNS1_11target_archE1200ELNS1_3gpuE4ELNS1_3repE0EEENS1_30default_config_static_selectorELNS0_4arch9wavefront6targetE0EEEvSW_
; %bb.0:
	.section	.rodata,"a",@progbits
	.p2align	6, 0x0
	.amdhsa_kernel _ZN7rocprim17ROCPRIM_400000_NS6detail17trampoline_kernelINS0_14default_configENS1_27lower_bound_config_selectorIilEEZNS1_14transform_implILb0ES3_S5_N6thrust23THRUST_200600_302600_NS6detail15normal_iteratorINS8_7pointerIiNS8_11hip_rocprim3tagENS8_11use_defaultESE_EEEENSA_INSB_IlSD_SE_SE_EEEEZNS1_13binary_searchIS3_S5_NSA_INSB_IiSD_NS8_16tagged_referenceIiSD_EESE_EEEESG_SI_NS1_21lower_bound_search_opENS9_16wrapped_functionINS8_7greaterIiEEbEEEE10hipError_tPvRmT1_T2_T3_mmT4_T5_P12ihipStream_tbEUlRKiE_EEST_SX_SY_mSZ_S12_bEUlT_E_NS1_11comp_targetILNS1_3genE10ELNS1_11target_archE1200ELNS1_3gpuE4ELNS1_3repE0EEENS1_30default_config_static_selectorELNS0_4arch9wavefront6targetE0EEEvSW_
		.amdhsa_group_segment_fixed_size 0
		.amdhsa_private_segment_fixed_size 0
		.amdhsa_kernarg_size 56
		.amdhsa_user_sgpr_count 2
		.amdhsa_user_sgpr_dispatch_ptr 0
		.amdhsa_user_sgpr_queue_ptr 0
		.amdhsa_user_sgpr_kernarg_segment_ptr 1
		.amdhsa_user_sgpr_dispatch_id 0
		.amdhsa_user_sgpr_kernarg_preload_length 0
		.amdhsa_user_sgpr_kernarg_preload_offset 0
		.amdhsa_user_sgpr_private_segment_size 0
		.amdhsa_wavefront_size32 1
		.amdhsa_uses_dynamic_stack 0
		.amdhsa_enable_private_segment 0
		.amdhsa_system_sgpr_workgroup_id_x 1
		.amdhsa_system_sgpr_workgroup_id_y 0
		.amdhsa_system_sgpr_workgroup_id_z 0
		.amdhsa_system_sgpr_workgroup_info 0
		.amdhsa_system_vgpr_workitem_id 0
		.amdhsa_next_free_vgpr 1
		.amdhsa_next_free_sgpr 1
		.amdhsa_named_barrier_count 0
		.amdhsa_reserve_vcc 0
		.amdhsa_float_round_mode_32 0
		.amdhsa_float_round_mode_16_64 0
		.amdhsa_float_denorm_mode_32 3
		.amdhsa_float_denorm_mode_16_64 3
		.amdhsa_fp16_overflow 0
		.amdhsa_memory_ordered 1
		.amdhsa_forward_progress 1
		.amdhsa_inst_pref_size 0
		.amdhsa_round_robin_scheduling 0
		.amdhsa_exception_fp_ieee_invalid_op 0
		.amdhsa_exception_fp_denorm_src 0
		.amdhsa_exception_fp_ieee_div_zero 0
		.amdhsa_exception_fp_ieee_overflow 0
		.amdhsa_exception_fp_ieee_underflow 0
		.amdhsa_exception_fp_ieee_inexact 0
		.amdhsa_exception_int_div_zero 0
	.end_amdhsa_kernel
	.section	.text._ZN7rocprim17ROCPRIM_400000_NS6detail17trampoline_kernelINS0_14default_configENS1_27lower_bound_config_selectorIilEEZNS1_14transform_implILb0ES3_S5_N6thrust23THRUST_200600_302600_NS6detail15normal_iteratorINS8_7pointerIiNS8_11hip_rocprim3tagENS8_11use_defaultESE_EEEENSA_INSB_IlSD_SE_SE_EEEEZNS1_13binary_searchIS3_S5_NSA_INSB_IiSD_NS8_16tagged_referenceIiSD_EESE_EEEESG_SI_NS1_21lower_bound_search_opENS9_16wrapped_functionINS8_7greaterIiEEbEEEE10hipError_tPvRmT1_T2_T3_mmT4_T5_P12ihipStream_tbEUlRKiE_EEST_SX_SY_mSZ_S12_bEUlT_E_NS1_11comp_targetILNS1_3genE10ELNS1_11target_archE1200ELNS1_3gpuE4ELNS1_3repE0EEENS1_30default_config_static_selectorELNS0_4arch9wavefront6targetE0EEEvSW_,"axG",@progbits,_ZN7rocprim17ROCPRIM_400000_NS6detail17trampoline_kernelINS0_14default_configENS1_27lower_bound_config_selectorIilEEZNS1_14transform_implILb0ES3_S5_N6thrust23THRUST_200600_302600_NS6detail15normal_iteratorINS8_7pointerIiNS8_11hip_rocprim3tagENS8_11use_defaultESE_EEEENSA_INSB_IlSD_SE_SE_EEEEZNS1_13binary_searchIS3_S5_NSA_INSB_IiSD_NS8_16tagged_referenceIiSD_EESE_EEEESG_SI_NS1_21lower_bound_search_opENS9_16wrapped_functionINS8_7greaterIiEEbEEEE10hipError_tPvRmT1_T2_T3_mmT4_T5_P12ihipStream_tbEUlRKiE_EEST_SX_SY_mSZ_S12_bEUlT_E_NS1_11comp_targetILNS1_3genE10ELNS1_11target_archE1200ELNS1_3gpuE4ELNS1_3repE0EEENS1_30default_config_static_selectorELNS0_4arch9wavefront6targetE0EEEvSW_,comdat
.Lfunc_end64:
	.size	_ZN7rocprim17ROCPRIM_400000_NS6detail17trampoline_kernelINS0_14default_configENS1_27lower_bound_config_selectorIilEEZNS1_14transform_implILb0ES3_S5_N6thrust23THRUST_200600_302600_NS6detail15normal_iteratorINS8_7pointerIiNS8_11hip_rocprim3tagENS8_11use_defaultESE_EEEENSA_INSB_IlSD_SE_SE_EEEEZNS1_13binary_searchIS3_S5_NSA_INSB_IiSD_NS8_16tagged_referenceIiSD_EESE_EEEESG_SI_NS1_21lower_bound_search_opENS9_16wrapped_functionINS8_7greaterIiEEbEEEE10hipError_tPvRmT1_T2_T3_mmT4_T5_P12ihipStream_tbEUlRKiE_EEST_SX_SY_mSZ_S12_bEUlT_E_NS1_11comp_targetILNS1_3genE10ELNS1_11target_archE1200ELNS1_3gpuE4ELNS1_3repE0EEENS1_30default_config_static_selectorELNS0_4arch9wavefront6targetE0EEEvSW_, .Lfunc_end64-_ZN7rocprim17ROCPRIM_400000_NS6detail17trampoline_kernelINS0_14default_configENS1_27lower_bound_config_selectorIilEEZNS1_14transform_implILb0ES3_S5_N6thrust23THRUST_200600_302600_NS6detail15normal_iteratorINS8_7pointerIiNS8_11hip_rocprim3tagENS8_11use_defaultESE_EEEENSA_INSB_IlSD_SE_SE_EEEEZNS1_13binary_searchIS3_S5_NSA_INSB_IiSD_NS8_16tagged_referenceIiSD_EESE_EEEESG_SI_NS1_21lower_bound_search_opENS9_16wrapped_functionINS8_7greaterIiEEbEEEE10hipError_tPvRmT1_T2_T3_mmT4_T5_P12ihipStream_tbEUlRKiE_EEST_SX_SY_mSZ_S12_bEUlT_E_NS1_11comp_targetILNS1_3genE10ELNS1_11target_archE1200ELNS1_3gpuE4ELNS1_3repE0EEENS1_30default_config_static_selectorELNS0_4arch9wavefront6targetE0EEEvSW_
                                        ; -- End function
	.set _ZN7rocprim17ROCPRIM_400000_NS6detail17trampoline_kernelINS0_14default_configENS1_27lower_bound_config_selectorIilEEZNS1_14transform_implILb0ES3_S5_N6thrust23THRUST_200600_302600_NS6detail15normal_iteratorINS8_7pointerIiNS8_11hip_rocprim3tagENS8_11use_defaultESE_EEEENSA_INSB_IlSD_SE_SE_EEEEZNS1_13binary_searchIS3_S5_NSA_INSB_IiSD_NS8_16tagged_referenceIiSD_EESE_EEEESG_SI_NS1_21lower_bound_search_opENS9_16wrapped_functionINS8_7greaterIiEEbEEEE10hipError_tPvRmT1_T2_T3_mmT4_T5_P12ihipStream_tbEUlRKiE_EEST_SX_SY_mSZ_S12_bEUlT_E_NS1_11comp_targetILNS1_3genE10ELNS1_11target_archE1200ELNS1_3gpuE4ELNS1_3repE0EEENS1_30default_config_static_selectorELNS0_4arch9wavefront6targetE0EEEvSW_.num_vgpr, 0
	.set _ZN7rocprim17ROCPRIM_400000_NS6detail17trampoline_kernelINS0_14default_configENS1_27lower_bound_config_selectorIilEEZNS1_14transform_implILb0ES3_S5_N6thrust23THRUST_200600_302600_NS6detail15normal_iteratorINS8_7pointerIiNS8_11hip_rocprim3tagENS8_11use_defaultESE_EEEENSA_INSB_IlSD_SE_SE_EEEEZNS1_13binary_searchIS3_S5_NSA_INSB_IiSD_NS8_16tagged_referenceIiSD_EESE_EEEESG_SI_NS1_21lower_bound_search_opENS9_16wrapped_functionINS8_7greaterIiEEbEEEE10hipError_tPvRmT1_T2_T3_mmT4_T5_P12ihipStream_tbEUlRKiE_EEST_SX_SY_mSZ_S12_bEUlT_E_NS1_11comp_targetILNS1_3genE10ELNS1_11target_archE1200ELNS1_3gpuE4ELNS1_3repE0EEENS1_30default_config_static_selectorELNS0_4arch9wavefront6targetE0EEEvSW_.num_agpr, 0
	.set _ZN7rocprim17ROCPRIM_400000_NS6detail17trampoline_kernelINS0_14default_configENS1_27lower_bound_config_selectorIilEEZNS1_14transform_implILb0ES3_S5_N6thrust23THRUST_200600_302600_NS6detail15normal_iteratorINS8_7pointerIiNS8_11hip_rocprim3tagENS8_11use_defaultESE_EEEENSA_INSB_IlSD_SE_SE_EEEEZNS1_13binary_searchIS3_S5_NSA_INSB_IiSD_NS8_16tagged_referenceIiSD_EESE_EEEESG_SI_NS1_21lower_bound_search_opENS9_16wrapped_functionINS8_7greaterIiEEbEEEE10hipError_tPvRmT1_T2_T3_mmT4_T5_P12ihipStream_tbEUlRKiE_EEST_SX_SY_mSZ_S12_bEUlT_E_NS1_11comp_targetILNS1_3genE10ELNS1_11target_archE1200ELNS1_3gpuE4ELNS1_3repE0EEENS1_30default_config_static_selectorELNS0_4arch9wavefront6targetE0EEEvSW_.numbered_sgpr, 0
	.set _ZN7rocprim17ROCPRIM_400000_NS6detail17trampoline_kernelINS0_14default_configENS1_27lower_bound_config_selectorIilEEZNS1_14transform_implILb0ES3_S5_N6thrust23THRUST_200600_302600_NS6detail15normal_iteratorINS8_7pointerIiNS8_11hip_rocprim3tagENS8_11use_defaultESE_EEEENSA_INSB_IlSD_SE_SE_EEEEZNS1_13binary_searchIS3_S5_NSA_INSB_IiSD_NS8_16tagged_referenceIiSD_EESE_EEEESG_SI_NS1_21lower_bound_search_opENS9_16wrapped_functionINS8_7greaterIiEEbEEEE10hipError_tPvRmT1_T2_T3_mmT4_T5_P12ihipStream_tbEUlRKiE_EEST_SX_SY_mSZ_S12_bEUlT_E_NS1_11comp_targetILNS1_3genE10ELNS1_11target_archE1200ELNS1_3gpuE4ELNS1_3repE0EEENS1_30default_config_static_selectorELNS0_4arch9wavefront6targetE0EEEvSW_.num_named_barrier, 0
	.set _ZN7rocprim17ROCPRIM_400000_NS6detail17trampoline_kernelINS0_14default_configENS1_27lower_bound_config_selectorIilEEZNS1_14transform_implILb0ES3_S5_N6thrust23THRUST_200600_302600_NS6detail15normal_iteratorINS8_7pointerIiNS8_11hip_rocprim3tagENS8_11use_defaultESE_EEEENSA_INSB_IlSD_SE_SE_EEEEZNS1_13binary_searchIS3_S5_NSA_INSB_IiSD_NS8_16tagged_referenceIiSD_EESE_EEEESG_SI_NS1_21lower_bound_search_opENS9_16wrapped_functionINS8_7greaterIiEEbEEEE10hipError_tPvRmT1_T2_T3_mmT4_T5_P12ihipStream_tbEUlRKiE_EEST_SX_SY_mSZ_S12_bEUlT_E_NS1_11comp_targetILNS1_3genE10ELNS1_11target_archE1200ELNS1_3gpuE4ELNS1_3repE0EEENS1_30default_config_static_selectorELNS0_4arch9wavefront6targetE0EEEvSW_.private_seg_size, 0
	.set _ZN7rocprim17ROCPRIM_400000_NS6detail17trampoline_kernelINS0_14default_configENS1_27lower_bound_config_selectorIilEEZNS1_14transform_implILb0ES3_S5_N6thrust23THRUST_200600_302600_NS6detail15normal_iteratorINS8_7pointerIiNS8_11hip_rocprim3tagENS8_11use_defaultESE_EEEENSA_INSB_IlSD_SE_SE_EEEEZNS1_13binary_searchIS3_S5_NSA_INSB_IiSD_NS8_16tagged_referenceIiSD_EESE_EEEESG_SI_NS1_21lower_bound_search_opENS9_16wrapped_functionINS8_7greaterIiEEbEEEE10hipError_tPvRmT1_T2_T3_mmT4_T5_P12ihipStream_tbEUlRKiE_EEST_SX_SY_mSZ_S12_bEUlT_E_NS1_11comp_targetILNS1_3genE10ELNS1_11target_archE1200ELNS1_3gpuE4ELNS1_3repE0EEENS1_30default_config_static_selectorELNS0_4arch9wavefront6targetE0EEEvSW_.uses_vcc, 0
	.set _ZN7rocprim17ROCPRIM_400000_NS6detail17trampoline_kernelINS0_14default_configENS1_27lower_bound_config_selectorIilEEZNS1_14transform_implILb0ES3_S5_N6thrust23THRUST_200600_302600_NS6detail15normal_iteratorINS8_7pointerIiNS8_11hip_rocprim3tagENS8_11use_defaultESE_EEEENSA_INSB_IlSD_SE_SE_EEEEZNS1_13binary_searchIS3_S5_NSA_INSB_IiSD_NS8_16tagged_referenceIiSD_EESE_EEEESG_SI_NS1_21lower_bound_search_opENS9_16wrapped_functionINS8_7greaterIiEEbEEEE10hipError_tPvRmT1_T2_T3_mmT4_T5_P12ihipStream_tbEUlRKiE_EEST_SX_SY_mSZ_S12_bEUlT_E_NS1_11comp_targetILNS1_3genE10ELNS1_11target_archE1200ELNS1_3gpuE4ELNS1_3repE0EEENS1_30default_config_static_selectorELNS0_4arch9wavefront6targetE0EEEvSW_.uses_flat_scratch, 0
	.set _ZN7rocprim17ROCPRIM_400000_NS6detail17trampoline_kernelINS0_14default_configENS1_27lower_bound_config_selectorIilEEZNS1_14transform_implILb0ES3_S5_N6thrust23THRUST_200600_302600_NS6detail15normal_iteratorINS8_7pointerIiNS8_11hip_rocprim3tagENS8_11use_defaultESE_EEEENSA_INSB_IlSD_SE_SE_EEEEZNS1_13binary_searchIS3_S5_NSA_INSB_IiSD_NS8_16tagged_referenceIiSD_EESE_EEEESG_SI_NS1_21lower_bound_search_opENS9_16wrapped_functionINS8_7greaterIiEEbEEEE10hipError_tPvRmT1_T2_T3_mmT4_T5_P12ihipStream_tbEUlRKiE_EEST_SX_SY_mSZ_S12_bEUlT_E_NS1_11comp_targetILNS1_3genE10ELNS1_11target_archE1200ELNS1_3gpuE4ELNS1_3repE0EEENS1_30default_config_static_selectorELNS0_4arch9wavefront6targetE0EEEvSW_.has_dyn_sized_stack, 0
	.set _ZN7rocprim17ROCPRIM_400000_NS6detail17trampoline_kernelINS0_14default_configENS1_27lower_bound_config_selectorIilEEZNS1_14transform_implILb0ES3_S5_N6thrust23THRUST_200600_302600_NS6detail15normal_iteratorINS8_7pointerIiNS8_11hip_rocprim3tagENS8_11use_defaultESE_EEEENSA_INSB_IlSD_SE_SE_EEEEZNS1_13binary_searchIS3_S5_NSA_INSB_IiSD_NS8_16tagged_referenceIiSD_EESE_EEEESG_SI_NS1_21lower_bound_search_opENS9_16wrapped_functionINS8_7greaterIiEEbEEEE10hipError_tPvRmT1_T2_T3_mmT4_T5_P12ihipStream_tbEUlRKiE_EEST_SX_SY_mSZ_S12_bEUlT_E_NS1_11comp_targetILNS1_3genE10ELNS1_11target_archE1200ELNS1_3gpuE4ELNS1_3repE0EEENS1_30default_config_static_selectorELNS0_4arch9wavefront6targetE0EEEvSW_.has_recursion, 0
	.set _ZN7rocprim17ROCPRIM_400000_NS6detail17trampoline_kernelINS0_14default_configENS1_27lower_bound_config_selectorIilEEZNS1_14transform_implILb0ES3_S5_N6thrust23THRUST_200600_302600_NS6detail15normal_iteratorINS8_7pointerIiNS8_11hip_rocprim3tagENS8_11use_defaultESE_EEEENSA_INSB_IlSD_SE_SE_EEEEZNS1_13binary_searchIS3_S5_NSA_INSB_IiSD_NS8_16tagged_referenceIiSD_EESE_EEEESG_SI_NS1_21lower_bound_search_opENS9_16wrapped_functionINS8_7greaterIiEEbEEEE10hipError_tPvRmT1_T2_T3_mmT4_T5_P12ihipStream_tbEUlRKiE_EEST_SX_SY_mSZ_S12_bEUlT_E_NS1_11comp_targetILNS1_3genE10ELNS1_11target_archE1200ELNS1_3gpuE4ELNS1_3repE0EEENS1_30default_config_static_selectorELNS0_4arch9wavefront6targetE0EEEvSW_.has_indirect_call, 0
	.section	.AMDGPU.csdata,"",@progbits
; Kernel info:
; codeLenInByte = 0
; TotalNumSgprs: 0
; NumVgprs: 0
; ScratchSize: 0
; MemoryBound: 0
; FloatMode: 240
; IeeeMode: 1
; LDSByteSize: 0 bytes/workgroup (compile time only)
; SGPRBlocks: 0
; VGPRBlocks: 0
; NumSGPRsForWavesPerEU: 1
; NumVGPRsForWavesPerEU: 1
; NamedBarCnt: 0
; Occupancy: 16
; WaveLimiterHint : 0
; COMPUTE_PGM_RSRC2:SCRATCH_EN: 0
; COMPUTE_PGM_RSRC2:USER_SGPR: 2
; COMPUTE_PGM_RSRC2:TRAP_HANDLER: 0
; COMPUTE_PGM_RSRC2:TGID_X_EN: 1
; COMPUTE_PGM_RSRC2:TGID_Y_EN: 0
; COMPUTE_PGM_RSRC2:TGID_Z_EN: 0
; COMPUTE_PGM_RSRC2:TIDIG_COMP_CNT: 0
	.section	.text._ZN7rocprim17ROCPRIM_400000_NS6detail17trampoline_kernelINS0_14default_configENS1_27lower_bound_config_selectorIilEEZNS1_14transform_implILb0ES3_S5_N6thrust23THRUST_200600_302600_NS6detail15normal_iteratorINS8_7pointerIiNS8_11hip_rocprim3tagENS8_11use_defaultESE_EEEENSA_INSB_IlSD_SE_SE_EEEEZNS1_13binary_searchIS3_S5_NSA_INSB_IiSD_NS8_16tagged_referenceIiSD_EESE_EEEESG_SI_NS1_21lower_bound_search_opENS9_16wrapped_functionINS8_7greaterIiEEbEEEE10hipError_tPvRmT1_T2_T3_mmT4_T5_P12ihipStream_tbEUlRKiE_EEST_SX_SY_mSZ_S12_bEUlT_E_NS1_11comp_targetILNS1_3genE9ELNS1_11target_archE1100ELNS1_3gpuE3ELNS1_3repE0EEENS1_30default_config_static_selectorELNS0_4arch9wavefront6targetE0EEEvSW_,"axG",@progbits,_ZN7rocprim17ROCPRIM_400000_NS6detail17trampoline_kernelINS0_14default_configENS1_27lower_bound_config_selectorIilEEZNS1_14transform_implILb0ES3_S5_N6thrust23THRUST_200600_302600_NS6detail15normal_iteratorINS8_7pointerIiNS8_11hip_rocprim3tagENS8_11use_defaultESE_EEEENSA_INSB_IlSD_SE_SE_EEEEZNS1_13binary_searchIS3_S5_NSA_INSB_IiSD_NS8_16tagged_referenceIiSD_EESE_EEEESG_SI_NS1_21lower_bound_search_opENS9_16wrapped_functionINS8_7greaterIiEEbEEEE10hipError_tPvRmT1_T2_T3_mmT4_T5_P12ihipStream_tbEUlRKiE_EEST_SX_SY_mSZ_S12_bEUlT_E_NS1_11comp_targetILNS1_3genE9ELNS1_11target_archE1100ELNS1_3gpuE3ELNS1_3repE0EEENS1_30default_config_static_selectorELNS0_4arch9wavefront6targetE0EEEvSW_,comdat
	.protected	_ZN7rocprim17ROCPRIM_400000_NS6detail17trampoline_kernelINS0_14default_configENS1_27lower_bound_config_selectorIilEEZNS1_14transform_implILb0ES3_S5_N6thrust23THRUST_200600_302600_NS6detail15normal_iteratorINS8_7pointerIiNS8_11hip_rocprim3tagENS8_11use_defaultESE_EEEENSA_INSB_IlSD_SE_SE_EEEEZNS1_13binary_searchIS3_S5_NSA_INSB_IiSD_NS8_16tagged_referenceIiSD_EESE_EEEESG_SI_NS1_21lower_bound_search_opENS9_16wrapped_functionINS8_7greaterIiEEbEEEE10hipError_tPvRmT1_T2_T3_mmT4_T5_P12ihipStream_tbEUlRKiE_EEST_SX_SY_mSZ_S12_bEUlT_E_NS1_11comp_targetILNS1_3genE9ELNS1_11target_archE1100ELNS1_3gpuE3ELNS1_3repE0EEENS1_30default_config_static_selectorELNS0_4arch9wavefront6targetE0EEEvSW_ ; -- Begin function _ZN7rocprim17ROCPRIM_400000_NS6detail17trampoline_kernelINS0_14default_configENS1_27lower_bound_config_selectorIilEEZNS1_14transform_implILb0ES3_S5_N6thrust23THRUST_200600_302600_NS6detail15normal_iteratorINS8_7pointerIiNS8_11hip_rocprim3tagENS8_11use_defaultESE_EEEENSA_INSB_IlSD_SE_SE_EEEEZNS1_13binary_searchIS3_S5_NSA_INSB_IiSD_NS8_16tagged_referenceIiSD_EESE_EEEESG_SI_NS1_21lower_bound_search_opENS9_16wrapped_functionINS8_7greaterIiEEbEEEE10hipError_tPvRmT1_T2_T3_mmT4_T5_P12ihipStream_tbEUlRKiE_EEST_SX_SY_mSZ_S12_bEUlT_E_NS1_11comp_targetILNS1_3genE9ELNS1_11target_archE1100ELNS1_3gpuE3ELNS1_3repE0EEENS1_30default_config_static_selectorELNS0_4arch9wavefront6targetE0EEEvSW_
	.globl	_ZN7rocprim17ROCPRIM_400000_NS6detail17trampoline_kernelINS0_14default_configENS1_27lower_bound_config_selectorIilEEZNS1_14transform_implILb0ES3_S5_N6thrust23THRUST_200600_302600_NS6detail15normal_iteratorINS8_7pointerIiNS8_11hip_rocprim3tagENS8_11use_defaultESE_EEEENSA_INSB_IlSD_SE_SE_EEEEZNS1_13binary_searchIS3_S5_NSA_INSB_IiSD_NS8_16tagged_referenceIiSD_EESE_EEEESG_SI_NS1_21lower_bound_search_opENS9_16wrapped_functionINS8_7greaterIiEEbEEEE10hipError_tPvRmT1_T2_T3_mmT4_T5_P12ihipStream_tbEUlRKiE_EEST_SX_SY_mSZ_S12_bEUlT_E_NS1_11comp_targetILNS1_3genE9ELNS1_11target_archE1100ELNS1_3gpuE3ELNS1_3repE0EEENS1_30default_config_static_selectorELNS0_4arch9wavefront6targetE0EEEvSW_
	.p2align	8
	.type	_ZN7rocprim17ROCPRIM_400000_NS6detail17trampoline_kernelINS0_14default_configENS1_27lower_bound_config_selectorIilEEZNS1_14transform_implILb0ES3_S5_N6thrust23THRUST_200600_302600_NS6detail15normal_iteratorINS8_7pointerIiNS8_11hip_rocprim3tagENS8_11use_defaultESE_EEEENSA_INSB_IlSD_SE_SE_EEEEZNS1_13binary_searchIS3_S5_NSA_INSB_IiSD_NS8_16tagged_referenceIiSD_EESE_EEEESG_SI_NS1_21lower_bound_search_opENS9_16wrapped_functionINS8_7greaterIiEEbEEEE10hipError_tPvRmT1_T2_T3_mmT4_T5_P12ihipStream_tbEUlRKiE_EEST_SX_SY_mSZ_S12_bEUlT_E_NS1_11comp_targetILNS1_3genE9ELNS1_11target_archE1100ELNS1_3gpuE3ELNS1_3repE0EEENS1_30default_config_static_selectorELNS0_4arch9wavefront6targetE0EEEvSW_,@function
_ZN7rocprim17ROCPRIM_400000_NS6detail17trampoline_kernelINS0_14default_configENS1_27lower_bound_config_selectorIilEEZNS1_14transform_implILb0ES3_S5_N6thrust23THRUST_200600_302600_NS6detail15normal_iteratorINS8_7pointerIiNS8_11hip_rocprim3tagENS8_11use_defaultESE_EEEENSA_INSB_IlSD_SE_SE_EEEEZNS1_13binary_searchIS3_S5_NSA_INSB_IiSD_NS8_16tagged_referenceIiSD_EESE_EEEESG_SI_NS1_21lower_bound_search_opENS9_16wrapped_functionINS8_7greaterIiEEbEEEE10hipError_tPvRmT1_T2_T3_mmT4_T5_P12ihipStream_tbEUlRKiE_EEST_SX_SY_mSZ_S12_bEUlT_E_NS1_11comp_targetILNS1_3genE9ELNS1_11target_archE1100ELNS1_3gpuE3ELNS1_3repE0EEENS1_30default_config_static_selectorELNS0_4arch9wavefront6targetE0EEEvSW_: ; @_ZN7rocprim17ROCPRIM_400000_NS6detail17trampoline_kernelINS0_14default_configENS1_27lower_bound_config_selectorIilEEZNS1_14transform_implILb0ES3_S5_N6thrust23THRUST_200600_302600_NS6detail15normal_iteratorINS8_7pointerIiNS8_11hip_rocprim3tagENS8_11use_defaultESE_EEEENSA_INSB_IlSD_SE_SE_EEEEZNS1_13binary_searchIS3_S5_NSA_INSB_IiSD_NS8_16tagged_referenceIiSD_EESE_EEEESG_SI_NS1_21lower_bound_search_opENS9_16wrapped_functionINS8_7greaterIiEEbEEEE10hipError_tPvRmT1_T2_T3_mmT4_T5_P12ihipStream_tbEUlRKiE_EEST_SX_SY_mSZ_S12_bEUlT_E_NS1_11comp_targetILNS1_3genE9ELNS1_11target_archE1100ELNS1_3gpuE3ELNS1_3repE0EEENS1_30default_config_static_selectorELNS0_4arch9wavefront6targetE0EEEvSW_
; %bb.0:
	.section	.rodata,"a",@progbits
	.p2align	6, 0x0
	.amdhsa_kernel _ZN7rocprim17ROCPRIM_400000_NS6detail17trampoline_kernelINS0_14default_configENS1_27lower_bound_config_selectorIilEEZNS1_14transform_implILb0ES3_S5_N6thrust23THRUST_200600_302600_NS6detail15normal_iteratorINS8_7pointerIiNS8_11hip_rocprim3tagENS8_11use_defaultESE_EEEENSA_INSB_IlSD_SE_SE_EEEEZNS1_13binary_searchIS3_S5_NSA_INSB_IiSD_NS8_16tagged_referenceIiSD_EESE_EEEESG_SI_NS1_21lower_bound_search_opENS9_16wrapped_functionINS8_7greaterIiEEbEEEE10hipError_tPvRmT1_T2_T3_mmT4_T5_P12ihipStream_tbEUlRKiE_EEST_SX_SY_mSZ_S12_bEUlT_E_NS1_11comp_targetILNS1_3genE9ELNS1_11target_archE1100ELNS1_3gpuE3ELNS1_3repE0EEENS1_30default_config_static_selectorELNS0_4arch9wavefront6targetE0EEEvSW_
		.amdhsa_group_segment_fixed_size 0
		.amdhsa_private_segment_fixed_size 0
		.amdhsa_kernarg_size 56
		.amdhsa_user_sgpr_count 2
		.amdhsa_user_sgpr_dispatch_ptr 0
		.amdhsa_user_sgpr_queue_ptr 0
		.amdhsa_user_sgpr_kernarg_segment_ptr 1
		.amdhsa_user_sgpr_dispatch_id 0
		.amdhsa_user_sgpr_kernarg_preload_length 0
		.amdhsa_user_sgpr_kernarg_preload_offset 0
		.amdhsa_user_sgpr_private_segment_size 0
		.amdhsa_wavefront_size32 1
		.amdhsa_uses_dynamic_stack 0
		.amdhsa_enable_private_segment 0
		.amdhsa_system_sgpr_workgroup_id_x 1
		.amdhsa_system_sgpr_workgroup_id_y 0
		.amdhsa_system_sgpr_workgroup_id_z 0
		.amdhsa_system_sgpr_workgroup_info 0
		.amdhsa_system_vgpr_workitem_id 0
		.amdhsa_next_free_vgpr 1
		.amdhsa_next_free_sgpr 1
		.amdhsa_named_barrier_count 0
		.amdhsa_reserve_vcc 0
		.amdhsa_float_round_mode_32 0
		.amdhsa_float_round_mode_16_64 0
		.amdhsa_float_denorm_mode_32 3
		.amdhsa_float_denorm_mode_16_64 3
		.amdhsa_fp16_overflow 0
		.amdhsa_memory_ordered 1
		.amdhsa_forward_progress 1
		.amdhsa_inst_pref_size 0
		.amdhsa_round_robin_scheduling 0
		.amdhsa_exception_fp_ieee_invalid_op 0
		.amdhsa_exception_fp_denorm_src 0
		.amdhsa_exception_fp_ieee_div_zero 0
		.amdhsa_exception_fp_ieee_overflow 0
		.amdhsa_exception_fp_ieee_underflow 0
		.amdhsa_exception_fp_ieee_inexact 0
		.amdhsa_exception_int_div_zero 0
	.end_amdhsa_kernel
	.section	.text._ZN7rocprim17ROCPRIM_400000_NS6detail17trampoline_kernelINS0_14default_configENS1_27lower_bound_config_selectorIilEEZNS1_14transform_implILb0ES3_S5_N6thrust23THRUST_200600_302600_NS6detail15normal_iteratorINS8_7pointerIiNS8_11hip_rocprim3tagENS8_11use_defaultESE_EEEENSA_INSB_IlSD_SE_SE_EEEEZNS1_13binary_searchIS3_S5_NSA_INSB_IiSD_NS8_16tagged_referenceIiSD_EESE_EEEESG_SI_NS1_21lower_bound_search_opENS9_16wrapped_functionINS8_7greaterIiEEbEEEE10hipError_tPvRmT1_T2_T3_mmT4_T5_P12ihipStream_tbEUlRKiE_EEST_SX_SY_mSZ_S12_bEUlT_E_NS1_11comp_targetILNS1_3genE9ELNS1_11target_archE1100ELNS1_3gpuE3ELNS1_3repE0EEENS1_30default_config_static_selectorELNS0_4arch9wavefront6targetE0EEEvSW_,"axG",@progbits,_ZN7rocprim17ROCPRIM_400000_NS6detail17trampoline_kernelINS0_14default_configENS1_27lower_bound_config_selectorIilEEZNS1_14transform_implILb0ES3_S5_N6thrust23THRUST_200600_302600_NS6detail15normal_iteratorINS8_7pointerIiNS8_11hip_rocprim3tagENS8_11use_defaultESE_EEEENSA_INSB_IlSD_SE_SE_EEEEZNS1_13binary_searchIS3_S5_NSA_INSB_IiSD_NS8_16tagged_referenceIiSD_EESE_EEEESG_SI_NS1_21lower_bound_search_opENS9_16wrapped_functionINS8_7greaterIiEEbEEEE10hipError_tPvRmT1_T2_T3_mmT4_T5_P12ihipStream_tbEUlRKiE_EEST_SX_SY_mSZ_S12_bEUlT_E_NS1_11comp_targetILNS1_3genE9ELNS1_11target_archE1100ELNS1_3gpuE3ELNS1_3repE0EEENS1_30default_config_static_selectorELNS0_4arch9wavefront6targetE0EEEvSW_,comdat
.Lfunc_end65:
	.size	_ZN7rocprim17ROCPRIM_400000_NS6detail17trampoline_kernelINS0_14default_configENS1_27lower_bound_config_selectorIilEEZNS1_14transform_implILb0ES3_S5_N6thrust23THRUST_200600_302600_NS6detail15normal_iteratorINS8_7pointerIiNS8_11hip_rocprim3tagENS8_11use_defaultESE_EEEENSA_INSB_IlSD_SE_SE_EEEEZNS1_13binary_searchIS3_S5_NSA_INSB_IiSD_NS8_16tagged_referenceIiSD_EESE_EEEESG_SI_NS1_21lower_bound_search_opENS9_16wrapped_functionINS8_7greaterIiEEbEEEE10hipError_tPvRmT1_T2_T3_mmT4_T5_P12ihipStream_tbEUlRKiE_EEST_SX_SY_mSZ_S12_bEUlT_E_NS1_11comp_targetILNS1_3genE9ELNS1_11target_archE1100ELNS1_3gpuE3ELNS1_3repE0EEENS1_30default_config_static_selectorELNS0_4arch9wavefront6targetE0EEEvSW_, .Lfunc_end65-_ZN7rocprim17ROCPRIM_400000_NS6detail17trampoline_kernelINS0_14default_configENS1_27lower_bound_config_selectorIilEEZNS1_14transform_implILb0ES3_S5_N6thrust23THRUST_200600_302600_NS6detail15normal_iteratorINS8_7pointerIiNS8_11hip_rocprim3tagENS8_11use_defaultESE_EEEENSA_INSB_IlSD_SE_SE_EEEEZNS1_13binary_searchIS3_S5_NSA_INSB_IiSD_NS8_16tagged_referenceIiSD_EESE_EEEESG_SI_NS1_21lower_bound_search_opENS9_16wrapped_functionINS8_7greaterIiEEbEEEE10hipError_tPvRmT1_T2_T3_mmT4_T5_P12ihipStream_tbEUlRKiE_EEST_SX_SY_mSZ_S12_bEUlT_E_NS1_11comp_targetILNS1_3genE9ELNS1_11target_archE1100ELNS1_3gpuE3ELNS1_3repE0EEENS1_30default_config_static_selectorELNS0_4arch9wavefront6targetE0EEEvSW_
                                        ; -- End function
	.set _ZN7rocprim17ROCPRIM_400000_NS6detail17trampoline_kernelINS0_14default_configENS1_27lower_bound_config_selectorIilEEZNS1_14transform_implILb0ES3_S5_N6thrust23THRUST_200600_302600_NS6detail15normal_iteratorINS8_7pointerIiNS8_11hip_rocprim3tagENS8_11use_defaultESE_EEEENSA_INSB_IlSD_SE_SE_EEEEZNS1_13binary_searchIS3_S5_NSA_INSB_IiSD_NS8_16tagged_referenceIiSD_EESE_EEEESG_SI_NS1_21lower_bound_search_opENS9_16wrapped_functionINS8_7greaterIiEEbEEEE10hipError_tPvRmT1_T2_T3_mmT4_T5_P12ihipStream_tbEUlRKiE_EEST_SX_SY_mSZ_S12_bEUlT_E_NS1_11comp_targetILNS1_3genE9ELNS1_11target_archE1100ELNS1_3gpuE3ELNS1_3repE0EEENS1_30default_config_static_selectorELNS0_4arch9wavefront6targetE0EEEvSW_.num_vgpr, 0
	.set _ZN7rocprim17ROCPRIM_400000_NS6detail17trampoline_kernelINS0_14default_configENS1_27lower_bound_config_selectorIilEEZNS1_14transform_implILb0ES3_S5_N6thrust23THRUST_200600_302600_NS6detail15normal_iteratorINS8_7pointerIiNS8_11hip_rocprim3tagENS8_11use_defaultESE_EEEENSA_INSB_IlSD_SE_SE_EEEEZNS1_13binary_searchIS3_S5_NSA_INSB_IiSD_NS8_16tagged_referenceIiSD_EESE_EEEESG_SI_NS1_21lower_bound_search_opENS9_16wrapped_functionINS8_7greaterIiEEbEEEE10hipError_tPvRmT1_T2_T3_mmT4_T5_P12ihipStream_tbEUlRKiE_EEST_SX_SY_mSZ_S12_bEUlT_E_NS1_11comp_targetILNS1_3genE9ELNS1_11target_archE1100ELNS1_3gpuE3ELNS1_3repE0EEENS1_30default_config_static_selectorELNS0_4arch9wavefront6targetE0EEEvSW_.num_agpr, 0
	.set _ZN7rocprim17ROCPRIM_400000_NS6detail17trampoline_kernelINS0_14default_configENS1_27lower_bound_config_selectorIilEEZNS1_14transform_implILb0ES3_S5_N6thrust23THRUST_200600_302600_NS6detail15normal_iteratorINS8_7pointerIiNS8_11hip_rocprim3tagENS8_11use_defaultESE_EEEENSA_INSB_IlSD_SE_SE_EEEEZNS1_13binary_searchIS3_S5_NSA_INSB_IiSD_NS8_16tagged_referenceIiSD_EESE_EEEESG_SI_NS1_21lower_bound_search_opENS9_16wrapped_functionINS8_7greaterIiEEbEEEE10hipError_tPvRmT1_T2_T3_mmT4_T5_P12ihipStream_tbEUlRKiE_EEST_SX_SY_mSZ_S12_bEUlT_E_NS1_11comp_targetILNS1_3genE9ELNS1_11target_archE1100ELNS1_3gpuE3ELNS1_3repE0EEENS1_30default_config_static_selectorELNS0_4arch9wavefront6targetE0EEEvSW_.numbered_sgpr, 0
	.set _ZN7rocprim17ROCPRIM_400000_NS6detail17trampoline_kernelINS0_14default_configENS1_27lower_bound_config_selectorIilEEZNS1_14transform_implILb0ES3_S5_N6thrust23THRUST_200600_302600_NS6detail15normal_iteratorINS8_7pointerIiNS8_11hip_rocprim3tagENS8_11use_defaultESE_EEEENSA_INSB_IlSD_SE_SE_EEEEZNS1_13binary_searchIS3_S5_NSA_INSB_IiSD_NS8_16tagged_referenceIiSD_EESE_EEEESG_SI_NS1_21lower_bound_search_opENS9_16wrapped_functionINS8_7greaterIiEEbEEEE10hipError_tPvRmT1_T2_T3_mmT4_T5_P12ihipStream_tbEUlRKiE_EEST_SX_SY_mSZ_S12_bEUlT_E_NS1_11comp_targetILNS1_3genE9ELNS1_11target_archE1100ELNS1_3gpuE3ELNS1_3repE0EEENS1_30default_config_static_selectorELNS0_4arch9wavefront6targetE0EEEvSW_.num_named_barrier, 0
	.set _ZN7rocprim17ROCPRIM_400000_NS6detail17trampoline_kernelINS0_14default_configENS1_27lower_bound_config_selectorIilEEZNS1_14transform_implILb0ES3_S5_N6thrust23THRUST_200600_302600_NS6detail15normal_iteratorINS8_7pointerIiNS8_11hip_rocprim3tagENS8_11use_defaultESE_EEEENSA_INSB_IlSD_SE_SE_EEEEZNS1_13binary_searchIS3_S5_NSA_INSB_IiSD_NS8_16tagged_referenceIiSD_EESE_EEEESG_SI_NS1_21lower_bound_search_opENS9_16wrapped_functionINS8_7greaterIiEEbEEEE10hipError_tPvRmT1_T2_T3_mmT4_T5_P12ihipStream_tbEUlRKiE_EEST_SX_SY_mSZ_S12_bEUlT_E_NS1_11comp_targetILNS1_3genE9ELNS1_11target_archE1100ELNS1_3gpuE3ELNS1_3repE0EEENS1_30default_config_static_selectorELNS0_4arch9wavefront6targetE0EEEvSW_.private_seg_size, 0
	.set _ZN7rocprim17ROCPRIM_400000_NS6detail17trampoline_kernelINS0_14default_configENS1_27lower_bound_config_selectorIilEEZNS1_14transform_implILb0ES3_S5_N6thrust23THRUST_200600_302600_NS6detail15normal_iteratorINS8_7pointerIiNS8_11hip_rocprim3tagENS8_11use_defaultESE_EEEENSA_INSB_IlSD_SE_SE_EEEEZNS1_13binary_searchIS3_S5_NSA_INSB_IiSD_NS8_16tagged_referenceIiSD_EESE_EEEESG_SI_NS1_21lower_bound_search_opENS9_16wrapped_functionINS8_7greaterIiEEbEEEE10hipError_tPvRmT1_T2_T3_mmT4_T5_P12ihipStream_tbEUlRKiE_EEST_SX_SY_mSZ_S12_bEUlT_E_NS1_11comp_targetILNS1_3genE9ELNS1_11target_archE1100ELNS1_3gpuE3ELNS1_3repE0EEENS1_30default_config_static_selectorELNS0_4arch9wavefront6targetE0EEEvSW_.uses_vcc, 0
	.set _ZN7rocprim17ROCPRIM_400000_NS6detail17trampoline_kernelINS0_14default_configENS1_27lower_bound_config_selectorIilEEZNS1_14transform_implILb0ES3_S5_N6thrust23THRUST_200600_302600_NS6detail15normal_iteratorINS8_7pointerIiNS8_11hip_rocprim3tagENS8_11use_defaultESE_EEEENSA_INSB_IlSD_SE_SE_EEEEZNS1_13binary_searchIS3_S5_NSA_INSB_IiSD_NS8_16tagged_referenceIiSD_EESE_EEEESG_SI_NS1_21lower_bound_search_opENS9_16wrapped_functionINS8_7greaterIiEEbEEEE10hipError_tPvRmT1_T2_T3_mmT4_T5_P12ihipStream_tbEUlRKiE_EEST_SX_SY_mSZ_S12_bEUlT_E_NS1_11comp_targetILNS1_3genE9ELNS1_11target_archE1100ELNS1_3gpuE3ELNS1_3repE0EEENS1_30default_config_static_selectorELNS0_4arch9wavefront6targetE0EEEvSW_.uses_flat_scratch, 0
	.set _ZN7rocprim17ROCPRIM_400000_NS6detail17trampoline_kernelINS0_14default_configENS1_27lower_bound_config_selectorIilEEZNS1_14transform_implILb0ES3_S5_N6thrust23THRUST_200600_302600_NS6detail15normal_iteratorINS8_7pointerIiNS8_11hip_rocprim3tagENS8_11use_defaultESE_EEEENSA_INSB_IlSD_SE_SE_EEEEZNS1_13binary_searchIS3_S5_NSA_INSB_IiSD_NS8_16tagged_referenceIiSD_EESE_EEEESG_SI_NS1_21lower_bound_search_opENS9_16wrapped_functionINS8_7greaterIiEEbEEEE10hipError_tPvRmT1_T2_T3_mmT4_T5_P12ihipStream_tbEUlRKiE_EEST_SX_SY_mSZ_S12_bEUlT_E_NS1_11comp_targetILNS1_3genE9ELNS1_11target_archE1100ELNS1_3gpuE3ELNS1_3repE0EEENS1_30default_config_static_selectorELNS0_4arch9wavefront6targetE0EEEvSW_.has_dyn_sized_stack, 0
	.set _ZN7rocprim17ROCPRIM_400000_NS6detail17trampoline_kernelINS0_14default_configENS1_27lower_bound_config_selectorIilEEZNS1_14transform_implILb0ES3_S5_N6thrust23THRUST_200600_302600_NS6detail15normal_iteratorINS8_7pointerIiNS8_11hip_rocprim3tagENS8_11use_defaultESE_EEEENSA_INSB_IlSD_SE_SE_EEEEZNS1_13binary_searchIS3_S5_NSA_INSB_IiSD_NS8_16tagged_referenceIiSD_EESE_EEEESG_SI_NS1_21lower_bound_search_opENS9_16wrapped_functionINS8_7greaterIiEEbEEEE10hipError_tPvRmT1_T2_T3_mmT4_T5_P12ihipStream_tbEUlRKiE_EEST_SX_SY_mSZ_S12_bEUlT_E_NS1_11comp_targetILNS1_3genE9ELNS1_11target_archE1100ELNS1_3gpuE3ELNS1_3repE0EEENS1_30default_config_static_selectorELNS0_4arch9wavefront6targetE0EEEvSW_.has_recursion, 0
	.set _ZN7rocprim17ROCPRIM_400000_NS6detail17trampoline_kernelINS0_14default_configENS1_27lower_bound_config_selectorIilEEZNS1_14transform_implILb0ES3_S5_N6thrust23THRUST_200600_302600_NS6detail15normal_iteratorINS8_7pointerIiNS8_11hip_rocprim3tagENS8_11use_defaultESE_EEEENSA_INSB_IlSD_SE_SE_EEEEZNS1_13binary_searchIS3_S5_NSA_INSB_IiSD_NS8_16tagged_referenceIiSD_EESE_EEEESG_SI_NS1_21lower_bound_search_opENS9_16wrapped_functionINS8_7greaterIiEEbEEEE10hipError_tPvRmT1_T2_T3_mmT4_T5_P12ihipStream_tbEUlRKiE_EEST_SX_SY_mSZ_S12_bEUlT_E_NS1_11comp_targetILNS1_3genE9ELNS1_11target_archE1100ELNS1_3gpuE3ELNS1_3repE0EEENS1_30default_config_static_selectorELNS0_4arch9wavefront6targetE0EEEvSW_.has_indirect_call, 0
	.section	.AMDGPU.csdata,"",@progbits
; Kernel info:
; codeLenInByte = 0
; TotalNumSgprs: 0
; NumVgprs: 0
; ScratchSize: 0
; MemoryBound: 0
; FloatMode: 240
; IeeeMode: 1
; LDSByteSize: 0 bytes/workgroup (compile time only)
; SGPRBlocks: 0
; VGPRBlocks: 0
; NumSGPRsForWavesPerEU: 1
; NumVGPRsForWavesPerEU: 1
; NamedBarCnt: 0
; Occupancy: 16
; WaveLimiterHint : 0
; COMPUTE_PGM_RSRC2:SCRATCH_EN: 0
; COMPUTE_PGM_RSRC2:USER_SGPR: 2
; COMPUTE_PGM_RSRC2:TRAP_HANDLER: 0
; COMPUTE_PGM_RSRC2:TGID_X_EN: 1
; COMPUTE_PGM_RSRC2:TGID_Y_EN: 0
; COMPUTE_PGM_RSRC2:TGID_Z_EN: 0
; COMPUTE_PGM_RSRC2:TIDIG_COMP_CNT: 0
	.section	.text._ZN7rocprim17ROCPRIM_400000_NS6detail17trampoline_kernelINS0_14default_configENS1_27lower_bound_config_selectorIilEEZNS1_14transform_implILb0ES3_S5_N6thrust23THRUST_200600_302600_NS6detail15normal_iteratorINS8_7pointerIiNS8_11hip_rocprim3tagENS8_11use_defaultESE_EEEENSA_INSB_IlSD_SE_SE_EEEEZNS1_13binary_searchIS3_S5_NSA_INSB_IiSD_NS8_16tagged_referenceIiSD_EESE_EEEESG_SI_NS1_21lower_bound_search_opENS9_16wrapped_functionINS8_7greaterIiEEbEEEE10hipError_tPvRmT1_T2_T3_mmT4_T5_P12ihipStream_tbEUlRKiE_EEST_SX_SY_mSZ_S12_bEUlT_E_NS1_11comp_targetILNS1_3genE8ELNS1_11target_archE1030ELNS1_3gpuE2ELNS1_3repE0EEENS1_30default_config_static_selectorELNS0_4arch9wavefront6targetE0EEEvSW_,"axG",@progbits,_ZN7rocprim17ROCPRIM_400000_NS6detail17trampoline_kernelINS0_14default_configENS1_27lower_bound_config_selectorIilEEZNS1_14transform_implILb0ES3_S5_N6thrust23THRUST_200600_302600_NS6detail15normal_iteratorINS8_7pointerIiNS8_11hip_rocprim3tagENS8_11use_defaultESE_EEEENSA_INSB_IlSD_SE_SE_EEEEZNS1_13binary_searchIS3_S5_NSA_INSB_IiSD_NS8_16tagged_referenceIiSD_EESE_EEEESG_SI_NS1_21lower_bound_search_opENS9_16wrapped_functionINS8_7greaterIiEEbEEEE10hipError_tPvRmT1_T2_T3_mmT4_T5_P12ihipStream_tbEUlRKiE_EEST_SX_SY_mSZ_S12_bEUlT_E_NS1_11comp_targetILNS1_3genE8ELNS1_11target_archE1030ELNS1_3gpuE2ELNS1_3repE0EEENS1_30default_config_static_selectorELNS0_4arch9wavefront6targetE0EEEvSW_,comdat
	.protected	_ZN7rocprim17ROCPRIM_400000_NS6detail17trampoline_kernelINS0_14default_configENS1_27lower_bound_config_selectorIilEEZNS1_14transform_implILb0ES3_S5_N6thrust23THRUST_200600_302600_NS6detail15normal_iteratorINS8_7pointerIiNS8_11hip_rocprim3tagENS8_11use_defaultESE_EEEENSA_INSB_IlSD_SE_SE_EEEEZNS1_13binary_searchIS3_S5_NSA_INSB_IiSD_NS8_16tagged_referenceIiSD_EESE_EEEESG_SI_NS1_21lower_bound_search_opENS9_16wrapped_functionINS8_7greaterIiEEbEEEE10hipError_tPvRmT1_T2_T3_mmT4_T5_P12ihipStream_tbEUlRKiE_EEST_SX_SY_mSZ_S12_bEUlT_E_NS1_11comp_targetILNS1_3genE8ELNS1_11target_archE1030ELNS1_3gpuE2ELNS1_3repE0EEENS1_30default_config_static_selectorELNS0_4arch9wavefront6targetE0EEEvSW_ ; -- Begin function _ZN7rocprim17ROCPRIM_400000_NS6detail17trampoline_kernelINS0_14default_configENS1_27lower_bound_config_selectorIilEEZNS1_14transform_implILb0ES3_S5_N6thrust23THRUST_200600_302600_NS6detail15normal_iteratorINS8_7pointerIiNS8_11hip_rocprim3tagENS8_11use_defaultESE_EEEENSA_INSB_IlSD_SE_SE_EEEEZNS1_13binary_searchIS3_S5_NSA_INSB_IiSD_NS8_16tagged_referenceIiSD_EESE_EEEESG_SI_NS1_21lower_bound_search_opENS9_16wrapped_functionINS8_7greaterIiEEbEEEE10hipError_tPvRmT1_T2_T3_mmT4_T5_P12ihipStream_tbEUlRKiE_EEST_SX_SY_mSZ_S12_bEUlT_E_NS1_11comp_targetILNS1_3genE8ELNS1_11target_archE1030ELNS1_3gpuE2ELNS1_3repE0EEENS1_30default_config_static_selectorELNS0_4arch9wavefront6targetE0EEEvSW_
	.globl	_ZN7rocprim17ROCPRIM_400000_NS6detail17trampoline_kernelINS0_14default_configENS1_27lower_bound_config_selectorIilEEZNS1_14transform_implILb0ES3_S5_N6thrust23THRUST_200600_302600_NS6detail15normal_iteratorINS8_7pointerIiNS8_11hip_rocprim3tagENS8_11use_defaultESE_EEEENSA_INSB_IlSD_SE_SE_EEEEZNS1_13binary_searchIS3_S5_NSA_INSB_IiSD_NS8_16tagged_referenceIiSD_EESE_EEEESG_SI_NS1_21lower_bound_search_opENS9_16wrapped_functionINS8_7greaterIiEEbEEEE10hipError_tPvRmT1_T2_T3_mmT4_T5_P12ihipStream_tbEUlRKiE_EEST_SX_SY_mSZ_S12_bEUlT_E_NS1_11comp_targetILNS1_3genE8ELNS1_11target_archE1030ELNS1_3gpuE2ELNS1_3repE0EEENS1_30default_config_static_selectorELNS0_4arch9wavefront6targetE0EEEvSW_
	.p2align	8
	.type	_ZN7rocprim17ROCPRIM_400000_NS6detail17trampoline_kernelINS0_14default_configENS1_27lower_bound_config_selectorIilEEZNS1_14transform_implILb0ES3_S5_N6thrust23THRUST_200600_302600_NS6detail15normal_iteratorINS8_7pointerIiNS8_11hip_rocprim3tagENS8_11use_defaultESE_EEEENSA_INSB_IlSD_SE_SE_EEEEZNS1_13binary_searchIS3_S5_NSA_INSB_IiSD_NS8_16tagged_referenceIiSD_EESE_EEEESG_SI_NS1_21lower_bound_search_opENS9_16wrapped_functionINS8_7greaterIiEEbEEEE10hipError_tPvRmT1_T2_T3_mmT4_T5_P12ihipStream_tbEUlRKiE_EEST_SX_SY_mSZ_S12_bEUlT_E_NS1_11comp_targetILNS1_3genE8ELNS1_11target_archE1030ELNS1_3gpuE2ELNS1_3repE0EEENS1_30default_config_static_selectorELNS0_4arch9wavefront6targetE0EEEvSW_,@function
_ZN7rocprim17ROCPRIM_400000_NS6detail17trampoline_kernelINS0_14default_configENS1_27lower_bound_config_selectorIilEEZNS1_14transform_implILb0ES3_S5_N6thrust23THRUST_200600_302600_NS6detail15normal_iteratorINS8_7pointerIiNS8_11hip_rocprim3tagENS8_11use_defaultESE_EEEENSA_INSB_IlSD_SE_SE_EEEEZNS1_13binary_searchIS3_S5_NSA_INSB_IiSD_NS8_16tagged_referenceIiSD_EESE_EEEESG_SI_NS1_21lower_bound_search_opENS9_16wrapped_functionINS8_7greaterIiEEbEEEE10hipError_tPvRmT1_T2_T3_mmT4_T5_P12ihipStream_tbEUlRKiE_EEST_SX_SY_mSZ_S12_bEUlT_E_NS1_11comp_targetILNS1_3genE8ELNS1_11target_archE1030ELNS1_3gpuE2ELNS1_3repE0EEENS1_30default_config_static_selectorELNS0_4arch9wavefront6targetE0EEEvSW_: ; @_ZN7rocprim17ROCPRIM_400000_NS6detail17trampoline_kernelINS0_14default_configENS1_27lower_bound_config_selectorIilEEZNS1_14transform_implILb0ES3_S5_N6thrust23THRUST_200600_302600_NS6detail15normal_iteratorINS8_7pointerIiNS8_11hip_rocprim3tagENS8_11use_defaultESE_EEEENSA_INSB_IlSD_SE_SE_EEEEZNS1_13binary_searchIS3_S5_NSA_INSB_IiSD_NS8_16tagged_referenceIiSD_EESE_EEEESG_SI_NS1_21lower_bound_search_opENS9_16wrapped_functionINS8_7greaterIiEEbEEEE10hipError_tPvRmT1_T2_T3_mmT4_T5_P12ihipStream_tbEUlRKiE_EEST_SX_SY_mSZ_S12_bEUlT_E_NS1_11comp_targetILNS1_3genE8ELNS1_11target_archE1030ELNS1_3gpuE2ELNS1_3repE0EEENS1_30default_config_static_selectorELNS0_4arch9wavefront6targetE0EEEvSW_
; %bb.0:
	.section	.rodata,"a",@progbits
	.p2align	6, 0x0
	.amdhsa_kernel _ZN7rocprim17ROCPRIM_400000_NS6detail17trampoline_kernelINS0_14default_configENS1_27lower_bound_config_selectorIilEEZNS1_14transform_implILb0ES3_S5_N6thrust23THRUST_200600_302600_NS6detail15normal_iteratorINS8_7pointerIiNS8_11hip_rocprim3tagENS8_11use_defaultESE_EEEENSA_INSB_IlSD_SE_SE_EEEEZNS1_13binary_searchIS3_S5_NSA_INSB_IiSD_NS8_16tagged_referenceIiSD_EESE_EEEESG_SI_NS1_21lower_bound_search_opENS9_16wrapped_functionINS8_7greaterIiEEbEEEE10hipError_tPvRmT1_T2_T3_mmT4_T5_P12ihipStream_tbEUlRKiE_EEST_SX_SY_mSZ_S12_bEUlT_E_NS1_11comp_targetILNS1_3genE8ELNS1_11target_archE1030ELNS1_3gpuE2ELNS1_3repE0EEENS1_30default_config_static_selectorELNS0_4arch9wavefront6targetE0EEEvSW_
		.amdhsa_group_segment_fixed_size 0
		.amdhsa_private_segment_fixed_size 0
		.amdhsa_kernarg_size 56
		.amdhsa_user_sgpr_count 2
		.amdhsa_user_sgpr_dispatch_ptr 0
		.amdhsa_user_sgpr_queue_ptr 0
		.amdhsa_user_sgpr_kernarg_segment_ptr 1
		.amdhsa_user_sgpr_dispatch_id 0
		.amdhsa_user_sgpr_kernarg_preload_length 0
		.amdhsa_user_sgpr_kernarg_preload_offset 0
		.amdhsa_user_sgpr_private_segment_size 0
		.amdhsa_wavefront_size32 1
		.amdhsa_uses_dynamic_stack 0
		.amdhsa_enable_private_segment 0
		.amdhsa_system_sgpr_workgroup_id_x 1
		.amdhsa_system_sgpr_workgroup_id_y 0
		.amdhsa_system_sgpr_workgroup_id_z 0
		.amdhsa_system_sgpr_workgroup_info 0
		.amdhsa_system_vgpr_workitem_id 0
		.amdhsa_next_free_vgpr 1
		.amdhsa_next_free_sgpr 1
		.amdhsa_named_barrier_count 0
		.amdhsa_reserve_vcc 0
		.amdhsa_float_round_mode_32 0
		.amdhsa_float_round_mode_16_64 0
		.amdhsa_float_denorm_mode_32 3
		.amdhsa_float_denorm_mode_16_64 3
		.amdhsa_fp16_overflow 0
		.amdhsa_memory_ordered 1
		.amdhsa_forward_progress 1
		.amdhsa_inst_pref_size 0
		.amdhsa_round_robin_scheduling 0
		.amdhsa_exception_fp_ieee_invalid_op 0
		.amdhsa_exception_fp_denorm_src 0
		.amdhsa_exception_fp_ieee_div_zero 0
		.amdhsa_exception_fp_ieee_overflow 0
		.amdhsa_exception_fp_ieee_underflow 0
		.amdhsa_exception_fp_ieee_inexact 0
		.amdhsa_exception_int_div_zero 0
	.end_amdhsa_kernel
	.section	.text._ZN7rocprim17ROCPRIM_400000_NS6detail17trampoline_kernelINS0_14default_configENS1_27lower_bound_config_selectorIilEEZNS1_14transform_implILb0ES3_S5_N6thrust23THRUST_200600_302600_NS6detail15normal_iteratorINS8_7pointerIiNS8_11hip_rocprim3tagENS8_11use_defaultESE_EEEENSA_INSB_IlSD_SE_SE_EEEEZNS1_13binary_searchIS3_S5_NSA_INSB_IiSD_NS8_16tagged_referenceIiSD_EESE_EEEESG_SI_NS1_21lower_bound_search_opENS9_16wrapped_functionINS8_7greaterIiEEbEEEE10hipError_tPvRmT1_T2_T3_mmT4_T5_P12ihipStream_tbEUlRKiE_EEST_SX_SY_mSZ_S12_bEUlT_E_NS1_11comp_targetILNS1_3genE8ELNS1_11target_archE1030ELNS1_3gpuE2ELNS1_3repE0EEENS1_30default_config_static_selectorELNS0_4arch9wavefront6targetE0EEEvSW_,"axG",@progbits,_ZN7rocprim17ROCPRIM_400000_NS6detail17trampoline_kernelINS0_14default_configENS1_27lower_bound_config_selectorIilEEZNS1_14transform_implILb0ES3_S5_N6thrust23THRUST_200600_302600_NS6detail15normal_iteratorINS8_7pointerIiNS8_11hip_rocprim3tagENS8_11use_defaultESE_EEEENSA_INSB_IlSD_SE_SE_EEEEZNS1_13binary_searchIS3_S5_NSA_INSB_IiSD_NS8_16tagged_referenceIiSD_EESE_EEEESG_SI_NS1_21lower_bound_search_opENS9_16wrapped_functionINS8_7greaterIiEEbEEEE10hipError_tPvRmT1_T2_T3_mmT4_T5_P12ihipStream_tbEUlRKiE_EEST_SX_SY_mSZ_S12_bEUlT_E_NS1_11comp_targetILNS1_3genE8ELNS1_11target_archE1030ELNS1_3gpuE2ELNS1_3repE0EEENS1_30default_config_static_selectorELNS0_4arch9wavefront6targetE0EEEvSW_,comdat
.Lfunc_end66:
	.size	_ZN7rocprim17ROCPRIM_400000_NS6detail17trampoline_kernelINS0_14default_configENS1_27lower_bound_config_selectorIilEEZNS1_14transform_implILb0ES3_S5_N6thrust23THRUST_200600_302600_NS6detail15normal_iteratorINS8_7pointerIiNS8_11hip_rocprim3tagENS8_11use_defaultESE_EEEENSA_INSB_IlSD_SE_SE_EEEEZNS1_13binary_searchIS3_S5_NSA_INSB_IiSD_NS8_16tagged_referenceIiSD_EESE_EEEESG_SI_NS1_21lower_bound_search_opENS9_16wrapped_functionINS8_7greaterIiEEbEEEE10hipError_tPvRmT1_T2_T3_mmT4_T5_P12ihipStream_tbEUlRKiE_EEST_SX_SY_mSZ_S12_bEUlT_E_NS1_11comp_targetILNS1_3genE8ELNS1_11target_archE1030ELNS1_3gpuE2ELNS1_3repE0EEENS1_30default_config_static_selectorELNS0_4arch9wavefront6targetE0EEEvSW_, .Lfunc_end66-_ZN7rocprim17ROCPRIM_400000_NS6detail17trampoline_kernelINS0_14default_configENS1_27lower_bound_config_selectorIilEEZNS1_14transform_implILb0ES3_S5_N6thrust23THRUST_200600_302600_NS6detail15normal_iteratorINS8_7pointerIiNS8_11hip_rocprim3tagENS8_11use_defaultESE_EEEENSA_INSB_IlSD_SE_SE_EEEEZNS1_13binary_searchIS3_S5_NSA_INSB_IiSD_NS8_16tagged_referenceIiSD_EESE_EEEESG_SI_NS1_21lower_bound_search_opENS9_16wrapped_functionINS8_7greaterIiEEbEEEE10hipError_tPvRmT1_T2_T3_mmT4_T5_P12ihipStream_tbEUlRKiE_EEST_SX_SY_mSZ_S12_bEUlT_E_NS1_11comp_targetILNS1_3genE8ELNS1_11target_archE1030ELNS1_3gpuE2ELNS1_3repE0EEENS1_30default_config_static_selectorELNS0_4arch9wavefront6targetE0EEEvSW_
                                        ; -- End function
	.set _ZN7rocprim17ROCPRIM_400000_NS6detail17trampoline_kernelINS0_14default_configENS1_27lower_bound_config_selectorIilEEZNS1_14transform_implILb0ES3_S5_N6thrust23THRUST_200600_302600_NS6detail15normal_iteratorINS8_7pointerIiNS8_11hip_rocprim3tagENS8_11use_defaultESE_EEEENSA_INSB_IlSD_SE_SE_EEEEZNS1_13binary_searchIS3_S5_NSA_INSB_IiSD_NS8_16tagged_referenceIiSD_EESE_EEEESG_SI_NS1_21lower_bound_search_opENS9_16wrapped_functionINS8_7greaterIiEEbEEEE10hipError_tPvRmT1_T2_T3_mmT4_T5_P12ihipStream_tbEUlRKiE_EEST_SX_SY_mSZ_S12_bEUlT_E_NS1_11comp_targetILNS1_3genE8ELNS1_11target_archE1030ELNS1_3gpuE2ELNS1_3repE0EEENS1_30default_config_static_selectorELNS0_4arch9wavefront6targetE0EEEvSW_.num_vgpr, 0
	.set _ZN7rocprim17ROCPRIM_400000_NS6detail17trampoline_kernelINS0_14default_configENS1_27lower_bound_config_selectorIilEEZNS1_14transform_implILb0ES3_S5_N6thrust23THRUST_200600_302600_NS6detail15normal_iteratorINS8_7pointerIiNS8_11hip_rocprim3tagENS8_11use_defaultESE_EEEENSA_INSB_IlSD_SE_SE_EEEEZNS1_13binary_searchIS3_S5_NSA_INSB_IiSD_NS8_16tagged_referenceIiSD_EESE_EEEESG_SI_NS1_21lower_bound_search_opENS9_16wrapped_functionINS8_7greaterIiEEbEEEE10hipError_tPvRmT1_T2_T3_mmT4_T5_P12ihipStream_tbEUlRKiE_EEST_SX_SY_mSZ_S12_bEUlT_E_NS1_11comp_targetILNS1_3genE8ELNS1_11target_archE1030ELNS1_3gpuE2ELNS1_3repE0EEENS1_30default_config_static_selectorELNS0_4arch9wavefront6targetE0EEEvSW_.num_agpr, 0
	.set _ZN7rocprim17ROCPRIM_400000_NS6detail17trampoline_kernelINS0_14default_configENS1_27lower_bound_config_selectorIilEEZNS1_14transform_implILb0ES3_S5_N6thrust23THRUST_200600_302600_NS6detail15normal_iteratorINS8_7pointerIiNS8_11hip_rocprim3tagENS8_11use_defaultESE_EEEENSA_INSB_IlSD_SE_SE_EEEEZNS1_13binary_searchIS3_S5_NSA_INSB_IiSD_NS8_16tagged_referenceIiSD_EESE_EEEESG_SI_NS1_21lower_bound_search_opENS9_16wrapped_functionINS8_7greaterIiEEbEEEE10hipError_tPvRmT1_T2_T3_mmT4_T5_P12ihipStream_tbEUlRKiE_EEST_SX_SY_mSZ_S12_bEUlT_E_NS1_11comp_targetILNS1_3genE8ELNS1_11target_archE1030ELNS1_3gpuE2ELNS1_3repE0EEENS1_30default_config_static_selectorELNS0_4arch9wavefront6targetE0EEEvSW_.numbered_sgpr, 0
	.set _ZN7rocprim17ROCPRIM_400000_NS6detail17trampoline_kernelINS0_14default_configENS1_27lower_bound_config_selectorIilEEZNS1_14transform_implILb0ES3_S5_N6thrust23THRUST_200600_302600_NS6detail15normal_iteratorINS8_7pointerIiNS8_11hip_rocprim3tagENS8_11use_defaultESE_EEEENSA_INSB_IlSD_SE_SE_EEEEZNS1_13binary_searchIS3_S5_NSA_INSB_IiSD_NS8_16tagged_referenceIiSD_EESE_EEEESG_SI_NS1_21lower_bound_search_opENS9_16wrapped_functionINS8_7greaterIiEEbEEEE10hipError_tPvRmT1_T2_T3_mmT4_T5_P12ihipStream_tbEUlRKiE_EEST_SX_SY_mSZ_S12_bEUlT_E_NS1_11comp_targetILNS1_3genE8ELNS1_11target_archE1030ELNS1_3gpuE2ELNS1_3repE0EEENS1_30default_config_static_selectorELNS0_4arch9wavefront6targetE0EEEvSW_.num_named_barrier, 0
	.set _ZN7rocprim17ROCPRIM_400000_NS6detail17trampoline_kernelINS0_14default_configENS1_27lower_bound_config_selectorIilEEZNS1_14transform_implILb0ES3_S5_N6thrust23THRUST_200600_302600_NS6detail15normal_iteratorINS8_7pointerIiNS8_11hip_rocprim3tagENS8_11use_defaultESE_EEEENSA_INSB_IlSD_SE_SE_EEEEZNS1_13binary_searchIS3_S5_NSA_INSB_IiSD_NS8_16tagged_referenceIiSD_EESE_EEEESG_SI_NS1_21lower_bound_search_opENS9_16wrapped_functionINS8_7greaterIiEEbEEEE10hipError_tPvRmT1_T2_T3_mmT4_T5_P12ihipStream_tbEUlRKiE_EEST_SX_SY_mSZ_S12_bEUlT_E_NS1_11comp_targetILNS1_3genE8ELNS1_11target_archE1030ELNS1_3gpuE2ELNS1_3repE0EEENS1_30default_config_static_selectorELNS0_4arch9wavefront6targetE0EEEvSW_.private_seg_size, 0
	.set _ZN7rocprim17ROCPRIM_400000_NS6detail17trampoline_kernelINS0_14default_configENS1_27lower_bound_config_selectorIilEEZNS1_14transform_implILb0ES3_S5_N6thrust23THRUST_200600_302600_NS6detail15normal_iteratorINS8_7pointerIiNS8_11hip_rocprim3tagENS8_11use_defaultESE_EEEENSA_INSB_IlSD_SE_SE_EEEEZNS1_13binary_searchIS3_S5_NSA_INSB_IiSD_NS8_16tagged_referenceIiSD_EESE_EEEESG_SI_NS1_21lower_bound_search_opENS9_16wrapped_functionINS8_7greaterIiEEbEEEE10hipError_tPvRmT1_T2_T3_mmT4_T5_P12ihipStream_tbEUlRKiE_EEST_SX_SY_mSZ_S12_bEUlT_E_NS1_11comp_targetILNS1_3genE8ELNS1_11target_archE1030ELNS1_3gpuE2ELNS1_3repE0EEENS1_30default_config_static_selectorELNS0_4arch9wavefront6targetE0EEEvSW_.uses_vcc, 0
	.set _ZN7rocprim17ROCPRIM_400000_NS6detail17trampoline_kernelINS0_14default_configENS1_27lower_bound_config_selectorIilEEZNS1_14transform_implILb0ES3_S5_N6thrust23THRUST_200600_302600_NS6detail15normal_iteratorINS8_7pointerIiNS8_11hip_rocprim3tagENS8_11use_defaultESE_EEEENSA_INSB_IlSD_SE_SE_EEEEZNS1_13binary_searchIS3_S5_NSA_INSB_IiSD_NS8_16tagged_referenceIiSD_EESE_EEEESG_SI_NS1_21lower_bound_search_opENS9_16wrapped_functionINS8_7greaterIiEEbEEEE10hipError_tPvRmT1_T2_T3_mmT4_T5_P12ihipStream_tbEUlRKiE_EEST_SX_SY_mSZ_S12_bEUlT_E_NS1_11comp_targetILNS1_3genE8ELNS1_11target_archE1030ELNS1_3gpuE2ELNS1_3repE0EEENS1_30default_config_static_selectorELNS0_4arch9wavefront6targetE0EEEvSW_.uses_flat_scratch, 0
	.set _ZN7rocprim17ROCPRIM_400000_NS6detail17trampoline_kernelINS0_14default_configENS1_27lower_bound_config_selectorIilEEZNS1_14transform_implILb0ES3_S5_N6thrust23THRUST_200600_302600_NS6detail15normal_iteratorINS8_7pointerIiNS8_11hip_rocprim3tagENS8_11use_defaultESE_EEEENSA_INSB_IlSD_SE_SE_EEEEZNS1_13binary_searchIS3_S5_NSA_INSB_IiSD_NS8_16tagged_referenceIiSD_EESE_EEEESG_SI_NS1_21lower_bound_search_opENS9_16wrapped_functionINS8_7greaterIiEEbEEEE10hipError_tPvRmT1_T2_T3_mmT4_T5_P12ihipStream_tbEUlRKiE_EEST_SX_SY_mSZ_S12_bEUlT_E_NS1_11comp_targetILNS1_3genE8ELNS1_11target_archE1030ELNS1_3gpuE2ELNS1_3repE0EEENS1_30default_config_static_selectorELNS0_4arch9wavefront6targetE0EEEvSW_.has_dyn_sized_stack, 0
	.set _ZN7rocprim17ROCPRIM_400000_NS6detail17trampoline_kernelINS0_14default_configENS1_27lower_bound_config_selectorIilEEZNS1_14transform_implILb0ES3_S5_N6thrust23THRUST_200600_302600_NS6detail15normal_iteratorINS8_7pointerIiNS8_11hip_rocprim3tagENS8_11use_defaultESE_EEEENSA_INSB_IlSD_SE_SE_EEEEZNS1_13binary_searchIS3_S5_NSA_INSB_IiSD_NS8_16tagged_referenceIiSD_EESE_EEEESG_SI_NS1_21lower_bound_search_opENS9_16wrapped_functionINS8_7greaterIiEEbEEEE10hipError_tPvRmT1_T2_T3_mmT4_T5_P12ihipStream_tbEUlRKiE_EEST_SX_SY_mSZ_S12_bEUlT_E_NS1_11comp_targetILNS1_3genE8ELNS1_11target_archE1030ELNS1_3gpuE2ELNS1_3repE0EEENS1_30default_config_static_selectorELNS0_4arch9wavefront6targetE0EEEvSW_.has_recursion, 0
	.set _ZN7rocprim17ROCPRIM_400000_NS6detail17trampoline_kernelINS0_14default_configENS1_27lower_bound_config_selectorIilEEZNS1_14transform_implILb0ES3_S5_N6thrust23THRUST_200600_302600_NS6detail15normal_iteratorINS8_7pointerIiNS8_11hip_rocprim3tagENS8_11use_defaultESE_EEEENSA_INSB_IlSD_SE_SE_EEEEZNS1_13binary_searchIS3_S5_NSA_INSB_IiSD_NS8_16tagged_referenceIiSD_EESE_EEEESG_SI_NS1_21lower_bound_search_opENS9_16wrapped_functionINS8_7greaterIiEEbEEEE10hipError_tPvRmT1_T2_T3_mmT4_T5_P12ihipStream_tbEUlRKiE_EEST_SX_SY_mSZ_S12_bEUlT_E_NS1_11comp_targetILNS1_3genE8ELNS1_11target_archE1030ELNS1_3gpuE2ELNS1_3repE0EEENS1_30default_config_static_selectorELNS0_4arch9wavefront6targetE0EEEvSW_.has_indirect_call, 0
	.section	.AMDGPU.csdata,"",@progbits
; Kernel info:
; codeLenInByte = 0
; TotalNumSgprs: 0
; NumVgprs: 0
; ScratchSize: 0
; MemoryBound: 0
; FloatMode: 240
; IeeeMode: 1
; LDSByteSize: 0 bytes/workgroup (compile time only)
; SGPRBlocks: 0
; VGPRBlocks: 0
; NumSGPRsForWavesPerEU: 1
; NumVGPRsForWavesPerEU: 1
; NamedBarCnt: 0
; Occupancy: 16
; WaveLimiterHint : 0
; COMPUTE_PGM_RSRC2:SCRATCH_EN: 0
; COMPUTE_PGM_RSRC2:USER_SGPR: 2
; COMPUTE_PGM_RSRC2:TRAP_HANDLER: 0
; COMPUTE_PGM_RSRC2:TGID_X_EN: 1
; COMPUTE_PGM_RSRC2:TGID_Y_EN: 0
; COMPUTE_PGM_RSRC2:TGID_Z_EN: 0
; COMPUTE_PGM_RSRC2:TIDIG_COMP_CNT: 0
	.section	.text._ZN6thrust23THRUST_200600_302600_NS11hip_rocprim14__parallel_for6kernelILj256ENS1_20__uninitialized_fill7functorINS0_7pointerIiNS1_3tagERiNS0_11use_defaultEEEiEEmLj1EEEvT0_T1_SD_,"axG",@progbits,_ZN6thrust23THRUST_200600_302600_NS11hip_rocprim14__parallel_for6kernelILj256ENS1_20__uninitialized_fill7functorINS0_7pointerIiNS1_3tagERiNS0_11use_defaultEEEiEEmLj1EEEvT0_T1_SD_,comdat
	.protected	_ZN6thrust23THRUST_200600_302600_NS11hip_rocprim14__parallel_for6kernelILj256ENS1_20__uninitialized_fill7functorINS0_7pointerIiNS1_3tagERiNS0_11use_defaultEEEiEEmLj1EEEvT0_T1_SD_ ; -- Begin function _ZN6thrust23THRUST_200600_302600_NS11hip_rocprim14__parallel_for6kernelILj256ENS1_20__uninitialized_fill7functorINS0_7pointerIiNS1_3tagERiNS0_11use_defaultEEEiEEmLj1EEEvT0_T1_SD_
	.globl	_ZN6thrust23THRUST_200600_302600_NS11hip_rocprim14__parallel_for6kernelILj256ENS1_20__uninitialized_fill7functorINS0_7pointerIiNS1_3tagERiNS0_11use_defaultEEEiEEmLj1EEEvT0_T1_SD_
	.p2align	8
	.type	_ZN6thrust23THRUST_200600_302600_NS11hip_rocprim14__parallel_for6kernelILj256ENS1_20__uninitialized_fill7functorINS0_7pointerIiNS1_3tagERiNS0_11use_defaultEEEiEEmLj1EEEvT0_T1_SD_,@function
_ZN6thrust23THRUST_200600_302600_NS11hip_rocprim14__parallel_for6kernelILj256ENS1_20__uninitialized_fill7functorINS0_7pointerIiNS1_3tagERiNS0_11use_defaultEEEiEEmLj1EEEvT0_T1_SD_: ; @_ZN6thrust23THRUST_200600_302600_NS11hip_rocprim14__parallel_for6kernelILj256ENS1_20__uninitialized_fill7functorINS0_7pointerIiNS1_3tagERiNS0_11use_defaultEEEiEEmLj1EEEvT0_T1_SD_
; %bb.0:
	s_load_b128 s[8:11], s[0:1], 0x10
	s_bfe_u32 s2, ttmp6, 0x4000c
	s_and_b32 s3, ttmp6, 15
	s_add_co_i32 s2, s2, 1
	s_getreg_b32 s4, hwreg(HW_REG_IB_STS2, 6, 4)
	s_mul_i32 s2, ttmp9, s2
	s_delay_alu instid0(SALU_CYCLE_1)
	s_add_co_i32 s3, s3, s2
	s_cmp_eq_u32 s4, 0
	s_load_b96 s[4:6], s[0:1], 0x0
	s_wait_xcnt 0x0
	s_cselect_b32 s0, ttmp9, s3
	s_mov_b32 s1, 0
	s_lshl_b32 s0, s0, 8
	s_wait_kmcnt 0x0
	s_add_nc_u64 s[0:1], s[10:11], s[0:1]
	s_delay_alu instid0(SALU_CYCLE_1) | instskip(NEXT) | instid1(SALU_CYCLE_1)
	s_sub_nc_u64 s[2:3], s[8:9], s[0:1]
	v_cmp_lt_u64_e64 s3, 0xff, s[2:3]
	s_and_b32 vcc_lo, exec_lo, s3
	s_mov_b32 s3, -1
	s_cbranch_vccz .LBB67_3
; %bb.1:
	s_and_not1_b32 vcc_lo, exec_lo, s3
	s_cbranch_vccz .LBB67_6
.LBB67_2:
	s_endpgm
.LBB67_3:
	v_cmp_gt_u32_e32 vcc_lo, s2, v0
	s_and_saveexec_b32 s2, vcc_lo
	s_cbranch_execz .LBB67_5
; %bb.4:
	v_mov_b32_e32 v1, s6
	s_lshl_b64 s[8:9], s[0:1], 2
	s_delay_alu instid0(SALU_CYCLE_1)
	s_add_nc_u64 s[8:9], s[4:5], s[8:9]
	flat_store_b32 v0, v1, s[8:9] scale_offset
.LBB67_5:
	s_wait_xcnt 0x0
	s_or_b32 exec_lo, exec_lo, s2
	s_cbranch_execnz .LBB67_2
.LBB67_6:
	v_mov_b32_e32 v1, s6
	s_lshl_b64 s[0:1], s[0:1], 2
	s_delay_alu instid0(SALU_CYCLE_1)
	s_add_nc_u64 s[0:1], s[4:5], s[0:1]
	flat_store_b32 v0, v1, s[0:1] scale_offset
	s_endpgm
	.section	.rodata,"a",@progbits
	.p2align	6, 0x0
	.amdhsa_kernel _ZN6thrust23THRUST_200600_302600_NS11hip_rocprim14__parallel_for6kernelILj256ENS1_20__uninitialized_fill7functorINS0_7pointerIiNS1_3tagERiNS0_11use_defaultEEEiEEmLj1EEEvT0_T1_SD_
		.amdhsa_group_segment_fixed_size 0
		.amdhsa_private_segment_fixed_size 0
		.amdhsa_kernarg_size 32
		.amdhsa_user_sgpr_count 2
		.amdhsa_user_sgpr_dispatch_ptr 0
		.amdhsa_user_sgpr_queue_ptr 0
		.amdhsa_user_sgpr_kernarg_segment_ptr 1
		.amdhsa_user_sgpr_dispatch_id 0
		.amdhsa_user_sgpr_kernarg_preload_length 0
		.amdhsa_user_sgpr_kernarg_preload_offset 0
		.amdhsa_user_sgpr_private_segment_size 0
		.amdhsa_wavefront_size32 1
		.amdhsa_uses_dynamic_stack 0
		.amdhsa_enable_private_segment 0
		.amdhsa_system_sgpr_workgroup_id_x 1
		.amdhsa_system_sgpr_workgroup_id_y 0
		.amdhsa_system_sgpr_workgroup_id_z 0
		.amdhsa_system_sgpr_workgroup_info 0
		.amdhsa_system_vgpr_workitem_id 0
		.amdhsa_next_free_vgpr 2
		.amdhsa_next_free_sgpr 12
		.amdhsa_named_barrier_count 0
		.amdhsa_reserve_vcc 1
		.amdhsa_float_round_mode_32 0
		.amdhsa_float_round_mode_16_64 0
		.amdhsa_float_denorm_mode_32 3
		.amdhsa_float_denorm_mode_16_64 3
		.amdhsa_fp16_overflow 0
		.amdhsa_memory_ordered 1
		.amdhsa_forward_progress 1
		.amdhsa_inst_pref_size 2
		.amdhsa_round_robin_scheduling 0
		.amdhsa_exception_fp_ieee_invalid_op 0
		.amdhsa_exception_fp_denorm_src 0
		.amdhsa_exception_fp_ieee_div_zero 0
		.amdhsa_exception_fp_ieee_overflow 0
		.amdhsa_exception_fp_ieee_underflow 0
		.amdhsa_exception_fp_ieee_inexact 0
		.amdhsa_exception_int_div_zero 0
	.end_amdhsa_kernel
	.section	.text._ZN6thrust23THRUST_200600_302600_NS11hip_rocprim14__parallel_for6kernelILj256ENS1_20__uninitialized_fill7functorINS0_7pointerIiNS1_3tagERiNS0_11use_defaultEEEiEEmLj1EEEvT0_T1_SD_,"axG",@progbits,_ZN6thrust23THRUST_200600_302600_NS11hip_rocprim14__parallel_for6kernelILj256ENS1_20__uninitialized_fill7functorINS0_7pointerIiNS1_3tagERiNS0_11use_defaultEEEiEEmLj1EEEvT0_T1_SD_,comdat
.Lfunc_end67:
	.size	_ZN6thrust23THRUST_200600_302600_NS11hip_rocprim14__parallel_for6kernelILj256ENS1_20__uninitialized_fill7functorINS0_7pointerIiNS1_3tagERiNS0_11use_defaultEEEiEEmLj1EEEvT0_T1_SD_, .Lfunc_end67-_ZN6thrust23THRUST_200600_302600_NS11hip_rocprim14__parallel_for6kernelILj256ENS1_20__uninitialized_fill7functorINS0_7pointerIiNS1_3tagERiNS0_11use_defaultEEEiEEmLj1EEEvT0_T1_SD_
                                        ; -- End function
	.set _ZN6thrust23THRUST_200600_302600_NS11hip_rocprim14__parallel_for6kernelILj256ENS1_20__uninitialized_fill7functorINS0_7pointerIiNS1_3tagERiNS0_11use_defaultEEEiEEmLj1EEEvT0_T1_SD_.num_vgpr, 2
	.set _ZN6thrust23THRUST_200600_302600_NS11hip_rocprim14__parallel_for6kernelILj256ENS1_20__uninitialized_fill7functorINS0_7pointerIiNS1_3tagERiNS0_11use_defaultEEEiEEmLj1EEEvT0_T1_SD_.num_agpr, 0
	.set _ZN6thrust23THRUST_200600_302600_NS11hip_rocprim14__parallel_for6kernelILj256ENS1_20__uninitialized_fill7functorINS0_7pointerIiNS1_3tagERiNS0_11use_defaultEEEiEEmLj1EEEvT0_T1_SD_.numbered_sgpr, 12
	.set _ZN6thrust23THRUST_200600_302600_NS11hip_rocprim14__parallel_for6kernelILj256ENS1_20__uninitialized_fill7functorINS0_7pointerIiNS1_3tagERiNS0_11use_defaultEEEiEEmLj1EEEvT0_T1_SD_.num_named_barrier, 0
	.set _ZN6thrust23THRUST_200600_302600_NS11hip_rocprim14__parallel_for6kernelILj256ENS1_20__uninitialized_fill7functorINS0_7pointerIiNS1_3tagERiNS0_11use_defaultEEEiEEmLj1EEEvT0_T1_SD_.private_seg_size, 0
	.set _ZN6thrust23THRUST_200600_302600_NS11hip_rocprim14__parallel_for6kernelILj256ENS1_20__uninitialized_fill7functorINS0_7pointerIiNS1_3tagERiNS0_11use_defaultEEEiEEmLj1EEEvT0_T1_SD_.uses_vcc, 1
	.set _ZN6thrust23THRUST_200600_302600_NS11hip_rocprim14__parallel_for6kernelILj256ENS1_20__uninitialized_fill7functorINS0_7pointerIiNS1_3tagERiNS0_11use_defaultEEEiEEmLj1EEEvT0_T1_SD_.uses_flat_scratch, 0
	.set _ZN6thrust23THRUST_200600_302600_NS11hip_rocprim14__parallel_for6kernelILj256ENS1_20__uninitialized_fill7functorINS0_7pointerIiNS1_3tagERiNS0_11use_defaultEEEiEEmLj1EEEvT0_T1_SD_.has_dyn_sized_stack, 0
	.set _ZN6thrust23THRUST_200600_302600_NS11hip_rocprim14__parallel_for6kernelILj256ENS1_20__uninitialized_fill7functorINS0_7pointerIiNS1_3tagERiNS0_11use_defaultEEEiEEmLj1EEEvT0_T1_SD_.has_recursion, 0
	.set _ZN6thrust23THRUST_200600_302600_NS11hip_rocprim14__parallel_for6kernelILj256ENS1_20__uninitialized_fill7functorINS0_7pointerIiNS1_3tagERiNS0_11use_defaultEEEiEEmLj1EEEvT0_T1_SD_.has_indirect_call, 0
	.section	.AMDGPU.csdata,"",@progbits
; Kernel info:
; codeLenInByte = 204
; TotalNumSgprs: 14
; NumVgprs: 2
; ScratchSize: 0
; MemoryBound: 0
; FloatMode: 240
; IeeeMode: 1
; LDSByteSize: 0 bytes/workgroup (compile time only)
; SGPRBlocks: 0
; VGPRBlocks: 0
; NumSGPRsForWavesPerEU: 14
; NumVGPRsForWavesPerEU: 2
; NamedBarCnt: 0
; Occupancy: 16
; WaveLimiterHint : 0
; COMPUTE_PGM_RSRC2:SCRATCH_EN: 0
; COMPUTE_PGM_RSRC2:USER_SGPR: 2
; COMPUTE_PGM_RSRC2:TRAP_HANDLER: 0
; COMPUTE_PGM_RSRC2:TGID_X_EN: 1
; COMPUTE_PGM_RSRC2:TGID_Y_EN: 0
; COMPUTE_PGM_RSRC2:TGID_Z_EN: 0
; COMPUTE_PGM_RSRC2:TIDIG_COMP_CNT: 0
	.section	.text._ZN7rocprim17ROCPRIM_400000_NS6detail17trampoline_kernelINS0_14default_configENS1_27lower_bound_config_selectorIilEEZNS1_14transform_implILb0ES3_S5_N6thrust23THRUST_200600_302600_NS6detail15normal_iteratorINS8_7pointerIiNS8_11hip_rocprim3tagENS8_11use_defaultESE_EEEENSA_INSB_IlSD_SE_SE_EEEEZNS1_13binary_searchIS3_S5_NSA_INSB_IiSD_RiSE_EEEESG_SI_NS1_21lower_bound_search_opENS9_16wrapped_functionINS8_7greaterIiEEbEEEE10hipError_tPvRmT1_T2_T3_mmT4_T5_P12ihipStream_tbEUlRKiE_EESS_SW_SX_mSY_S11_bEUlT_E_NS1_11comp_targetILNS1_3genE0ELNS1_11target_archE4294967295ELNS1_3gpuE0ELNS1_3repE0EEENS1_30default_config_static_selectorELNS0_4arch9wavefront6targetE0EEEvSV_,"axG",@progbits,_ZN7rocprim17ROCPRIM_400000_NS6detail17trampoline_kernelINS0_14default_configENS1_27lower_bound_config_selectorIilEEZNS1_14transform_implILb0ES3_S5_N6thrust23THRUST_200600_302600_NS6detail15normal_iteratorINS8_7pointerIiNS8_11hip_rocprim3tagENS8_11use_defaultESE_EEEENSA_INSB_IlSD_SE_SE_EEEEZNS1_13binary_searchIS3_S5_NSA_INSB_IiSD_RiSE_EEEESG_SI_NS1_21lower_bound_search_opENS9_16wrapped_functionINS8_7greaterIiEEbEEEE10hipError_tPvRmT1_T2_T3_mmT4_T5_P12ihipStream_tbEUlRKiE_EESS_SW_SX_mSY_S11_bEUlT_E_NS1_11comp_targetILNS1_3genE0ELNS1_11target_archE4294967295ELNS1_3gpuE0ELNS1_3repE0EEENS1_30default_config_static_selectorELNS0_4arch9wavefront6targetE0EEEvSV_,comdat
	.protected	_ZN7rocprim17ROCPRIM_400000_NS6detail17trampoline_kernelINS0_14default_configENS1_27lower_bound_config_selectorIilEEZNS1_14transform_implILb0ES3_S5_N6thrust23THRUST_200600_302600_NS6detail15normal_iteratorINS8_7pointerIiNS8_11hip_rocprim3tagENS8_11use_defaultESE_EEEENSA_INSB_IlSD_SE_SE_EEEEZNS1_13binary_searchIS3_S5_NSA_INSB_IiSD_RiSE_EEEESG_SI_NS1_21lower_bound_search_opENS9_16wrapped_functionINS8_7greaterIiEEbEEEE10hipError_tPvRmT1_T2_T3_mmT4_T5_P12ihipStream_tbEUlRKiE_EESS_SW_SX_mSY_S11_bEUlT_E_NS1_11comp_targetILNS1_3genE0ELNS1_11target_archE4294967295ELNS1_3gpuE0ELNS1_3repE0EEENS1_30default_config_static_selectorELNS0_4arch9wavefront6targetE0EEEvSV_ ; -- Begin function _ZN7rocprim17ROCPRIM_400000_NS6detail17trampoline_kernelINS0_14default_configENS1_27lower_bound_config_selectorIilEEZNS1_14transform_implILb0ES3_S5_N6thrust23THRUST_200600_302600_NS6detail15normal_iteratorINS8_7pointerIiNS8_11hip_rocprim3tagENS8_11use_defaultESE_EEEENSA_INSB_IlSD_SE_SE_EEEEZNS1_13binary_searchIS3_S5_NSA_INSB_IiSD_RiSE_EEEESG_SI_NS1_21lower_bound_search_opENS9_16wrapped_functionINS8_7greaterIiEEbEEEE10hipError_tPvRmT1_T2_T3_mmT4_T5_P12ihipStream_tbEUlRKiE_EESS_SW_SX_mSY_S11_bEUlT_E_NS1_11comp_targetILNS1_3genE0ELNS1_11target_archE4294967295ELNS1_3gpuE0ELNS1_3repE0EEENS1_30default_config_static_selectorELNS0_4arch9wavefront6targetE0EEEvSV_
	.globl	_ZN7rocprim17ROCPRIM_400000_NS6detail17trampoline_kernelINS0_14default_configENS1_27lower_bound_config_selectorIilEEZNS1_14transform_implILb0ES3_S5_N6thrust23THRUST_200600_302600_NS6detail15normal_iteratorINS8_7pointerIiNS8_11hip_rocprim3tagENS8_11use_defaultESE_EEEENSA_INSB_IlSD_SE_SE_EEEEZNS1_13binary_searchIS3_S5_NSA_INSB_IiSD_RiSE_EEEESG_SI_NS1_21lower_bound_search_opENS9_16wrapped_functionINS8_7greaterIiEEbEEEE10hipError_tPvRmT1_T2_T3_mmT4_T5_P12ihipStream_tbEUlRKiE_EESS_SW_SX_mSY_S11_bEUlT_E_NS1_11comp_targetILNS1_3genE0ELNS1_11target_archE4294967295ELNS1_3gpuE0ELNS1_3repE0EEENS1_30default_config_static_selectorELNS0_4arch9wavefront6targetE0EEEvSV_
	.p2align	8
	.type	_ZN7rocprim17ROCPRIM_400000_NS6detail17trampoline_kernelINS0_14default_configENS1_27lower_bound_config_selectorIilEEZNS1_14transform_implILb0ES3_S5_N6thrust23THRUST_200600_302600_NS6detail15normal_iteratorINS8_7pointerIiNS8_11hip_rocprim3tagENS8_11use_defaultESE_EEEENSA_INSB_IlSD_SE_SE_EEEEZNS1_13binary_searchIS3_S5_NSA_INSB_IiSD_RiSE_EEEESG_SI_NS1_21lower_bound_search_opENS9_16wrapped_functionINS8_7greaterIiEEbEEEE10hipError_tPvRmT1_T2_T3_mmT4_T5_P12ihipStream_tbEUlRKiE_EESS_SW_SX_mSY_S11_bEUlT_E_NS1_11comp_targetILNS1_3genE0ELNS1_11target_archE4294967295ELNS1_3gpuE0ELNS1_3repE0EEENS1_30default_config_static_selectorELNS0_4arch9wavefront6targetE0EEEvSV_,@function
_ZN7rocprim17ROCPRIM_400000_NS6detail17trampoline_kernelINS0_14default_configENS1_27lower_bound_config_selectorIilEEZNS1_14transform_implILb0ES3_S5_N6thrust23THRUST_200600_302600_NS6detail15normal_iteratorINS8_7pointerIiNS8_11hip_rocprim3tagENS8_11use_defaultESE_EEEENSA_INSB_IlSD_SE_SE_EEEEZNS1_13binary_searchIS3_S5_NSA_INSB_IiSD_RiSE_EEEESG_SI_NS1_21lower_bound_search_opENS9_16wrapped_functionINS8_7greaterIiEEbEEEE10hipError_tPvRmT1_T2_T3_mmT4_T5_P12ihipStream_tbEUlRKiE_EESS_SW_SX_mSY_S11_bEUlT_E_NS1_11comp_targetILNS1_3genE0ELNS1_11target_archE4294967295ELNS1_3gpuE0ELNS1_3repE0EEENS1_30default_config_static_selectorELNS0_4arch9wavefront6targetE0EEEvSV_: ; @_ZN7rocprim17ROCPRIM_400000_NS6detail17trampoline_kernelINS0_14default_configENS1_27lower_bound_config_selectorIilEEZNS1_14transform_implILb0ES3_S5_N6thrust23THRUST_200600_302600_NS6detail15normal_iteratorINS8_7pointerIiNS8_11hip_rocprim3tagENS8_11use_defaultESE_EEEENSA_INSB_IlSD_SE_SE_EEEEZNS1_13binary_searchIS3_S5_NSA_INSB_IiSD_RiSE_EEEESG_SI_NS1_21lower_bound_search_opENS9_16wrapped_functionINS8_7greaterIiEEbEEEE10hipError_tPvRmT1_T2_T3_mmT4_T5_P12ihipStream_tbEUlRKiE_EESS_SW_SX_mSY_S11_bEUlT_E_NS1_11comp_targetILNS1_3genE0ELNS1_11target_archE4294967295ELNS1_3gpuE0ELNS1_3repE0EEENS1_30default_config_static_selectorELNS0_4arch9wavefront6targetE0EEEvSV_
; %bb.0:
	s_clause 0x3
	s_load_b128 s[12:15], s[0:1], 0x0
	s_load_b128 s[4:7], s[0:1], 0x18
	s_load_b32 s16, s[0:1], 0x38
	s_load_b64 s[8:9], s[0:1], 0x28
	s_bfe_u32 s2, ttmp6, 0x4000c
	s_and_b32 s3, ttmp6, 15
	s_add_co_i32 s2, s2, 1
	s_getreg_b32 s10, hwreg(HW_REG_IB_STS2, 6, 4)
	s_mul_i32 s2, ttmp9, s2
	s_delay_alu instid0(SALU_CYCLE_1)
	s_add_co_i32 s17, s3, s2
	s_wait_kmcnt 0x0
	s_lshl_b64 s[2:3], s[14:15], 2
	s_lshl_b64 s[14:15], s[14:15], 3
	s_cmp_eq_u32 s10, 0
	s_add_nc_u64 s[10:11], s[12:13], s[2:3]
	s_cselect_b32 s12, ttmp9, s17
	s_add_co_i32 s16, s16, -1
	s_add_nc_u64 s[2:3], s[4:5], s[14:15]
	s_lshl_b32 s4, s12, 8
	s_mov_b32 s5, 0
	s_cmp_lg_u32 s12, s16
	s_mov_b32 s12, -1
	s_cbranch_scc0 .LBB68_7
; %bb.1:
	s_cmp_eq_u64 s[8:9], 0
	s_cbranch_scc1 .LBB68_5
; %bb.2:
	s_lshl_b64 s[12:13], s[4:5], 2
	v_mov_b64_e32 v[2:3], 0
	s_add_nc_u64 s[12:13], s[10:11], s[12:13]
	v_mov_b64_e32 v[4:5], s[8:9]
	flat_load_b32 v1, v0, s[12:13] scale_offset
	s_wait_xcnt 0x0
	s_mov_b32 s12, 0
.LBB68_3:                               ; =>This Inner Loop Header: Depth=1
	v_sub_nc_u64_e32 v[6:7], v[4:5], v[2:3]
	s_delay_alu instid0(VALU_DEP_1) | instskip(SKIP_1) | instid1(VALU_DEP_2)
	v_lshrrev_b64 v[8:9], 1, v[6:7]
	v_lshrrev_b64 v[6:7], 6, v[6:7]
	v_add_nc_u64_e32 v[8:9], v[8:9], v[2:3]
	s_delay_alu instid0(VALU_DEP_1) | instskip(NEXT) | instid1(VALU_DEP_1)
	v_add_nc_u64_e32 v[6:7], v[8:9], v[6:7]
	v_lshl_add_u64 v[8:9], v[6:7], 2, s[6:7]
	global_load_b32 v10, v[8:9], off
	s_wait_xcnt 0x0
	v_add_nc_u64_e32 v[8:9], 1, v[6:7]
	s_wait_loadcnt_dscnt 0x0
	v_cmp_gt_i32_e32 vcc_lo, v10, v1
	v_dual_cndmask_b32 v5, v7, v5 :: v_dual_cndmask_b32 v4, v6, v4
	s_delay_alu instid0(VALU_DEP_3) | instskip(NEXT) | instid1(VALU_DEP_1)
	v_dual_cndmask_b32 v3, v3, v9 :: v_dual_cndmask_b32 v2, v2, v8
	v_cmp_ge_u64_e32 vcc_lo, v[2:3], v[4:5]
	s_or_b32 s12, vcc_lo, s12
	s_delay_alu instid0(SALU_CYCLE_1)
	s_and_not1_b32 exec_lo, exec_lo, s12
	s_cbranch_execnz .LBB68_3
; %bb.4:
	s_or_b32 exec_lo, exec_lo, s12
	s_branch .LBB68_6
.LBB68_5:
	v_mov_b64_e32 v[2:3], 0
.LBB68_6:
	s_lshl_b64 s[12:13], s[4:5], 3
	s_delay_alu instid0(SALU_CYCLE_1)
	s_add_nc_u64 s[14:15], s[2:3], s[12:13]
	s_mov_b32 s12, 0
	flat_store_b64 v0, v[2:3], s[14:15] scale_offset
.LBB68_7:
	s_and_b32 vcc_lo, exec_lo, s12
	s_cbranch_vccz .LBB68_16
; %bb.8:
	s_load_b32 s0, s[0:1], 0x10
                                        ; implicit-def: $vgpr1
	s_wait_kmcnt 0x0
	s_sub_co_i32 s1, s0, s4
	s_delay_alu instid0(SALU_CYCLE_1)
	v_cmp_le_u32_e64 s0, s1, v0
	v_cmp_gt_u32_e32 vcc_lo, s1, v0
	s_and_saveexec_b32 s1, vcc_lo
	s_cbranch_execz .LBB68_10
; %bb.9:
	s_lshl_b64 s[12:13], s[4:5], 2
	s_delay_alu instid0(SALU_CYCLE_1)
	s_add_nc_u64 s[10:11], s[10:11], s[12:13]
	flat_load_b32 v1, v0, s[10:11] scale_offset
.LBB68_10:
	s_wait_xcnt 0x0
	s_or_b32 exec_lo, exec_lo, s1
	v_mov_b64_e32 v[2:3], 0
	s_cmp_lg_u64 s[8:9], 0
	s_cselect_b32 s1, -1, 0
	s_xor_b32 s0, s0, -1
	s_delay_alu instid0(SALU_CYCLE_1) | instskip(NEXT) | instid1(SALU_CYCLE_1)
	s_and_b32 s0, s0, s1
	s_and_saveexec_b32 s1, s0
	s_cbranch_execz .LBB68_14
; %bb.11:
	v_mov_b64_e32 v[2:3], 0
	v_mov_b64_e32 v[4:5], s[8:9]
	s_mov_b32 s8, 0
.LBB68_12:                              ; =>This Inner Loop Header: Depth=1
	s_delay_alu instid0(VALU_DEP_1) | instskip(NEXT) | instid1(VALU_DEP_1)
	v_sub_nc_u64_e32 v[6:7], v[4:5], v[2:3]
	v_lshrrev_b64 v[8:9], 1, v[6:7]
	v_lshrrev_b64 v[6:7], 6, v[6:7]
	s_delay_alu instid0(VALU_DEP_2) | instskip(NEXT) | instid1(VALU_DEP_1)
	v_add_nc_u64_e32 v[8:9], v[8:9], v[2:3]
	v_add_nc_u64_e32 v[6:7], v[8:9], v[6:7]
	s_delay_alu instid0(VALU_DEP_1)
	v_lshl_add_u64 v[8:9], v[6:7], 2, s[6:7]
	global_load_b32 v10, v[8:9], off
	s_wait_xcnt 0x0
	v_add_nc_u64_e32 v[8:9], 1, v[6:7]
	s_wait_loadcnt_dscnt 0x0
	v_cmp_gt_i32_e64 s0, v10, v1
	s_delay_alu instid0(VALU_DEP_1) | instskip(NEXT) | instid1(VALU_DEP_3)
	v_dual_cndmask_b32 v5, v7, v5, s0 :: v_dual_cndmask_b32 v4, v6, v4, s0
	v_dual_cndmask_b32 v3, v3, v9, s0 :: v_dual_cndmask_b32 v2, v2, v8, s0
	s_delay_alu instid0(VALU_DEP_1) | instskip(SKIP_1) | instid1(SALU_CYCLE_1)
	v_cmp_ge_u64_e64 s0, v[2:3], v[4:5]
	s_or_b32 s8, s0, s8
	s_and_not1_b32 exec_lo, exec_lo, s8
	s_cbranch_execnz .LBB68_12
; %bb.13:
	s_or_b32 exec_lo, exec_lo, s8
.LBB68_14:
	s_delay_alu instid0(SALU_CYCLE_1)
	s_or_b32 exec_lo, exec_lo, s1
	s_and_saveexec_b32 s0, vcc_lo
	s_cbranch_execz .LBB68_16
; %bb.15:
	s_lshl_b64 s[0:1], s[4:5], 3
	s_delay_alu instid0(SALU_CYCLE_1)
	s_add_nc_u64 s[0:1], s[2:3], s[0:1]
	flat_store_b64 v0, v[2:3], s[0:1] scale_offset
.LBB68_16:
	s_endpgm
	.section	.rodata,"a",@progbits
	.p2align	6, 0x0
	.amdhsa_kernel _ZN7rocprim17ROCPRIM_400000_NS6detail17trampoline_kernelINS0_14default_configENS1_27lower_bound_config_selectorIilEEZNS1_14transform_implILb0ES3_S5_N6thrust23THRUST_200600_302600_NS6detail15normal_iteratorINS8_7pointerIiNS8_11hip_rocprim3tagENS8_11use_defaultESE_EEEENSA_INSB_IlSD_SE_SE_EEEEZNS1_13binary_searchIS3_S5_NSA_INSB_IiSD_RiSE_EEEESG_SI_NS1_21lower_bound_search_opENS9_16wrapped_functionINS8_7greaterIiEEbEEEE10hipError_tPvRmT1_T2_T3_mmT4_T5_P12ihipStream_tbEUlRKiE_EESS_SW_SX_mSY_S11_bEUlT_E_NS1_11comp_targetILNS1_3genE0ELNS1_11target_archE4294967295ELNS1_3gpuE0ELNS1_3repE0EEENS1_30default_config_static_selectorELNS0_4arch9wavefront6targetE0EEEvSV_
		.amdhsa_group_segment_fixed_size 0
		.amdhsa_private_segment_fixed_size 0
		.amdhsa_kernarg_size 312
		.amdhsa_user_sgpr_count 2
		.amdhsa_user_sgpr_dispatch_ptr 0
		.amdhsa_user_sgpr_queue_ptr 0
		.amdhsa_user_sgpr_kernarg_segment_ptr 1
		.amdhsa_user_sgpr_dispatch_id 0
		.amdhsa_user_sgpr_kernarg_preload_length 0
		.amdhsa_user_sgpr_kernarg_preload_offset 0
		.amdhsa_user_sgpr_private_segment_size 0
		.amdhsa_wavefront_size32 1
		.amdhsa_uses_dynamic_stack 0
		.amdhsa_enable_private_segment 0
		.amdhsa_system_sgpr_workgroup_id_x 1
		.amdhsa_system_sgpr_workgroup_id_y 0
		.amdhsa_system_sgpr_workgroup_id_z 0
		.amdhsa_system_sgpr_workgroup_info 0
		.amdhsa_system_vgpr_workitem_id 0
		.amdhsa_next_free_vgpr 11
		.amdhsa_next_free_sgpr 18
		.amdhsa_named_barrier_count 0
		.amdhsa_reserve_vcc 1
		.amdhsa_float_round_mode_32 0
		.amdhsa_float_round_mode_16_64 0
		.amdhsa_float_denorm_mode_32 3
		.amdhsa_float_denorm_mode_16_64 3
		.amdhsa_fp16_overflow 0
		.amdhsa_memory_ordered 1
		.amdhsa_forward_progress 1
		.amdhsa_inst_pref_size 5
		.amdhsa_round_robin_scheduling 0
		.amdhsa_exception_fp_ieee_invalid_op 0
		.amdhsa_exception_fp_denorm_src 0
		.amdhsa_exception_fp_ieee_div_zero 0
		.amdhsa_exception_fp_ieee_overflow 0
		.amdhsa_exception_fp_ieee_underflow 0
		.amdhsa_exception_fp_ieee_inexact 0
		.amdhsa_exception_int_div_zero 0
	.end_amdhsa_kernel
	.section	.text._ZN7rocprim17ROCPRIM_400000_NS6detail17trampoline_kernelINS0_14default_configENS1_27lower_bound_config_selectorIilEEZNS1_14transform_implILb0ES3_S5_N6thrust23THRUST_200600_302600_NS6detail15normal_iteratorINS8_7pointerIiNS8_11hip_rocprim3tagENS8_11use_defaultESE_EEEENSA_INSB_IlSD_SE_SE_EEEEZNS1_13binary_searchIS3_S5_NSA_INSB_IiSD_RiSE_EEEESG_SI_NS1_21lower_bound_search_opENS9_16wrapped_functionINS8_7greaterIiEEbEEEE10hipError_tPvRmT1_T2_T3_mmT4_T5_P12ihipStream_tbEUlRKiE_EESS_SW_SX_mSY_S11_bEUlT_E_NS1_11comp_targetILNS1_3genE0ELNS1_11target_archE4294967295ELNS1_3gpuE0ELNS1_3repE0EEENS1_30default_config_static_selectorELNS0_4arch9wavefront6targetE0EEEvSV_,"axG",@progbits,_ZN7rocprim17ROCPRIM_400000_NS6detail17trampoline_kernelINS0_14default_configENS1_27lower_bound_config_selectorIilEEZNS1_14transform_implILb0ES3_S5_N6thrust23THRUST_200600_302600_NS6detail15normal_iteratorINS8_7pointerIiNS8_11hip_rocprim3tagENS8_11use_defaultESE_EEEENSA_INSB_IlSD_SE_SE_EEEEZNS1_13binary_searchIS3_S5_NSA_INSB_IiSD_RiSE_EEEESG_SI_NS1_21lower_bound_search_opENS9_16wrapped_functionINS8_7greaterIiEEbEEEE10hipError_tPvRmT1_T2_T3_mmT4_T5_P12ihipStream_tbEUlRKiE_EESS_SW_SX_mSY_S11_bEUlT_E_NS1_11comp_targetILNS1_3genE0ELNS1_11target_archE4294967295ELNS1_3gpuE0ELNS1_3repE0EEENS1_30default_config_static_selectorELNS0_4arch9wavefront6targetE0EEEvSV_,comdat
.Lfunc_end68:
	.size	_ZN7rocprim17ROCPRIM_400000_NS6detail17trampoline_kernelINS0_14default_configENS1_27lower_bound_config_selectorIilEEZNS1_14transform_implILb0ES3_S5_N6thrust23THRUST_200600_302600_NS6detail15normal_iteratorINS8_7pointerIiNS8_11hip_rocprim3tagENS8_11use_defaultESE_EEEENSA_INSB_IlSD_SE_SE_EEEEZNS1_13binary_searchIS3_S5_NSA_INSB_IiSD_RiSE_EEEESG_SI_NS1_21lower_bound_search_opENS9_16wrapped_functionINS8_7greaterIiEEbEEEE10hipError_tPvRmT1_T2_T3_mmT4_T5_P12ihipStream_tbEUlRKiE_EESS_SW_SX_mSY_S11_bEUlT_E_NS1_11comp_targetILNS1_3genE0ELNS1_11target_archE4294967295ELNS1_3gpuE0ELNS1_3repE0EEENS1_30default_config_static_selectorELNS0_4arch9wavefront6targetE0EEEvSV_, .Lfunc_end68-_ZN7rocprim17ROCPRIM_400000_NS6detail17trampoline_kernelINS0_14default_configENS1_27lower_bound_config_selectorIilEEZNS1_14transform_implILb0ES3_S5_N6thrust23THRUST_200600_302600_NS6detail15normal_iteratorINS8_7pointerIiNS8_11hip_rocprim3tagENS8_11use_defaultESE_EEEENSA_INSB_IlSD_SE_SE_EEEEZNS1_13binary_searchIS3_S5_NSA_INSB_IiSD_RiSE_EEEESG_SI_NS1_21lower_bound_search_opENS9_16wrapped_functionINS8_7greaterIiEEbEEEE10hipError_tPvRmT1_T2_T3_mmT4_T5_P12ihipStream_tbEUlRKiE_EESS_SW_SX_mSY_S11_bEUlT_E_NS1_11comp_targetILNS1_3genE0ELNS1_11target_archE4294967295ELNS1_3gpuE0ELNS1_3repE0EEENS1_30default_config_static_selectorELNS0_4arch9wavefront6targetE0EEEvSV_
                                        ; -- End function
	.set _ZN7rocprim17ROCPRIM_400000_NS6detail17trampoline_kernelINS0_14default_configENS1_27lower_bound_config_selectorIilEEZNS1_14transform_implILb0ES3_S5_N6thrust23THRUST_200600_302600_NS6detail15normal_iteratorINS8_7pointerIiNS8_11hip_rocprim3tagENS8_11use_defaultESE_EEEENSA_INSB_IlSD_SE_SE_EEEEZNS1_13binary_searchIS3_S5_NSA_INSB_IiSD_RiSE_EEEESG_SI_NS1_21lower_bound_search_opENS9_16wrapped_functionINS8_7greaterIiEEbEEEE10hipError_tPvRmT1_T2_T3_mmT4_T5_P12ihipStream_tbEUlRKiE_EESS_SW_SX_mSY_S11_bEUlT_E_NS1_11comp_targetILNS1_3genE0ELNS1_11target_archE4294967295ELNS1_3gpuE0ELNS1_3repE0EEENS1_30default_config_static_selectorELNS0_4arch9wavefront6targetE0EEEvSV_.num_vgpr, 11
	.set _ZN7rocprim17ROCPRIM_400000_NS6detail17trampoline_kernelINS0_14default_configENS1_27lower_bound_config_selectorIilEEZNS1_14transform_implILb0ES3_S5_N6thrust23THRUST_200600_302600_NS6detail15normal_iteratorINS8_7pointerIiNS8_11hip_rocprim3tagENS8_11use_defaultESE_EEEENSA_INSB_IlSD_SE_SE_EEEEZNS1_13binary_searchIS3_S5_NSA_INSB_IiSD_RiSE_EEEESG_SI_NS1_21lower_bound_search_opENS9_16wrapped_functionINS8_7greaterIiEEbEEEE10hipError_tPvRmT1_T2_T3_mmT4_T5_P12ihipStream_tbEUlRKiE_EESS_SW_SX_mSY_S11_bEUlT_E_NS1_11comp_targetILNS1_3genE0ELNS1_11target_archE4294967295ELNS1_3gpuE0ELNS1_3repE0EEENS1_30default_config_static_selectorELNS0_4arch9wavefront6targetE0EEEvSV_.num_agpr, 0
	.set _ZN7rocprim17ROCPRIM_400000_NS6detail17trampoline_kernelINS0_14default_configENS1_27lower_bound_config_selectorIilEEZNS1_14transform_implILb0ES3_S5_N6thrust23THRUST_200600_302600_NS6detail15normal_iteratorINS8_7pointerIiNS8_11hip_rocprim3tagENS8_11use_defaultESE_EEEENSA_INSB_IlSD_SE_SE_EEEEZNS1_13binary_searchIS3_S5_NSA_INSB_IiSD_RiSE_EEEESG_SI_NS1_21lower_bound_search_opENS9_16wrapped_functionINS8_7greaterIiEEbEEEE10hipError_tPvRmT1_T2_T3_mmT4_T5_P12ihipStream_tbEUlRKiE_EESS_SW_SX_mSY_S11_bEUlT_E_NS1_11comp_targetILNS1_3genE0ELNS1_11target_archE4294967295ELNS1_3gpuE0ELNS1_3repE0EEENS1_30default_config_static_selectorELNS0_4arch9wavefront6targetE0EEEvSV_.numbered_sgpr, 18
	.set _ZN7rocprim17ROCPRIM_400000_NS6detail17trampoline_kernelINS0_14default_configENS1_27lower_bound_config_selectorIilEEZNS1_14transform_implILb0ES3_S5_N6thrust23THRUST_200600_302600_NS6detail15normal_iteratorINS8_7pointerIiNS8_11hip_rocprim3tagENS8_11use_defaultESE_EEEENSA_INSB_IlSD_SE_SE_EEEEZNS1_13binary_searchIS3_S5_NSA_INSB_IiSD_RiSE_EEEESG_SI_NS1_21lower_bound_search_opENS9_16wrapped_functionINS8_7greaterIiEEbEEEE10hipError_tPvRmT1_T2_T3_mmT4_T5_P12ihipStream_tbEUlRKiE_EESS_SW_SX_mSY_S11_bEUlT_E_NS1_11comp_targetILNS1_3genE0ELNS1_11target_archE4294967295ELNS1_3gpuE0ELNS1_3repE0EEENS1_30default_config_static_selectorELNS0_4arch9wavefront6targetE0EEEvSV_.num_named_barrier, 0
	.set _ZN7rocprim17ROCPRIM_400000_NS6detail17trampoline_kernelINS0_14default_configENS1_27lower_bound_config_selectorIilEEZNS1_14transform_implILb0ES3_S5_N6thrust23THRUST_200600_302600_NS6detail15normal_iteratorINS8_7pointerIiNS8_11hip_rocprim3tagENS8_11use_defaultESE_EEEENSA_INSB_IlSD_SE_SE_EEEEZNS1_13binary_searchIS3_S5_NSA_INSB_IiSD_RiSE_EEEESG_SI_NS1_21lower_bound_search_opENS9_16wrapped_functionINS8_7greaterIiEEbEEEE10hipError_tPvRmT1_T2_T3_mmT4_T5_P12ihipStream_tbEUlRKiE_EESS_SW_SX_mSY_S11_bEUlT_E_NS1_11comp_targetILNS1_3genE0ELNS1_11target_archE4294967295ELNS1_3gpuE0ELNS1_3repE0EEENS1_30default_config_static_selectorELNS0_4arch9wavefront6targetE0EEEvSV_.private_seg_size, 0
	.set _ZN7rocprim17ROCPRIM_400000_NS6detail17trampoline_kernelINS0_14default_configENS1_27lower_bound_config_selectorIilEEZNS1_14transform_implILb0ES3_S5_N6thrust23THRUST_200600_302600_NS6detail15normal_iteratorINS8_7pointerIiNS8_11hip_rocprim3tagENS8_11use_defaultESE_EEEENSA_INSB_IlSD_SE_SE_EEEEZNS1_13binary_searchIS3_S5_NSA_INSB_IiSD_RiSE_EEEESG_SI_NS1_21lower_bound_search_opENS9_16wrapped_functionINS8_7greaterIiEEbEEEE10hipError_tPvRmT1_T2_T3_mmT4_T5_P12ihipStream_tbEUlRKiE_EESS_SW_SX_mSY_S11_bEUlT_E_NS1_11comp_targetILNS1_3genE0ELNS1_11target_archE4294967295ELNS1_3gpuE0ELNS1_3repE0EEENS1_30default_config_static_selectorELNS0_4arch9wavefront6targetE0EEEvSV_.uses_vcc, 1
	.set _ZN7rocprim17ROCPRIM_400000_NS6detail17trampoline_kernelINS0_14default_configENS1_27lower_bound_config_selectorIilEEZNS1_14transform_implILb0ES3_S5_N6thrust23THRUST_200600_302600_NS6detail15normal_iteratorINS8_7pointerIiNS8_11hip_rocprim3tagENS8_11use_defaultESE_EEEENSA_INSB_IlSD_SE_SE_EEEEZNS1_13binary_searchIS3_S5_NSA_INSB_IiSD_RiSE_EEEESG_SI_NS1_21lower_bound_search_opENS9_16wrapped_functionINS8_7greaterIiEEbEEEE10hipError_tPvRmT1_T2_T3_mmT4_T5_P12ihipStream_tbEUlRKiE_EESS_SW_SX_mSY_S11_bEUlT_E_NS1_11comp_targetILNS1_3genE0ELNS1_11target_archE4294967295ELNS1_3gpuE0ELNS1_3repE0EEENS1_30default_config_static_selectorELNS0_4arch9wavefront6targetE0EEEvSV_.uses_flat_scratch, 0
	.set _ZN7rocprim17ROCPRIM_400000_NS6detail17trampoline_kernelINS0_14default_configENS1_27lower_bound_config_selectorIilEEZNS1_14transform_implILb0ES3_S5_N6thrust23THRUST_200600_302600_NS6detail15normal_iteratorINS8_7pointerIiNS8_11hip_rocprim3tagENS8_11use_defaultESE_EEEENSA_INSB_IlSD_SE_SE_EEEEZNS1_13binary_searchIS3_S5_NSA_INSB_IiSD_RiSE_EEEESG_SI_NS1_21lower_bound_search_opENS9_16wrapped_functionINS8_7greaterIiEEbEEEE10hipError_tPvRmT1_T2_T3_mmT4_T5_P12ihipStream_tbEUlRKiE_EESS_SW_SX_mSY_S11_bEUlT_E_NS1_11comp_targetILNS1_3genE0ELNS1_11target_archE4294967295ELNS1_3gpuE0ELNS1_3repE0EEENS1_30default_config_static_selectorELNS0_4arch9wavefront6targetE0EEEvSV_.has_dyn_sized_stack, 0
	.set _ZN7rocprim17ROCPRIM_400000_NS6detail17trampoline_kernelINS0_14default_configENS1_27lower_bound_config_selectorIilEEZNS1_14transform_implILb0ES3_S5_N6thrust23THRUST_200600_302600_NS6detail15normal_iteratorINS8_7pointerIiNS8_11hip_rocprim3tagENS8_11use_defaultESE_EEEENSA_INSB_IlSD_SE_SE_EEEEZNS1_13binary_searchIS3_S5_NSA_INSB_IiSD_RiSE_EEEESG_SI_NS1_21lower_bound_search_opENS9_16wrapped_functionINS8_7greaterIiEEbEEEE10hipError_tPvRmT1_T2_T3_mmT4_T5_P12ihipStream_tbEUlRKiE_EESS_SW_SX_mSY_S11_bEUlT_E_NS1_11comp_targetILNS1_3genE0ELNS1_11target_archE4294967295ELNS1_3gpuE0ELNS1_3repE0EEENS1_30default_config_static_selectorELNS0_4arch9wavefront6targetE0EEEvSV_.has_recursion, 0
	.set _ZN7rocprim17ROCPRIM_400000_NS6detail17trampoline_kernelINS0_14default_configENS1_27lower_bound_config_selectorIilEEZNS1_14transform_implILb0ES3_S5_N6thrust23THRUST_200600_302600_NS6detail15normal_iteratorINS8_7pointerIiNS8_11hip_rocprim3tagENS8_11use_defaultESE_EEEENSA_INSB_IlSD_SE_SE_EEEEZNS1_13binary_searchIS3_S5_NSA_INSB_IiSD_RiSE_EEEESG_SI_NS1_21lower_bound_search_opENS9_16wrapped_functionINS8_7greaterIiEEbEEEE10hipError_tPvRmT1_T2_T3_mmT4_T5_P12ihipStream_tbEUlRKiE_EESS_SW_SX_mSY_S11_bEUlT_E_NS1_11comp_targetILNS1_3genE0ELNS1_11target_archE4294967295ELNS1_3gpuE0ELNS1_3repE0EEENS1_30default_config_static_selectorELNS0_4arch9wavefront6targetE0EEEvSV_.has_indirect_call, 0
	.section	.AMDGPU.csdata,"",@progbits
; Kernel info:
; codeLenInByte = 620
; TotalNumSgprs: 20
; NumVgprs: 11
; ScratchSize: 0
; MemoryBound: 0
; FloatMode: 240
; IeeeMode: 1
; LDSByteSize: 0 bytes/workgroup (compile time only)
; SGPRBlocks: 0
; VGPRBlocks: 0
; NumSGPRsForWavesPerEU: 20
; NumVGPRsForWavesPerEU: 11
; NamedBarCnt: 0
; Occupancy: 16
; WaveLimiterHint : 0
; COMPUTE_PGM_RSRC2:SCRATCH_EN: 0
; COMPUTE_PGM_RSRC2:USER_SGPR: 2
; COMPUTE_PGM_RSRC2:TRAP_HANDLER: 0
; COMPUTE_PGM_RSRC2:TGID_X_EN: 1
; COMPUTE_PGM_RSRC2:TGID_Y_EN: 0
; COMPUTE_PGM_RSRC2:TGID_Z_EN: 0
; COMPUTE_PGM_RSRC2:TIDIG_COMP_CNT: 0
	.section	.text._ZN7rocprim17ROCPRIM_400000_NS6detail17trampoline_kernelINS0_14default_configENS1_27lower_bound_config_selectorIilEEZNS1_14transform_implILb0ES3_S5_N6thrust23THRUST_200600_302600_NS6detail15normal_iteratorINS8_7pointerIiNS8_11hip_rocprim3tagENS8_11use_defaultESE_EEEENSA_INSB_IlSD_SE_SE_EEEEZNS1_13binary_searchIS3_S5_NSA_INSB_IiSD_RiSE_EEEESG_SI_NS1_21lower_bound_search_opENS9_16wrapped_functionINS8_7greaterIiEEbEEEE10hipError_tPvRmT1_T2_T3_mmT4_T5_P12ihipStream_tbEUlRKiE_EESS_SW_SX_mSY_S11_bEUlT_E_NS1_11comp_targetILNS1_3genE5ELNS1_11target_archE942ELNS1_3gpuE9ELNS1_3repE0EEENS1_30default_config_static_selectorELNS0_4arch9wavefront6targetE0EEEvSV_,"axG",@progbits,_ZN7rocprim17ROCPRIM_400000_NS6detail17trampoline_kernelINS0_14default_configENS1_27lower_bound_config_selectorIilEEZNS1_14transform_implILb0ES3_S5_N6thrust23THRUST_200600_302600_NS6detail15normal_iteratorINS8_7pointerIiNS8_11hip_rocprim3tagENS8_11use_defaultESE_EEEENSA_INSB_IlSD_SE_SE_EEEEZNS1_13binary_searchIS3_S5_NSA_INSB_IiSD_RiSE_EEEESG_SI_NS1_21lower_bound_search_opENS9_16wrapped_functionINS8_7greaterIiEEbEEEE10hipError_tPvRmT1_T2_T3_mmT4_T5_P12ihipStream_tbEUlRKiE_EESS_SW_SX_mSY_S11_bEUlT_E_NS1_11comp_targetILNS1_3genE5ELNS1_11target_archE942ELNS1_3gpuE9ELNS1_3repE0EEENS1_30default_config_static_selectorELNS0_4arch9wavefront6targetE0EEEvSV_,comdat
	.protected	_ZN7rocprim17ROCPRIM_400000_NS6detail17trampoline_kernelINS0_14default_configENS1_27lower_bound_config_selectorIilEEZNS1_14transform_implILb0ES3_S5_N6thrust23THRUST_200600_302600_NS6detail15normal_iteratorINS8_7pointerIiNS8_11hip_rocprim3tagENS8_11use_defaultESE_EEEENSA_INSB_IlSD_SE_SE_EEEEZNS1_13binary_searchIS3_S5_NSA_INSB_IiSD_RiSE_EEEESG_SI_NS1_21lower_bound_search_opENS9_16wrapped_functionINS8_7greaterIiEEbEEEE10hipError_tPvRmT1_T2_T3_mmT4_T5_P12ihipStream_tbEUlRKiE_EESS_SW_SX_mSY_S11_bEUlT_E_NS1_11comp_targetILNS1_3genE5ELNS1_11target_archE942ELNS1_3gpuE9ELNS1_3repE0EEENS1_30default_config_static_selectorELNS0_4arch9wavefront6targetE0EEEvSV_ ; -- Begin function _ZN7rocprim17ROCPRIM_400000_NS6detail17trampoline_kernelINS0_14default_configENS1_27lower_bound_config_selectorIilEEZNS1_14transform_implILb0ES3_S5_N6thrust23THRUST_200600_302600_NS6detail15normal_iteratorINS8_7pointerIiNS8_11hip_rocprim3tagENS8_11use_defaultESE_EEEENSA_INSB_IlSD_SE_SE_EEEEZNS1_13binary_searchIS3_S5_NSA_INSB_IiSD_RiSE_EEEESG_SI_NS1_21lower_bound_search_opENS9_16wrapped_functionINS8_7greaterIiEEbEEEE10hipError_tPvRmT1_T2_T3_mmT4_T5_P12ihipStream_tbEUlRKiE_EESS_SW_SX_mSY_S11_bEUlT_E_NS1_11comp_targetILNS1_3genE5ELNS1_11target_archE942ELNS1_3gpuE9ELNS1_3repE0EEENS1_30default_config_static_selectorELNS0_4arch9wavefront6targetE0EEEvSV_
	.globl	_ZN7rocprim17ROCPRIM_400000_NS6detail17trampoline_kernelINS0_14default_configENS1_27lower_bound_config_selectorIilEEZNS1_14transform_implILb0ES3_S5_N6thrust23THRUST_200600_302600_NS6detail15normal_iteratorINS8_7pointerIiNS8_11hip_rocprim3tagENS8_11use_defaultESE_EEEENSA_INSB_IlSD_SE_SE_EEEEZNS1_13binary_searchIS3_S5_NSA_INSB_IiSD_RiSE_EEEESG_SI_NS1_21lower_bound_search_opENS9_16wrapped_functionINS8_7greaterIiEEbEEEE10hipError_tPvRmT1_T2_T3_mmT4_T5_P12ihipStream_tbEUlRKiE_EESS_SW_SX_mSY_S11_bEUlT_E_NS1_11comp_targetILNS1_3genE5ELNS1_11target_archE942ELNS1_3gpuE9ELNS1_3repE0EEENS1_30default_config_static_selectorELNS0_4arch9wavefront6targetE0EEEvSV_
	.p2align	8
	.type	_ZN7rocprim17ROCPRIM_400000_NS6detail17trampoline_kernelINS0_14default_configENS1_27lower_bound_config_selectorIilEEZNS1_14transform_implILb0ES3_S5_N6thrust23THRUST_200600_302600_NS6detail15normal_iteratorINS8_7pointerIiNS8_11hip_rocprim3tagENS8_11use_defaultESE_EEEENSA_INSB_IlSD_SE_SE_EEEEZNS1_13binary_searchIS3_S5_NSA_INSB_IiSD_RiSE_EEEESG_SI_NS1_21lower_bound_search_opENS9_16wrapped_functionINS8_7greaterIiEEbEEEE10hipError_tPvRmT1_T2_T3_mmT4_T5_P12ihipStream_tbEUlRKiE_EESS_SW_SX_mSY_S11_bEUlT_E_NS1_11comp_targetILNS1_3genE5ELNS1_11target_archE942ELNS1_3gpuE9ELNS1_3repE0EEENS1_30default_config_static_selectorELNS0_4arch9wavefront6targetE0EEEvSV_,@function
_ZN7rocprim17ROCPRIM_400000_NS6detail17trampoline_kernelINS0_14default_configENS1_27lower_bound_config_selectorIilEEZNS1_14transform_implILb0ES3_S5_N6thrust23THRUST_200600_302600_NS6detail15normal_iteratorINS8_7pointerIiNS8_11hip_rocprim3tagENS8_11use_defaultESE_EEEENSA_INSB_IlSD_SE_SE_EEEEZNS1_13binary_searchIS3_S5_NSA_INSB_IiSD_RiSE_EEEESG_SI_NS1_21lower_bound_search_opENS9_16wrapped_functionINS8_7greaterIiEEbEEEE10hipError_tPvRmT1_T2_T3_mmT4_T5_P12ihipStream_tbEUlRKiE_EESS_SW_SX_mSY_S11_bEUlT_E_NS1_11comp_targetILNS1_3genE5ELNS1_11target_archE942ELNS1_3gpuE9ELNS1_3repE0EEENS1_30default_config_static_selectorELNS0_4arch9wavefront6targetE0EEEvSV_: ; @_ZN7rocprim17ROCPRIM_400000_NS6detail17trampoline_kernelINS0_14default_configENS1_27lower_bound_config_selectorIilEEZNS1_14transform_implILb0ES3_S5_N6thrust23THRUST_200600_302600_NS6detail15normal_iteratorINS8_7pointerIiNS8_11hip_rocprim3tagENS8_11use_defaultESE_EEEENSA_INSB_IlSD_SE_SE_EEEEZNS1_13binary_searchIS3_S5_NSA_INSB_IiSD_RiSE_EEEESG_SI_NS1_21lower_bound_search_opENS9_16wrapped_functionINS8_7greaterIiEEbEEEE10hipError_tPvRmT1_T2_T3_mmT4_T5_P12ihipStream_tbEUlRKiE_EESS_SW_SX_mSY_S11_bEUlT_E_NS1_11comp_targetILNS1_3genE5ELNS1_11target_archE942ELNS1_3gpuE9ELNS1_3repE0EEENS1_30default_config_static_selectorELNS0_4arch9wavefront6targetE0EEEvSV_
; %bb.0:
	.section	.rodata,"a",@progbits
	.p2align	6, 0x0
	.amdhsa_kernel _ZN7rocprim17ROCPRIM_400000_NS6detail17trampoline_kernelINS0_14default_configENS1_27lower_bound_config_selectorIilEEZNS1_14transform_implILb0ES3_S5_N6thrust23THRUST_200600_302600_NS6detail15normal_iteratorINS8_7pointerIiNS8_11hip_rocprim3tagENS8_11use_defaultESE_EEEENSA_INSB_IlSD_SE_SE_EEEEZNS1_13binary_searchIS3_S5_NSA_INSB_IiSD_RiSE_EEEESG_SI_NS1_21lower_bound_search_opENS9_16wrapped_functionINS8_7greaterIiEEbEEEE10hipError_tPvRmT1_T2_T3_mmT4_T5_P12ihipStream_tbEUlRKiE_EESS_SW_SX_mSY_S11_bEUlT_E_NS1_11comp_targetILNS1_3genE5ELNS1_11target_archE942ELNS1_3gpuE9ELNS1_3repE0EEENS1_30default_config_static_selectorELNS0_4arch9wavefront6targetE0EEEvSV_
		.amdhsa_group_segment_fixed_size 0
		.amdhsa_private_segment_fixed_size 0
		.amdhsa_kernarg_size 56
		.amdhsa_user_sgpr_count 2
		.amdhsa_user_sgpr_dispatch_ptr 0
		.amdhsa_user_sgpr_queue_ptr 0
		.amdhsa_user_sgpr_kernarg_segment_ptr 1
		.amdhsa_user_sgpr_dispatch_id 0
		.amdhsa_user_sgpr_kernarg_preload_length 0
		.amdhsa_user_sgpr_kernarg_preload_offset 0
		.amdhsa_user_sgpr_private_segment_size 0
		.amdhsa_wavefront_size32 1
		.amdhsa_uses_dynamic_stack 0
		.amdhsa_enable_private_segment 0
		.amdhsa_system_sgpr_workgroup_id_x 1
		.amdhsa_system_sgpr_workgroup_id_y 0
		.amdhsa_system_sgpr_workgroup_id_z 0
		.amdhsa_system_sgpr_workgroup_info 0
		.amdhsa_system_vgpr_workitem_id 0
		.amdhsa_next_free_vgpr 1
		.amdhsa_next_free_sgpr 1
		.amdhsa_named_barrier_count 0
		.amdhsa_reserve_vcc 0
		.amdhsa_float_round_mode_32 0
		.amdhsa_float_round_mode_16_64 0
		.amdhsa_float_denorm_mode_32 3
		.amdhsa_float_denorm_mode_16_64 3
		.amdhsa_fp16_overflow 0
		.amdhsa_memory_ordered 1
		.amdhsa_forward_progress 1
		.amdhsa_inst_pref_size 0
		.amdhsa_round_robin_scheduling 0
		.amdhsa_exception_fp_ieee_invalid_op 0
		.amdhsa_exception_fp_denorm_src 0
		.amdhsa_exception_fp_ieee_div_zero 0
		.amdhsa_exception_fp_ieee_overflow 0
		.amdhsa_exception_fp_ieee_underflow 0
		.amdhsa_exception_fp_ieee_inexact 0
		.amdhsa_exception_int_div_zero 0
	.end_amdhsa_kernel
	.section	.text._ZN7rocprim17ROCPRIM_400000_NS6detail17trampoline_kernelINS0_14default_configENS1_27lower_bound_config_selectorIilEEZNS1_14transform_implILb0ES3_S5_N6thrust23THRUST_200600_302600_NS6detail15normal_iteratorINS8_7pointerIiNS8_11hip_rocprim3tagENS8_11use_defaultESE_EEEENSA_INSB_IlSD_SE_SE_EEEEZNS1_13binary_searchIS3_S5_NSA_INSB_IiSD_RiSE_EEEESG_SI_NS1_21lower_bound_search_opENS9_16wrapped_functionINS8_7greaterIiEEbEEEE10hipError_tPvRmT1_T2_T3_mmT4_T5_P12ihipStream_tbEUlRKiE_EESS_SW_SX_mSY_S11_bEUlT_E_NS1_11comp_targetILNS1_3genE5ELNS1_11target_archE942ELNS1_3gpuE9ELNS1_3repE0EEENS1_30default_config_static_selectorELNS0_4arch9wavefront6targetE0EEEvSV_,"axG",@progbits,_ZN7rocprim17ROCPRIM_400000_NS6detail17trampoline_kernelINS0_14default_configENS1_27lower_bound_config_selectorIilEEZNS1_14transform_implILb0ES3_S5_N6thrust23THRUST_200600_302600_NS6detail15normal_iteratorINS8_7pointerIiNS8_11hip_rocprim3tagENS8_11use_defaultESE_EEEENSA_INSB_IlSD_SE_SE_EEEEZNS1_13binary_searchIS3_S5_NSA_INSB_IiSD_RiSE_EEEESG_SI_NS1_21lower_bound_search_opENS9_16wrapped_functionINS8_7greaterIiEEbEEEE10hipError_tPvRmT1_T2_T3_mmT4_T5_P12ihipStream_tbEUlRKiE_EESS_SW_SX_mSY_S11_bEUlT_E_NS1_11comp_targetILNS1_3genE5ELNS1_11target_archE942ELNS1_3gpuE9ELNS1_3repE0EEENS1_30default_config_static_selectorELNS0_4arch9wavefront6targetE0EEEvSV_,comdat
.Lfunc_end69:
	.size	_ZN7rocprim17ROCPRIM_400000_NS6detail17trampoline_kernelINS0_14default_configENS1_27lower_bound_config_selectorIilEEZNS1_14transform_implILb0ES3_S5_N6thrust23THRUST_200600_302600_NS6detail15normal_iteratorINS8_7pointerIiNS8_11hip_rocprim3tagENS8_11use_defaultESE_EEEENSA_INSB_IlSD_SE_SE_EEEEZNS1_13binary_searchIS3_S5_NSA_INSB_IiSD_RiSE_EEEESG_SI_NS1_21lower_bound_search_opENS9_16wrapped_functionINS8_7greaterIiEEbEEEE10hipError_tPvRmT1_T2_T3_mmT4_T5_P12ihipStream_tbEUlRKiE_EESS_SW_SX_mSY_S11_bEUlT_E_NS1_11comp_targetILNS1_3genE5ELNS1_11target_archE942ELNS1_3gpuE9ELNS1_3repE0EEENS1_30default_config_static_selectorELNS0_4arch9wavefront6targetE0EEEvSV_, .Lfunc_end69-_ZN7rocprim17ROCPRIM_400000_NS6detail17trampoline_kernelINS0_14default_configENS1_27lower_bound_config_selectorIilEEZNS1_14transform_implILb0ES3_S5_N6thrust23THRUST_200600_302600_NS6detail15normal_iteratorINS8_7pointerIiNS8_11hip_rocprim3tagENS8_11use_defaultESE_EEEENSA_INSB_IlSD_SE_SE_EEEEZNS1_13binary_searchIS3_S5_NSA_INSB_IiSD_RiSE_EEEESG_SI_NS1_21lower_bound_search_opENS9_16wrapped_functionINS8_7greaterIiEEbEEEE10hipError_tPvRmT1_T2_T3_mmT4_T5_P12ihipStream_tbEUlRKiE_EESS_SW_SX_mSY_S11_bEUlT_E_NS1_11comp_targetILNS1_3genE5ELNS1_11target_archE942ELNS1_3gpuE9ELNS1_3repE0EEENS1_30default_config_static_selectorELNS0_4arch9wavefront6targetE0EEEvSV_
                                        ; -- End function
	.set _ZN7rocprim17ROCPRIM_400000_NS6detail17trampoline_kernelINS0_14default_configENS1_27lower_bound_config_selectorIilEEZNS1_14transform_implILb0ES3_S5_N6thrust23THRUST_200600_302600_NS6detail15normal_iteratorINS8_7pointerIiNS8_11hip_rocprim3tagENS8_11use_defaultESE_EEEENSA_INSB_IlSD_SE_SE_EEEEZNS1_13binary_searchIS3_S5_NSA_INSB_IiSD_RiSE_EEEESG_SI_NS1_21lower_bound_search_opENS9_16wrapped_functionINS8_7greaterIiEEbEEEE10hipError_tPvRmT1_T2_T3_mmT4_T5_P12ihipStream_tbEUlRKiE_EESS_SW_SX_mSY_S11_bEUlT_E_NS1_11comp_targetILNS1_3genE5ELNS1_11target_archE942ELNS1_3gpuE9ELNS1_3repE0EEENS1_30default_config_static_selectorELNS0_4arch9wavefront6targetE0EEEvSV_.num_vgpr, 0
	.set _ZN7rocprim17ROCPRIM_400000_NS6detail17trampoline_kernelINS0_14default_configENS1_27lower_bound_config_selectorIilEEZNS1_14transform_implILb0ES3_S5_N6thrust23THRUST_200600_302600_NS6detail15normal_iteratorINS8_7pointerIiNS8_11hip_rocprim3tagENS8_11use_defaultESE_EEEENSA_INSB_IlSD_SE_SE_EEEEZNS1_13binary_searchIS3_S5_NSA_INSB_IiSD_RiSE_EEEESG_SI_NS1_21lower_bound_search_opENS9_16wrapped_functionINS8_7greaterIiEEbEEEE10hipError_tPvRmT1_T2_T3_mmT4_T5_P12ihipStream_tbEUlRKiE_EESS_SW_SX_mSY_S11_bEUlT_E_NS1_11comp_targetILNS1_3genE5ELNS1_11target_archE942ELNS1_3gpuE9ELNS1_3repE0EEENS1_30default_config_static_selectorELNS0_4arch9wavefront6targetE0EEEvSV_.num_agpr, 0
	.set _ZN7rocprim17ROCPRIM_400000_NS6detail17trampoline_kernelINS0_14default_configENS1_27lower_bound_config_selectorIilEEZNS1_14transform_implILb0ES3_S5_N6thrust23THRUST_200600_302600_NS6detail15normal_iteratorINS8_7pointerIiNS8_11hip_rocprim3tagENS8_11use_defaultESE_EEEENSA_INSB_IlSD_SE_SE_EEEEZNS1_13binary_searchIS3_S5_NSA_INSB_IiSD_RiSE_EEEESG_SI_NS1_21lower_bound_search_opENS9_16wrapped_functionINS8_7greaterIiEEbEEEE10hipError_tPvRmT1_T2_T3_mmT4_T5_P12ihipStream_tbEUlRKiE_EESS_SW_SX_mSY_S11_bEUlT_E_NS1_11comp_targetILNS1_3genE5ELNS1_11target_archE942ELNS1_3gpuE9ELNS1_3repE0EEENS1_30default_config_static_selectorELNS0_4arch9wavefront6targetE0EEEvSV_.numbered_sgpr, 0
	.set _ZN7rocprim17ROCPRIM_400000_NS6detail17trampoline_kernelINS0_14default_configENS1_27lower_bound_config_selectorIilEEZNS1_14transform_implILb0ES3_S5_N6thrust23THRUST_200600_302600_NS6detail15normal_iteratorINS8_7pointerIiNS8_11hip_rocprim3tagENS8_11use_defaultESE_EEEENSA_INSB_IlSD_SE_SE_EEEEZNS1_13binary_searchIS3_S5_NSA_INSB_IiSD_RiSE_EEEESG_SI_NS1_21lower_bound_search_opENS9_16wrapped_functionINS8_7greaterIiEEbEEEE10hipError_tPvRmT1_T2_T3_mmT4_T5_P12ihipStream_tbEUlRKiE_EESS_SW_SX_mSY_S11_bEUlT_E_NS1_11comp_targetILNS1_3genE5ELNS1_11target_archE942ELNS1_3gpuE9ELNS1_3repE0EEENS1_30default_config_static_selectorELNS0_4arch9wavefront6targetE0EEEvSV_.num_named_barrier, 0
	.set _ZN7rocprim17ROCPRIM_400000_NS6detail17trampoline_kernelINS0_14default_configENS1_27lower_bound_config_selectorIilEEZNS1_14transform_implILb0ES3_S5_N6thrust23THRUST_200600_302600_NS6detail15normal_iteratorINS8_7pointerIiNS8_11hip_rocprim3tagENS8_11use_defaultESE_EEEENSA_INSB_IlSD_SE_SE_EEEEZNS1_13binary_searchIS3_S5_NSA_INSB_IiSD_RiSE_EEEESG_SI_NS1_21lower_bound_search_opENS9_16wrapped_functionINS8_7greaterIiEEbEEEE10hipError_tPvRmT1_T2_T3_mmT4_T5_P12ihipStream_tbEUlRKiE_EESS_SW_SX_mSY_S11_bEUlT_E_NS1_11comp_targetILNS1_3genE5ELNS1_11target_archE942ELNS1_3gpuE9ELNS1_3repE0EEENS1_30default_config_static_selectorELNS0_4arch9wavefront6targetE0EEEvSV_.private_seg_size, 0
	.set _ZN7rocprim17ROCPRIM_400000_NS6detail17trampoline_kernelINS0_14default_configENS1_27lower_bound_config_selectorIilEEZNS1_14transform_implILb0ES3_S5_N6thrust23THRUST_200600_302600_NS6detail15normal_iteratorINS8_7pointerIiNS8_11hip_rocprim3tagENS8_11use_defaultESE_EEEENSA_INSB_IlSD_SE_SE_EEEEZNS1_13binary_searchIS3_S5_NSA_INSB_IiSD_RiSE_EEEESG_SI_NS1_21lower_bound_search_opENS9_16wrapped_functionINS8_7greaterIiEEbEEEE10hipError_tPvRmT1_T2_T3_mmT4_T5_P12ihipStream_tbEUlRKiE_EESS_SW_SX_mSY_S11_bEUlT_E_NS1_11comp_targetILNS1_3genE5ELNS1_11target_archE942ELNS1_3gpuE9ELNS1_3repE0EEENS1_30default_config_static_selectorELNS0_4arch9wavefront6targetE0EEEvSV_.uses_vcc, 0
	.set _ZN7rocprim17ROCPRIM_400000_NS6detail17trampoline_kernelINS0_14default_configENS1_27lower_bound_config_selectorIilEEZNS1_14transform_implILb0ES3_S5_N6thrust23THRUST_200600_302600_NS6detail15normal_iteratorINS8_7pointerIiNS8_11hip_rocprim3tagENS8_11use_defaultESE_EEEENSA_INSB_IlSD_SE_SE_EEEEZNS1_13binary_searchIS3_S5_NSA_INSB_IiSD_RiSE_EEEESG_SI_NS1_21lower_bound_search_opENS9_16wrapped_functionINS8_7greaterIiEEbEEEE10hipError_tPvRmT1_T2_T3_mmT4_T5_P12ihipStream_tbEUlRKiE_EESS_SW_SX_mSY_S11_bEUlT_E_NS1_11comp_targetILNS1_3genE5ELNS1_11target_archE942ELNS1_3gpuE9ELNS1_3repE0EEENS1_30default_config_static_selectorELNS0_4arch9wavefront6targetE0EEEvSV_.uses_flat_scratch, 0
	.set _ZN7rocprim17ROCPRIM_400000_NS6detail17trampoline_kernelINS0_14default_configENS1_27lower_bound_config_selectorIilEEZNS1_14transform_implILb0ES3_S5_N6thrust23THRUST_200600_302600_NS6detail15normal_iteratorINS8_7pointerIiNS8_11hip_rocprim3tagENS8_11use_defaultESE_EEEENSA_INSB_IlSD_SE_SE_EEEEZNS1_13binary_searchIS3_S5_NSA_INSB_IiSD_RiSE_EEEESG_SI_NS1_21lower_bound_search_opENS9_16wrapped_functionINS8_7greaterIiEEbEEEE10hipError_tPvRmT1_T2_T3_mmT4_T5_P12ihipStream_tbEUlRKiE_EESS_SW_SX_mSY_S11_bEUlT_E_NS1_11comp_targetILNS1_3genE5ELNS1_11target_archE942ELNS1_3gpuE9ELNS1_3repE0EEENS1_30default_config_static_selectorELNS0_4arch9wavefront6targetE0EEEvSV_.has_dyn_sized_stack, 0
	.set _ZN7rocprim17ROCPRIM_400000_NS6detail17trampoline_kernelINS0_14default_configENS1_27lower_bound_config_selectorIilEEZNS1_14transform_implILb0ES3_S5_N6thrust23THRUST_200600_302600_NS6detail15normal_iteratorINS8_7pointerIiNS8_11hip_rocprim3tagENS8_11use_defaultESE_EEEENSA_INSB_IlSD_SE_SE_EEEEZNS1_13binary_searchIS3_S5_NSA_INSB_IiSD_RiSE_EEEESG_SI_NS1_21lower_bound_search_opENS9_16wrapped_functionINS8_7greaterIiEEbEEEE10hipError_tPvRmT1_T2_T3_mmT4_T5_P12ihipStream_tbEUlRKiE_EESS_SW_SX_mSY_S11_bEUlT_E_NS1_11comp_targetILNS1_3genE5ELNS1_11target_archE942ELNS1_3gpuE9ELNS1_3repE0EEENS1_30default_config_static_selectorELNS0_4arch9wavefront6targetE0EEEvSV_.has_recursion, 0
	.set _ZN7rocprim17ROCPRIM_400000_NS6detail17trampoline_kernelINS0_14default_configENS1_27lower_bound_config_selectorIilEEZNS1_14transform_implILb0ES3_S5_N6thrust23THRUST_200600_302600_NS6detail15normal_iteratorINS8_7pointerIiNS8_11hip_rocprim3tagENS8_11use_defaultESE_EEEENSA_INSB_IlSD_SE_SE_EEEEZNS1_13binary_searchIS3_S5_NSA_INSB_IiSD_RiSE_EEEESG_SI_NS1_21lower_bound_search_opENS9_16wrapped_functionINS8_7greaterIiEEbEEEE10hipError_tPvRmT1_T2_T3_mmT4_T5_P12ihipStream_tbEUlRKiE_EESS_SW_SX_mSY_S11_bEUlT_E_NS1_11comp_targetILNS1_3genE5ELNS1_11target_archE942ELNS1_3gpuE9ELNS1_3repE0EEENS1_30default_config_static_selectorELNS0_4arch9wavefront6targetE0EEEvSV_.has_indirect_call, 0
	.section	.AMDGPU.csdata,"",@progbits
; Kernel info:
; codeLenInByte = 0
; TotalNumSgprs: 0
; NumVgprs: 0
; ScratchSize: 0
; MemoryBound: 0
; FloatMode: 240
; IeeeMode: 1
; LDSByteSize: 0 bytes/workgroup (compile time only)
; SGPRBlocks: 0
; VGPRBlocks: 0
; NumSGPRsForWavesPerEU: 1
; NumVGPRsForWavesPerEU: 1
; NamedBarCnt: 0
; Occupancy: 16
; WaveLimiterHint : 0
; COMPUTE_PGM_RSRC2:SCRATCH_EN: 0
; COMPUTE_PGM_RSRC2:USER_SGPR: 2
; COMPUTE_PGM_RSRC2:TRAP_HANDLER: 0
; COMPUTE_PGM_RSRC2:TGID_X_EN: 1
; COMPUTE_PGM_RSRC2:TGID_Y_EN: 0
; COMPUTE_PGM_RSRC2:TGID_Z_EN: 0
; COMPUTE_PGM_RSRC2:TIDIG_COMP_CNT: 0
	.section	.text._ZN7rocprim17ROCPRIM_400000_NS6detail17trampoline_kernelINS0_14default_configENS1_27lower_bound_config_selectorIilEEZNS1_14transform_implILb0ES3_S5_N6thrust23THRUST_200600_302600_NS6detail15normal_iteratorINS8_7pointerIiNS8_11hip_rocprim3tagENS8_11use_defaultESE_EEEENSA_INSB_IlSD_SE_SE_EEEEZNS1_13binary_searchIS3_S5_NSA_INSB_IiSD_RiSE_EEEESG_SI_NS1_21lower_bound_search_opENS9_16wrapped_functionINS8_7greaterIiEEbEEEE10hipError_tPvRmT1_T2_T3_mmT4_T5_P12ihipStream_tbEUlRKiE_EESS_SW_SX_mSY_S11_bEUlT_E_NS1_11comp_targetILNS1_3genE4ELNS1_11target_archE910ELNS1_3gpuE8ELNS1_3repE0EEENS1_30default_config_static_selectorELNS0_4arch9wavefront6targetE0EEEvSV_,"axG",@progbits,_ZN7rocprim17ROCPRIM_400000_NS6detail17trampoline_kernelINS0_14default_configENS1_27lower_bound_config_selectorIilEEZNS1_14transform_implILb0ES3_S5_N6thrust23THRUST_200600_302600_NS6detail15normal_iteratorINS8_7pointerIiNS8_11hip_rocprim3tagENS8_11use_defaultESE_EEEENSA_INSB_IlSD_SE_SE_EEEEZNS1_13binary_searchIS3_S5_NSA_INSB_IiSD_RiSE_EEEESG_SI_NS1_21lower_bound_search_opENS9_16wrapped_functionINS8_7greaterIiEEbEEEE10hipError_tPvRmT1_T2_T3_mmT4_T5_P12ihipStream_tbEUlRKiE_EESS_SW_SX_mSY_S11_bEUlT_E_NS1_11comp_targetILNS1_3genE4ELNS1_11target_archE910ELNS1_3gpuE8ELNS1_3repE0EEENS1_30default_config_static_selectorELNS0_4arch9wavefront6targetE0EEEvSV_,comdat
	.protected	_ZN7rocprim17ROCPRIM_400000_NS6detail17trampoline_kernelINS0_14default_configENS1_27lower_bound_config_selectorIilEEZNS1_14transform_implILb0ES3_S5_N6thrust23THRUST_200600_302600_NS6detail15normal_iteratorINS8_7pointerIiNS8_11hip_rocprim3tagENS8_11use_defaultESE_EEEENSA_INSB_IlSD_SE_SE_EEEEZNS1_13binary_searchIS3_S5_NSA_INSB_IiSD_RiSE_EEEESG_SI_NS1_21lower_bound_search_opENS9_16wrapped_functionINS8_7greaterIiEEbEEEE10hipError_tPvRmT1_T2_T3_mmT4_T5_P12ihipStream_tbEUlRKiE_EESS_SW_SX_mSY_S11_bEUlT_E_NS1_11comp_targetILNS1_3genE4ELNS1_11target_archE910ELNS1_3gpuE8ELNS1_3repE0EEENS1_30default_config_static_selectorELNS0_4arch9wavefront6targetE0EEEvSV_ ; -- Begin function _ZN7rocprim17ROCPRIM_400000_NS6detail17trampoline_kernelINS0_14default_configENS1_27lower_bound_config_selectorIilEEZNS1_14transform_implILb0ES3_S5_N6thrust23THRUST_200600_302600_NS6detail15normal_iteratorINS8_7pointerIiNS8_11hip_rocprim3tagENS8_11use_defaultESE_EEEENSA_INSB_IlSD_SE_SE_EEEEZNS1_13binary_searchIS3_S5_NSA_INSB_IiSD_RiSE_EEEESG_SI_NS1_21lower_bound_search_opENS9_16wrapped_functionINS8_7greaterIiEEbEEEE10hipError_tPvRmT1_T2_T3_mmT4_T5_P12ihipStream_tbEUlRKiE_EESS_SW_SX_mSY_S11_bEUlT_E_NS1_11comp_targetILNS1_3genE4ELNS1_11target_archE910ELNS1_3gpuE8ELNS1_3repE0EEENS1_30default_config_static_selectorELNS0_4arch9wavefront6targetE0EEEvSV_
	.globl	_ZN7rocprim17ROCPRIM_400000_NS6detail17trampoline_kernelINS0_14default_configENS1_27lower_bound_config_selectorIilEEZNS1_14transform_implILb0ES3_S5_N6thrust23THRUST_200600_302600_NS6detail15normal_iteratorINS8_7pointerIiNS8_11hip_rocprim3tagENS8_11use_defaultESE_EEEENSA_INSB_IlSD_SE_SE_EEEEZNS1_13binary_searchIS3_S5_NSA_INSB_IiSD_RiSE_EEEESG_SI_NS1_21lower_bound_search_opENS9_16wrapped_functionINS8_7greaterIiEEbEEEE10hipError_tPvRmT1_T2_T3_mmT4_T5_P12ihipStream_tbEUlRKiE_EESS_SW_SX_mSY_S11_bEUlT_E_NS1_11comp_targetILNS1_3genE4ELNS1_11target_archE910ELNS1_3gpuE8ELNS1_3repE0EEENS1_30default_config_static_selectorELNS0_4arch9wavefront6targetE0EEEvSV_
	.p2align	8
	.type	_ZN7rocprim17ROCPRIM_400000_NS6detail17trampoline_kernelINS0_14default_configENS1_27lower_bound_config_selectorIilEEZNS1_14transform_implILb0ES3_S5_N6thrust23THRUST_200600_302600_NS6detail15normal_iteratorINS8_7pointerIiNS8_11hip_rocprim3tagENS8_11use_defaultESE_EEEENSA_INSB_IlSD_SE_SE_EEEEZNS1_13binary_searchIS3_S5_NSA_INSB_IiSD_RiSE_EEEESG_SI_NS1_21lower_bound_search_opENS9_16wrapped_functionINS8_7greaterIiEEbEEEE10hipError_tPvRmT1_T2_T3_mmT4_T5_P12ihipStream_tbEUlRKiE_EESS_SW_SX_mSY_S11_bEUlT_E_NS1_11comp_targetILNS1_3genE4ELNS1_11target_archE910ELNS1_3gpuE8ELNS1_3repE0EEENS1_30default_config_static_selectorELNS0_4arch9wavefront6targetE0EEEvSV_,@function
_ZN7rocprim17ROCPRIM_400000_NS6detail17trampoline_kernelINS0_14default_configENS1_27lower_bound_config_selectorIilEEZNS1_14transform_implILb0ES3_S5_N6thrust23THRUST_200600_302600_NS6detail15normal_iteratorINS8_7pointerIiNS8_11hip_rocprim3tagENS8_11use_defaultESE_EEEENSA_INSB_IlSD_SE_SE_EEEEZNS1_13binary_searchIS3_S5_NSA_INSB_IiSD_RiSE_EEEESG_SI_NS1_21lower_bound_search_opENS9_16wrapped_functionINS8_7greaterIiEEbEEEE10hipError_tPvRmT1_T2_T3_mmT4_T5_P12ihipStream_tbEUlRKiE_EESS_SW_SX_mSY_S11_bEUlT_E_NS1_11comp_targetILNS1_3genE4ELNS1_11target_archE910ELNS1_3gpuE8ELNS1_3repE0EEENS1_30default_config_static_selectorELNS0_4arch9wavefront6targetE0EEEvSV_: ; @_ZN7rocprim17ROCPRIM_400000_NS6detail17trampoline_kernelINS0_14default_configENS1_27lower_bound_config_selectorIilEEZNS1_14transform_implILb0ES3_S5_N6thrust23THRUST_200600_302600_NS6detail15normal_iteratorINS8_7pointerIiNS8_11hip_rocprim3tagENS8_11use_defaultESE_EEEENSA_INSB_IlSD_SE_SE_EEEEZNS1_13binary_searchIS3_S5_NSA_INSB_IiSD_RiSE_EEEESG_SI_NS1_21lower_bound_search_opENS9_16wrapped_functionINS8_7greaterIiEEbEEEE10hipError_tPvRmT1_T2_T3_mmT4_T5_P12ihipStream_tbEUlRKiE_EESS_SW_SX_mSY_S11_bEUlT_E_NS1_11comp_targetILNS1_3genE4ELNS1_11target_archE910ELNS1_3gpuE8ELNS1_3repE0EEENS1_30default_config_static_selectorELNS0_4arch9wavefront6targetE0EEEvSV_
; %bb.0:
	.section	.rodata,"a",@progbits
	.p2align	6, 0x0
	.amdhsa_kernel _ZN7rocprim17ROCPRIM_400000_NS6detail17trampoline_kernelINS0_14default_configENS1_27lower_bound_config_selectorIilEEZNS1_14transform_implILb0ES3_S5_N6thrust23THRUST_200600_302600_NS6detail15normal_iteratorINS8_7pointerIiNS8_11hip_rocprim3tagENS8_11use_defaultESE_EEEENSA_INSB_IlSD_SE_SE_EEEEZNS1_13binary_searchIS3_S5_NSA_INSB_IiSD_RiSE_EEEESG_SI_NS1_21lower_bound_search_opENS9_16wrapped_functionINS8_7greaterIiEEbEEEE10hipError_tPvRmT1_T2_T3_mmT4_T5_P12ihipStream_tbEUlRKiE_EESS_SW_SX_mSY_S11_bEUlT_E_NS1_11comp_targetILNS1_3genE4ELNS1_11target_archE910ELNS1_3gpuE8ELNS1_3repE0EEENS1_30default_config_static_selectorELNS0_4arch9wavefront6targetE0EEEvSV_
		.amdhsa_group_segment_fixed_size 0
		.amdhsa_private_segment_fixed_size 0
		.amdhsa_kernarg_size 56
		.amdhsa_user_sgpr_count 2
		.amdhsa_user_sgpr_dispatch_ptr 0
		.amdhsa_user_sgpr_queue_ptr 0
		.amdhsa_user_sgpr_kernarg_segment_ptr 1
		.amdhsa_user_sgpr_dispatch_id 0
		.amdhsa_user_sgpr_kernarg_preload_length 0
		.amdhsa_user_sgpr_kernarg_preload_offset 0
		.amdhsa_user_sgpr_private_segment_size 0
		.amdhsa_wavefront_size32 1
		.amdhsa_uses_dynamic_stack 0
		.amdhsa_enable_private_segment 0
		.amdhsa_system_sgpr_workgroup_id_x 1
		.amdhsa_system_sgpr_workgroup_id_y 0
		.amdhsa_system_sgpr_workgroup_id_z 0
		.amdhsa_system_sgpr_workgroup_info 0
		.amdhsa_system_vgpr_workitem_id 0
		.amdhsa_next_free_vgpr 1
		.amdhsa_next_free_sgpr 1
		.amdhsa_named_barrier_count 0
		.amdhsa_reserve_vcc 0
		.amdhsa_float_round_mode_32 0
		.amdhsa_float_round_mode_16_64 0
		.amdhsa_float_denorm_mode_32 3
		.amdhsa_float_denorm_mode_16_64 3
		.amdhsa_fp16_overflow 0
		.amdhsa_memory_ordered 1
		.amdhsa_forward_progress 1
		.amdhsa_inst_pref_size 0
		.amdhsa_round_robin_scheduling 0
		.amdhsa_exception_fp_ieee_invalid_op 0
		.amdhsa_exception_fp_denorm_src 0
		.amdhsa_exception_fp_ieee_div_zero 0
		.amdhsa_exception_fp_ieee_overflow 0
		.amdhsa_exception_fp_ieee_underflow 0
		.amdhsa_exception_fp_ieee_inexact 0
		.amdhsa_exception_int_div_zero 0
	.end_amdhsa_kernel
	.section	.text._ZN7rocprim17ROCPRIM_400000_NS6detail17trampoline_kernelINS0_14default_configENS1_27lower_bound_config_selectorIilEEZNS1_14transform_implILb0ES3_S5_N6thrust23THRUST_200600_302600_NS6detail15normal_iteratorINS8_7pointerIiNS8_11hip_rocprim3tagENS8_11use_defaultESE_EEEENSA_INSB_IlSD_SE_SE_EEEEZNS1_13binary_searchIS3_S5_NSA_INSB_IiSD_RiSE_EEEESG_SI_NS1_21lower_bound_search_opENS9_16wrapped_functionINS8_7greaterIiEEbEEEE10hipError_tPvRmT1_T2_T3_mmT4_T5_P12ihipStream_tbEUlRKiE_EESS_SW_SX_mSY_S11_bEUlT_E_NS1_11comp_targetILNS1_3genE4ELNS1_11target_archE910ELNS1_3gpuE8ELNS1_3repE0EEENS1_30default_config_static_selectorELNS0_4arch9wavefront6targetE0EEEvSV_,"axG",@progbits,_ZN7rocprim17ROCPRIM_400000_NS6detail17trampoline_kernelINS0_14default_configENS1_27lower_bound_config_selectorIilEEZNS1_14transform_implILb0ES3_S5_N6thrust23THRUST_200600_302600_NS6detail15normal_iteratorINS8_7pointerIiNS8_11hip_rocprim3tagENS8_11use_defaultESE_EEEENSA_INSB_IlSD_SE_SE_EEEEZNS1_13binary_searchIS3_S5_NSA_INSB_IiSD_RiSE_EEEESG_SI_NS1_21lower_bound_search_opENS9_16wrapped_functionINS8_7greaterIiEEbEEEE10hipError_tPvRmT1_T2_T3_mmT4_T5_P12ihipStream_tbEUlRKiE_EESS_SW_SX_mSY_S11_bEUlT_E_NS1_11comp_targetILNS1_3genE4ELNS1_11target_archE910ELNS1_3gpuE8ELNS1_3repE0EEENS1_30default_config_static_selectorELNS0_4arch9wavefront6targetE0EEEvSV_,comdat
.Lfunc_end70:
	.size	_ZN7rocprim17ROCPRIM_400000_NS6detail17trampoline_kernelINS0_14default_configENS1_27lower_bound_config_selectorIilEEZNS1_14transform_implILb0ES3_S5_N6thrust23THRUST_200600_302600_NS6detail15normal_iteratorINS8_7pointerIiNS8_11hip_rocprim3tagENS8_11use_defaultESE_EEEENSA_INSB_IlSD_SE_SE_EEEEZNS1_13binary_searchIS3_S5_NSA_INSB_IiSD_RiSE_EEEESG_SI_NS1_21lower_bound_search_opENS9_16wrapped_functionINS8_7greaterIiEEbEEEE10hipError_tPvRmT1_T2_T3_mmT4_T5_P12ihipStream_tbEUlRKiE_EESS_SW_SX_mSY_S11_bEUlT_E_NS1_11comp_targetILNS1_3genE4ELNS1_11target_archE910ELNS1_3gpuE8ELNS1_3repE0EEENS1_30default_config_static_selectorELNS0_4arch9wavefront6targetE0EEEvSV_, .Lfunc_end70-_ZN7rocprim17ROCPRIM_400000_NS6detail17trampoline_kernelINS0_14default_configENS1_27lower_bound_config_selectorIilEEZNS1_14transform_implILb0ES3_S5_N6thrust23THRUST_200600_302600_NS6detail15normal_iteratorINS8_7pointerIiNS8_11hip_rocprim3tagENS8_11use_defaultESE_EEEENSA_INSB_IlSD_SE_SE_EEEEZNS1_13binary_searchIS3_S5_NSA_INSB_IiSD_RiSE_EEEESG_SI_NS1_21lower_bound_search_opENS9_16wrapped_functionINS8_7greaterIiEEbEEEE10hipError_tPvRmT1_T2_T3_mmT4_T5_P12ihipStream_tbEUlRKiE_EESS_SW_SX_mSY_S11_bEUlT_E_NS1_11comp_targetILNS1_3genE4ELNS1_11target_archE910ELNS1_3gpuE8ELNS1_3repE0EEENS1_30default_config_static_selectorELNS0_4arch9wavefront6targetE0EEEvSV_
                                        ; -- End function
	.set _ZN7rocprim17ROCPRIM_400000_NS6detail17trampoline_kernelINS0_14default_configENS1_27lower_bound_config_selectorIilEEZNS1_14transform_implILb0ES3_S5_N6thrust23THRUST_200600_302600_NS6detail15normal_iteratorINS8_7pointerIiNS8_11hip_rocprim3tagENS8_11use_defaultESE_EEEENSA_INSB_IlSD_SE_SE_EEEEZNS1_13binary_searchIS3_S5_NSA_INSB_IiSD_RiSE_EEEESG_SI_NS1_21lower_bound_search_opENS9_16wrapped_functionINS8_7greaterIiEEbEEEE10hipError_tPvRmT1_T2_T3_mmT4_T5_P12ihipStream_tbEUlRKiE_EESS_SW_SX_mSY_S11_bEUlT_E_NS1_11comp_targetILNS1_3genE4ELNS1_11target_archE910ELNS1_3gpuE8ELNS1_3repE0EEENS1_30default_config_static_selectorELNS0_4arch9wavefront6targetE0EEEvSV_.num_vgpr, 0
	.set _ZN7rocprim17ROCPRIM_400000_NS6detail17trampoline_kernelINS0_14default_configENS1_27lower_bound_config_selectorIilEEZNS1_14transform_implILb0ES3_S5_N6thrust23THRUST_200600_302600_NS6detail15normal_iteratorINS8_7pointerIiNS8_11hip_rocprim3tagENS8_11use_defaultESE_EEEENSA_INSB_IlSD_SE_SE_EEEEZNS1_13binary_searchIS3_S5_NSA_INSB_IiSD_RiSE_EEEESG_SI_NS1_21lower_bound_search_opENS9_16wrapped_functionINS8_7greaterIiEEbEEEE10hipError_tPvRmT1_T2_T3_mmT4_T5_P12ihipStream_tbEUlRKiE_EESS_SW_SX_mSY_S11_bEUlT_E_NS1_11comp_targetILNS1_3genE4ELNS1_11target_archE910ELNS1_3gpuE8ELNS1_3repE0EEENS1_30default_config_static_selectorELNS0_4arch9wavefront6targetE0EEEvSV_.num_agpr, 0
	.set _ZN7rocprim17ROCPRIM_400000_NS6detail17trampoline_kernelINS0_14default_configENS1_27lower_bound_config_selectorIilEEZNS1_14transform_implILb0ES3_S5_N6thrust23THRUST_200600_302600_NS6detail15normal_iteratorINS8_7pointerIiNS8_11hip_rocprim3tagENS8_11use_defaultESE_EEEENSA_INSB_IlSD_SE_SE_EEEEZNS1_13binary_searchIS3_S5_NSA_INSB_IiSD_RiSE_EEEESG_SI_NS1_21lower_bound_search_opENS9_16wrapped_functionINS8_7greaterIiEEbEEEE10hipError_tPvRmT1_T2_T3_mmT4_T5_P12ihipStream_tbEUlRKiE_EESS_SW_SX_mSY_S11_bEUlT_E_NS1_11comp_targetILNS1_3genE4ELNS1_11target_archE910ELNS1_3gpuE8ELNS1_3repE0EEENS1_30default_config_static_selectorELNS0_4arch9wavefront6targetE0EEEvSV_.numbered_sgpr, 0
	.set _ZN7rocprim17ROCPRIM_400000_NS6detail17trampoline_kernelINS0_14default_configENS1_27lower_bound_config_selectorIilEEZNS1_14transform_implILb0ES3_S5_N6thrust23THRUST_200600_302600_NS6detail15normal_iteratorINS8_7pointerIiNS8_11hip_rocprim3tagENS8_11use_defaultESE_EEEENSA_INSB_IlSD_SE_SE_EEEEZNS1_13binary_searchIS3_S5_NSA_INSB_IiSD_RiSE_EEEESG_SI_NS1_21lower_bound_search_opENS9_16wrapped_functionINS8_7greaterIiEEbEEEE10hipError_tPvRmT1_T2_T3_mmT4_T5_P12ihipStream_tbEUlRKiE_EESS_SW_SX_mSY_S11_bEUlT_E_NS1_11comp_targetILNS1_3genE4ELNS1_11target_archE910ELNS1_3gpuE8ELNS1_3repE0EEENS1_30default_config_static_selectorELNS0_4arch9wavefront6targetE0EEEvSV_.num_named_barrier, 0
	.set _ZN7rocprim17ROCPRIM_400000_NS6detail17trampoline_kernelINS0_14default_configENS1_27lower_bound_config_selectorIilEEZNS1_14transform_implILb0ES3_S5_N6thrust23THRUST_200600_302600_NS6detail15normal_iteratorINS8_7pointerIiNS8_11hip_rocprim3tagENS8_11use_defaultESE_EEEENSA_INSB_IlSD_SE_SE_EEEEZNS1_13binary_searchIS3_S5_NSA_INSB_IiSD_RiSE_EEEESG_SI_NS1_21lower_bound_search_opENS9_16wrapped_functionINS8_7greaterIiEEbEEEE10hipError_tPvRmT1_T2_T3_mmT4_T5_P12ihipStream_tbEUlRKiE_EESS_SW_SX_mSY_S11_bEUlT_E_NS1_11comp_targetILNS1_3genE4ELNS1_11target_archE910ELNS1_3gpuE8ELNS1_3repE0EEENS1_30default_config_static_selectorELNS0_4arch9wavefront6targetE0EEEvSV_.private_seg_size, 0
	.set _ZN7rocprim17ROCPRIM_400000_NS6detail17trampoline_kernelINS0_14default_configENS1_27lower_bound_config_selectorIilEEZNS1_14transform_implILb0ES3_S5_N6thrust23THRUST_200600_302600_NS6detail15normal_iteratorINS8_7pointerIiNS8_11hip_rocprim3tagENS8_11use_defaultESE_EEEENSA_INSB_IlSD_SE_SE_EEEEZNS1_13binary_searchIS3_S5_NSA_INSB_IiSD_RiSE_EEEESG_SI_NS1_21lower_bound_search_opENS9_16wrapped_functionINS8_7greaterIiEEbEEEE10hipError_tPvRmT1_T2_T3_mmT4_T5_P12ihipStream_tbEUlRKiE_EESS_SW_SX_mSY_S11_bEUlT_E_NS1_11comp_targetILNS1_3genE4ELNS1_11target_archE910ELNS1_3gpuE8ELNS1_3repE0EEENS1_30default_config_static_selectorELNS0_4arch9wavefront6targetE0EEEvSV_.uses_vcc, 0
	.set _ZN7rocprim17ROCPRIM_400000_NS6detail17trampoline_kernelINS0_14default_configENS1_27lower_bound_config_selectorIilEEZNS1_14transform_implILb0ES3_S5_N6thrust23THRUST_200600_302600_NS6detail15normal_iteratorINS8_7pointerIiNS8_11hip_rocprim3tagENS8_11use_defaultESE_EEEENSA_INSB_IlSD_SE_SE_EEEEZNS1_13binary_searchIS3_S5_NSA_INSB_IiSD_RiSE_EEEESG_SI_NS1_21lower_bound_search_opENS9_16wrapped_functionINS8_7greaterIiEEbEEEE10hipError_tPvRmT1_T2_T3_mmT4_T5_P12ihipStream_tbEUlRKiE_EESS_SW_SX_mSY_S11_bEUlT_E_NS1_11comp_targetILNS1_3genE4ELNS1_11target_archE910ELNS1_3gpuE8ELNS1_3repE0EEENS1_30default_config_static_selectorELNS0_4arch9wavefront6targetE0EEEvSV_.uses_flat_scratch, 0
	.set _ZN7rocprim17ROCPRIM_400000_NS6detail17trampoline_kernelINS0_14default_configENS1_27lower_bound_config_selectorIilEEZNS1_14transform_implILb0ES3_S5_N6thrust23THRUST_200600_302600_NS6detail15normal_iteratorINS8_7pointerIiNS8_11hip_rocprim3tagENS8_11use_defaultESE_EEEENSA_INSB_IlSD_SE_SE_EEEEZNS1_13binary_searchIS3_S5_NSA_INSB_IiSD_RiSE_EEEESG_SI_NS1_21lower_bound_search_opENS9_16wrapped_functionINS8_7greaterIiEEbEEEE10hipError_tPvRmT1_T2_T3_mmT4_T5_P12ihipStream_tbEUlRKiE_EESS_SW_SX_mSY_S11_bEUlT_E_NS1_11comp_targetILNS1_3genE4ELNS1_11target_archE910ELNS1_3gpuE8ELNS1_3repE0EEENS1_30default_config_static_selectorELNS0_4arch9wavefront6targetE0EEEvSV_.has_dyn_sized_stack, 0
	.set _ZN7rocprim17ROCPRIM_400000_NS6detail17trampoline_kernelINS0_14default_configENS1_27lower_bound_config_selectorIilEEZNS1_14transform_implILb0ES3_S5_N6thrust23THRUST_200600_302600_NS6detail15normal_iteratorINS8_7pointerIiNS8_11hip_rocprim3tagENS8_11use_defaultESE_EEEENSA_INSB_IlSD_SE_SE_EEEEZNS1_13binary_searchIS3_S5_NSA_INSB_IiSD_RiSE_EEEESG_SI_NS1_21lower_bound_search_opENS9_16wrapped_functionINS8_7greaterIiEEbEEEE10hipError_tPvRmT1_T2_T3_mmT4_T5_P12ihipStream_tbEUlRKiE_EESS_SW_SX_mSY_S11_bEUlT_E_NS1_11comp_targetILNS1_3genE4ELNS1_11target_archE910ELNS1_3gpuE8ELNS1_3repE0EEENS1_30default_config_static_selectorELNS0_4arch9wavefront6targetE0EEEvSV_.has_recursion, 0
	.set _ZN7rocprim17ROCPRIM_400000_NS6detail17trampoline_kernelINS0_14default_configENS1_27lower_bound_config_selectorIilEEZNS1_14transform_implILb0ES3_S5_N6thrust23THRUST_200600_302600_NS6detail15normal_iteratorINS8_7pointerIiNS8_11hip_rocprim3tagENS8_11use_defaultESE_EEEENSA_INSB_IlSD_SE_SE_EEEEZNS1_13binary_searchIS3_S5_NSA_INSB_IiSD_RiSE_EEEESG_SI_NS1_21lower_bound_search_opENS9_16wrapped_functionINS8_7greaterIiEEbEEEE10hipError_tPvRmT1_T2_T3_mmT4_T5_P12ihipStream_tbEUlRKiE_EESS_SW_SX_mSY_S11_bEUlT_E_NS1_11comp_targetILNS1_3genE4ELNS1_11target_archE910ELNS1_3gpuE8ELNS1_3repE0EEENS1_30default_config_static_selectorELNS0_4arch9wavefront6targetE0EEEvSV_.has_indirect_call, 0
	.section	.AMDGPU.csdata,"",@progbits
; Kernel info:
; codeLenInByte = 0
; TotalNumSgprs: 0
; NumVgprs: 0
; ScratchSize: 0
; MemoryBound: 0
; FloatMode: 240
; IeeeMode: 1
; LDSByteSize: 0 bytes/workgroup (compile time only)
; SGPRBlocks: 0
; VGPRBlocks: 0
; NumSGPRsForWavesPerEU: 1
; NumVGPRsForWavesPerEU: 1
; NamedBarCnt: 0
; Occupancy: 16
; WaveLimiterHint : 0
; COMPUTE_PGM_RSRC2:SCRATCH_EN: 0
; COMPUTE_PGM_RSRC2:USER_SGPR: 2
; COMPUTE_PGM_RSRC2:TRAP_HANDLER: 0
; COMPUTE_PGM_RSRC2:TGID_X_EN: 1
; COMPUTE_PGM_RSRC2:TGID_Y_EN: 0
; COMPUTE_PGM_RSRC2:TGID_Z_EN: 0
; COMPUTE_PGM_RSRC2:TIDIG_COMP_CNT: 0
	.section	.text._ZN7rocprim17ROCPRIM_400000_NS6detail17trampoline_kernelINS0_14default_configENS1_27lower_bound_config_selectorIilEEZNS1_14transform_implILb0ES3_S5_N6thrust23THRUST_200600_302600_NS6detail15normal_iteratorINS8_7pointerIiNS8_11hip_rocprim3tagENS8_11use_defaultESE_EEEENSA_INSB_IlSD_SE_SE_EEEEZNS1_13binary_searchIS3_S5_NSA_INSB_IiSD_RiSE_EEEESG_SI_NS1_21lower_bound_search_opENS9_16wrapped_functionINS8_7greaterIiEEbEEEE10hipError_tPvRmT1_T2_T3_mmT4_T5_P12ihipStream_tbEUlRKiE_EESS_SW_SX_mSY_S11_bEUlT_E_NS1_11comp_targetILNS1_3genE3ELNS1_11target_archE908ELNS1_3gpuE7ELNS1_3repE0EEENS1_30default_config_static_selectorELNS0_4arch9wavefront6targetE0EEEvSV_,"axG",@progbits,_ZN7rocprim17ROCPRIM_400000_NS6detail17trampoline_kernelINS0_14default_configENS1_27lower_bound_config_selectorIilEEZNS1_14transform_implILb0ES3_S5_N6thrust23THRUST_200600_302600_NS6detail15normal_iteratorINS8_7pointerIiNS8_11hip_rocprim3tagENS8_11use_defaultESE_EEEENSA_INSB_IlSD_SE_SE_EEEEZNS1_13binary_searchIS3_S5_NSA_INSB_IiSD_RiSE_EEEESG_SI_NS1_21lower_bound_search_opENS9_16wrapped_functionINS8_7greaterIiEEbEEEE10hipError_tPvRmT1_T2_T3_mmT4_T5_P12ihipStream_tbEUlRKiE_EESS_SW_SX_mSY_S11_bEUlT_E_NS1_11comp_targetILNS1_3genE3ELNS1_11target_archE908ELNS1_3gpuE7ELNS1_3repE0EEENS1_30default_config_static_selectorELNS0_4arch9wavefront6targetE0EEEvSV_,comdat
	.protected	_ZN7rocprim17ROCPRIM_400000_NS6detail17trampoline_kernelINS0_14default_configENS1_27lower_bound_config_selectorIilEEZNS1_14transform_implILb0ES3_S5_N6thrust23THRUST_200600_302600_NS6detail15normal_iteratorINS8_7pointerIiNS8_11hip_rocprim3tagENS8_11use_defaultESE_EEEENSA_INSB_IlSD_SE_SE_EEEEZNS1_13binary_searchIS3_S5_NSA_INSB_IiSD_RiSE_EEEESG_SI_NS1_21lower_bound_search_opENS9_16wrapped_functionINS8_7greaterIiEEbEEEE10hipError_tPvRmT1_T2_T3_mmT4_T5_P12ihipStream_tbEUlRKiE_EESS_SW_SX_mSY_S11_bEUlT_E_NS1_11comp_targetILNS1_3genE3ELNS1_11target_archE908ELNS1_3gpuE7ELNS1_3repE0EEENS1_30default_config_static_selectorELNS0_4arch9wavefront6targetE0EEEvSV_ ; -- Begin function _ZN7rocprim17ROCPRIM_400000_NS6detail17trampoline_kernelINS0_14default_configENS1_27lower_bound_config_selectorIilEEZNS1_14transform_implILb0ES3_S5_N6thrust23THRUST_200600_302600_NS6detail15normal_iteratorINS8_7pointerIiNS8_11hip_rocprim3tagENS8_11use_defaultESE_EEEENSA_INSB_IlSD_SE_SE_EEEEZNS1_13binary_searchIS3_S5_NSA_INSB_IiSD_RiSE_EEEESG_SI_NS1_21lower_bound_search_opENS9_16wrapped_functionINS8_7greaterIiEEbEEEE10hipError_tPvRmT1_T2_T3_mmT4_T5_P12ihipStream_tbEUlRKiE_EESS_SW_SX_mSY_S11_bEUlT_E_NS1_11comp_targetILNS1_3genE3ELNS1_11target_archE908ELNS1_3gpuE7ELNS1_3repE0EEENS1_30default_config_static_selectorELNS0_4arch9wavefront6targetE0EEEvSV_
	.globl	_ZN7rocprim17ROCPRIM_400000_NS6detail17trampoline_kernelINS0_14default_configENS1_27lower_bound_config_selectorIilEEZNS1_14transform_implILb0ES3_S5_N6thrust23THRUST_200600_302600_NS6detail15normal_iteratorINS8_7pointerIiNS8_11hip_rocprim3tagENS8_11use_defaultESE_EEEENSA_INSB_IlSD_SE_SE_EEEEZNS1_13binary_searchIS3_S5_NSA_INSB_IiSD_RiSE_EEEESG_SI_NS1_21lower_bound_search_opENS9_16wrapped_functionINS8_7greaterIiEEbEEEE10hipError_tPvRmT1_T2_T3_mmT4_T5_P12ihipStream_tbEUlRKiE_EESS_SW_SX_mSY_S11_bEUlT_E_NS1_11comp_targetILNS1_3genE3ELNS1_11target_archE908ELNS1_3gpuE7ELNS1_3repE0EEENS1_30default_config_static_selectorELNS0_4arch9wavefront6targetE0EEEvSV_
	.p2align	8
	.type	_ZN7rocprim17ROCPRIM_400000_NS6detail17trampoline_kernelINS0_14default_configENS1_27lower_bound_config_selectorIilEEZNS1_14transform_implILb0ES3_S5_N6thrust23THRUST_200600_302600_NS6detail15normal_iteratorINS8_7pointerIiNS8_11hip_rocprim3tagENS8_11use_defaultESE_EEEENSA_INSB_IlSD_SE_SE_EEEEZNS1_13binary_searchIS3_S5_NSA_INSB_IiSD_RiSE_EEEESG_SI_NS1_21lower_bound_search_opENS9_16wrapped_functionINS8_7greaterIiEEbEEEE10hipError_tPvRmT1_T2_T3_mmT4_T5_P12ihipStream_tbEUlRKiE_EESS_SW_SX_mSY_S11_bEUlT_E_NS1_11comp_targetILNS1_3genE3ELNS1_11target_archE908ELNS1_3gpuE7ELNS1_3repE0EEENS1_30default_config_static_selectorELNS0_4arch9wavefront6targetE0EEEvSV_,@function
_ZN7rocprim17ROCPRIM_400000_NS6detail17trampoline_kernelINS0_14default_configENS1_27lower_bound_config_selectorIilEEZNS1_14transform_implILb0ES3_S5_N6thrust23THRUST_200600_302600_NS6detail15normal_iteratorINS8_7pointerIiNS8_11hip_rocprim3tagENS8_11use_defaultESE_EEEENSA_INSB_IlSD_SE_SE_EEEEZNS1_13binary_searchIS3_S5_NSA_INSB_IiSD_RiSE_EEEESG_SI_NS1_21lower_bound_search_opENS9_16wrapped_functionINS8_7greaterIiEEbEEEE10hipError_tPvRmT1_T2_T3_mmT4_T5_P12ihipStream_tbEUlRKiE_EESS_SW_SX_mSY_S11_bEUlT_E_NS1_11comp_targetILNS1_3genE3ELNS1_11target_archE908ELNS1_3gpuE7ELNS1_3repE0EEENS1_30default_config_static_selectorELNS0_4arch9wavefront6targetE0EEEvSV_: ; @_ZN7rocprim17ROCPRIM_400000_NS6detail17trampoline_kernelINS0_14default_configENS1_27lower_bound_config_selectorIilEEZNS1_14transform_implILb0ES3_S5_N6thrust23THRUST_200600_302600_NS6detail15normal_iteratorINS8_7pointerIiNS8_11hip_rocprim3tagENS8_11use_defaultESE_EEEENSA_INSB_IlSD_SE_SE_EEEEZNS1_13binary_searchIS3_S5_NSA_INSB_IiSD_RiSE_EEEESG_SI_NS1_21lower_bound_search_opENS9_16wrapped_functionINS8_7greaterIiEEbEEEE10hipError_tPvRmT1_T2_T3_mmT4_T5_P12ihipStream_tbEUlRKiE_EESS_SW_SX_mSY_S11_bEUlT_E_NS1_11comp_targetILNS1_3genE3ELNS1_11target_archE908ELNS1_3gpuE7ELNS1_3repE0EEENS1_30default_config_static_selectorELNS0_4arch9wavefront6targetE0EEEvSV_
; %bb.0:
	.section	.rodata,"a",@progbits
	.p2align	6, 0x0
	.amdhsa_kernel _ZN7rocprim17ROCPRIM_400000_NS6detail17trampoline_kernelINS0_14default_configENS1_27lower_bound_config_selectorIilEEZNS1_14transform_implILb0ES3_S5_N6thrust23THRUST_200600_302600_NS6detail15normal_iteratorINS8_7pointerIiNS8_11hip_rocprim3tagENS8_11use_defaultESE_EEEENSA_INSB_IlSD_SE_SE_EEEEZNS1_13binary_searchIS3_S5_NSA_INSB_IiSD_RiSE_EEEESG_SI_NS1_21lower_bound_search_opENS9_16wrapped_functionINS8_7greaterIiEEbEEEE10hipError_tPvRmT1_T2_T3_mmT4_T5_P12ihipStream_tbEUlRKiE_EESS_SW_SX_mSY_S11_bEUlT_E_NS1_11comp_targetILNS1_3genE3ELNS1_11target_archE908ELNS1_3gpuE7ELNS1_3repE0EEENS1_30default_config_static_selectorELNS0_4arch9wavefront6targetE0EEEvSV_
		.amdhsa_group_segment_fixed_size 0
		.amdhsa_private_segment_fixed_size 0
		.amdhsa_kernarg_size 56
		.amdhsa_user_sgpr_count 2
		.amdhsa_user_sgpr_dispatch_ptr 0
		.amdhsa_user_sgpr_queue_ptr 0
		.amdhsa_user_sgpr_kernarg_segment_ptr 1
		.amdhsa_user_sgpr_dispatch_id 0
		.amdhsa_user_sgpr_kernarg_preload_length 0
		.amdhsa_user_sgpr_kernarg_preload_offset 0
		.amdhsa_user_sgpr_private_segment_size 0
		.amdhsa_wavefront_size32 1
		.amdhsa_uses_dynamic_stack 0
		.amdhsa_enable_private_segment 0
		.amdhsa_system_sgpr_workgroup_id_x 1
		.amdhsa_system_sgpr_workgroup_id_y 0
		.amdhsa_system_sgpr_workgroup_id_z 0
		.amdhsa_system_sgpr_workgroup_info 0
		.amdhsa_system_vgpr_workitem_id 0
		.amdhsa_next_free_vgpr 1
		.amdhsa_next_free_sgpr 1
		.amdhsa_named_barrier_count 0
		.amdhsa_reserve_vcc 0
		.amdhsa_float_round_mode_32 0
		.amdhsa_float_round_mode_16_64 0
		.amdhsa_float_denorm_mode_32 3
		.amdhsa_float_denorm_mode_16_64 3
		.amdhsa_fp16_overflow 0
		.amdhsa_memory_ordered 1
		.amdhsa_forward_progress 1
		.amdhsa_inst_pref_size 0
		.amdhsa_round_robin_scheduling 0
		.amdhsa_exception_fp_ieee_invalid_op 0
		.amdhsa_exception_fp_denorm_src 0
		.amdhsa_exception_fp_ieee_div_zero 0
		.amdhsa_exception_fp_ieee_overflow 0
		.amdhsa_exception_fp_ieee_underflow 0
		.amdhsa_exception_fp_ieee_inexact 0
		.amdhsa_exception_int_div_zero 0
	.end_amdhsa_kernel
	.section	.text._ZN7rocprim17ROCPRIM_400000_NS6detail17trampoline_kernelINS0_14default_configENS1_27lower_bound_config_selectorIilEEZNS1_14transform_implILb0ES3_S5_N6thrust23THRUST_200600_302600_NS6detail15normal_iteratorINS8_7pointerIiNS8_11hip_rocprim3tagENS8_11use_defaultESE_EEEENSA_INSB_IlSD_SE_SE_EEEEZNS1_13binary_searchIS3_S5_NSA_INSB_IiSD_RiSE_EEEESG_SI_NS1_21lower_bound_search_opENS9_16wrapped_functionINS8_7greaterIiEEbEEEE10hipError_tPvRmT1_T2_T3_mmT4_T5_P12ihipStream_tbEUlRKiE_EESS_SW_SX_mSY_S11_bEUlT_E_NS1_11comp_targetILNS1_3genE3ELNS1_11target_archE908ELNS1_3gpuE7ELNS1_3repE0EEENS1_30default_config_static_selectorELNS0_4arch9wavefront6targetE0EEEvSV_,"axG",@progbits,_ZN7rocprim17ROCPRIM_400000_NS6detail17trampoline_kernelINS0_14default_configENS1_27lower_bound_config_selectorIilEEZNS1_14transform_implILb0ES3_S5_N6thrust23THRUST_200600_302600_NS6detail15normal_iteratorINS8_7pointerIiNS8_11hip_rocprim3tagENS8_11use_defaultESE_EEEENSA_INSB_IlSD_SE_SE_EEEEZNS1_13binary_searchIS3_S5_NSA_INSB_IiSD_RiSE_EEEESG_SI_NS1_21lower_bound_search_opENS9_16wrapped_functionINS8_7greaterIiEEbEEEE10hipError_tPvRmT1_T2_T3_mmT4_T5_P12ihipStream_tbEUlRKiE_EESS_SW_SX_mSY_S11_bEUlT_E_NS1_11comp_targetILNS1_3genE3ELNS1_11target_archE908ELNS1_3gpuE7ELNS1_3repE0EEENS1_30default_config_static_selectorELNS0_4arch9wavefront6targetE0EEEvSV_,comdat
.Lfunc_end71:
	.size	_ZN7rocprim17ROCPRIM_400000_NS6detail17trampoline_kernelINS0_14default_configENS1_27lower_bound_config_selectorIilEEZNS1_14transform_implILb0ES3_S5_N6thrust23THRUST_200600_302600_NS6detail15normal_iteratorINS8_7pointerIiNS8_11hip_rocprim3tagENS8_11use_defaultESE_EEEENSA_INSB_IlSD_SE_SE_EEEEZNS1_13binary_searchIS3_S5_NSA_INSB_IiSD_RiSE_EEEESG_SI_NS1_21lower_bound_search_opENS9_16wrapped_functionINS8_7greaterIiEEbEEEE10hipError_tPvRmT1_T2_T3_mmT4_T5_P12ihipStream_tbEUlRKiE_EESS_SW_SX_mSY_S11_bEUlT_E_NS1_11comp_targetILNS1_3genE3ELNS1_11target_archE908ELNS1_3gpuE7ELNS1_3repE0EEENS1_30default_config_static_selectorELNS0_4arch9wavefront6targetE0EEEvSV_, .Lfunc_end71-_ZN7rocprim17ROCPRIM_400000_NS6detail17trampoline_kernelINS0_14default_configENS1_27lower_bound_config_selectorIilEEZNS1_14transform_implILb0ES3_S5_N6thrust23THRUST_200600_302600_NS6detail15normal_iteratorINS8_7pointerIiNS8_11hip_rocprim3tagENS8_11use_defaultESE_EEEENSA_INSB_IlSD_SE_SE_EEEEZNS1_13binary_searchIS3_S5_NSA_INSB_IiSD_RiSE_EEEESG_SI_NS1_21lower_bound_search_opENS9_16wrapped_functionINS8_7greaterIiEEbEEEE10hipError_tPvRmT1_T2_T3_mmT4_T5_P12ihipStream_tbEUlRKiE_EESS_SW_SX_mSY_S11_bEUlT_E_NS1_11comp_targetILNS1_3genE3ELNS1_11target_archE908ELNS1_3gpuE7ELNS1_3repE0EEENS1_30default_config_static_selectorELNS0_4arch9wavefront6targetE0EEEvSV_
                                        ; -- End function
	.set _ZN7rocprim17ROCPRIM_400000_NS6detail17trampoline_kernelINS0_14default_configENS1_27lower_bound_config_selectorIilEEZNS1_14transform_implILb0ES3_S5_N6thrust23THRUST_200600_302600_NS6detail15normal_iteratorINS8_7pointerIiNS8_11hip_rocprim3tagENS8_11use_defaultESE_EEEENSA_INSB_IlSD_SE_SE_EEEEZNS1_13binary_searchIS3_S5_NSA_INSB_IiSD_RiSE_EEEESG_SI_NS1_21lower_bound_search_opENS9_16wrapped_functionINS8_7greaterIiEEbEEEE10hipError_tPvRmT1_T2_T3_mmT4_T5_P12ihipStream_tbEUlRKiE_EESS_SW_SX_mSY_S11_bEUlT_E_NS1_11comp_targetILNS1_3genE3ELNS1_11target_archE908ELNS1_3gpuE7ELNS1_3repE0EEENS1_30default_config_static_selectorELNS0_4arch9wavefront6targetE0EEEvSV_.num_vgpr, 0
	.set _ZN7rocprim17ROCPRIM_400000_NS6detail17trampoline_kernelINS0_14default_configENS1_27lower_bound_config_selectorIilEEZNS1_14transform_implILb0ES3_S5_N6thrust23THRUST_200600_302600_NS6detail15normal_iteratorINS8_7pointerIiNS8_11hip_rocprim3tagENS8_11use_defaultESE_EEEENSA_INSB_IlSD_SE_SE_EEEEZNS1_13binary_searchIS3_S5_NSA_INSB_IiSD_RiSE_EEEESG_SI_NS1_21lower_bound_search_opENS9_16wrapped_functionINS8_7greaterIiEEbEEEE10hipError_tPvRmT1_T2_T3_mmT4_T5_P12ihipStream_tbEUlRKiE_EESS_SW_SX_mSY_S11_bEUlT_E_NS1_11comp_targetILNS1_3genE3ELNS1_11target_archE908ELNS1_3gpuE7ELNS1_3repE0EEENS1_30default_config_static_selectorELNS0_4arch9wavefront6targetE0EEEvSV_.num_agpr, 0
	.set _ZN7rocprim17ROCPRIM_400000_NS6detail17trampoline_kernelINS0_14default_configENS1_27lower_bound_config_selectorIilEEZNS1_14transform_implILb0ES3_S5_N6thrust23THRUST_200600_302600_NS6detail15normal_iteratorINS8_7pointerIiNS8_11hip_rocprim3tagENS8_11use_defaultESE_EEEENSA_INSB_IlSD_SE_SE_EEEEZNS1_13binary_searchIS3_S5_NSA_INSB_IiSD_RiSE_EEEESG_SI_NS1_21lower_bound_search_opENS9_16wrapped_functionINS8_7greaterIiEEbEEEE10hipError_tPvRmT1_T2_T3_mmT4_T5_P12ihipStream_tbEUlRKiE_EESS_SW_SX_mSY_S11_bEUlT_E_NS1_11comp_targetILNS1_3genE3ELNS1_11target_archE908ELNS1_3gpuE7ELNS1_3repE0EEENS1_30default_config_static_selectorELNS0_4arch9wavefront6targetE0EEEvSV_.numbered_sgpr, 0
	.set _ZN7rocprim17ROCPRIM_400000_NS6detail17trampoline_kernelINS0_14default_configENS1_27lower_bound_config_selectorIilEEZNS1_14transform_implILb0ES3_S5_N6thrust23THRUST_200600_302600_NS6detail15normal_iteratorINS8_7pointerIiNS8_11hip_rocprim3tagENS8_11use_defaultESE_EEEENSA_INSB_IlSD_SE_SE_EEEEZNS1_13binary_searchIS3_S5_NSA_INSB_IiSD_RiSE_EEEESG_SI_NS1_21lower_bound_search_opENS9_16wrapped_functionINS8_7greaterIiEEbEEEE10hipError_tPvRmT1_T2_T3_mmT4_T5_P12ihipStream_tbEUlRKiE_EESS_SW_SX_mSY_S11_bEUlT_E_NS1_11comp_targetILNS1_3genE3ELNS1_11target_archE908ELNS1_3gpuE7ELNS1_3repE0EEENS1_30default_config_static_selectorELNS0_4arch9wavefront6targetE0EEEvSV_.num_named_barrier, 0
	.set _ZN7rocprim17ROCPRIM_400000_NS6detail17trampoline_kernelINS0_14default_configENS1_27lower_bound_config_selectorIilEEZNS1_14transform_implILb0ES3_S5_N6thrust23THRUST_200600_302600_NS6detail15normal_iteratorINS8_7pointerIiNS8_11hip_rocprim3tagENS8_11use_defaultESE_EEEENSA_INSB_IlSD_SE_SE_EEEEZNS1_13binary_searchIS3_S5_NSA_INSB_IiSD_RiSE_EEEESG_SI_NS1_21lower_bound_search_opENS9_16wrapped_functionINS8_7greaterIiEEbEEEE10hipError_tPvRmT1_T2_T3_mmT4_T5_P12ihipStream_tbEUlRKiE_EESS_SW_SX_mSY_S11_bEUlT_E_NS1_11comp_targetILNS1_3genE3ELNS1_11target_archE908ELNS1_3gpuE7ELNS1_3repE0EEENS1_30default_config_static_selectorELNS0_4arch9wavefront6targetE0EEEvSV_.private_seg_size, 0
	.set _ZN7rocprim17ROCPRIM_400000_NS6detail17trampoline_kernelINS0_14default_configENS1_27lower_bound_config_selectorIilEEZNS1_14transform_implILb0ES3_S5_N6thrust23THRUST_200600_302600_NS6detail15normal_iteratorINS8_7pointerIiNS8_11hip_rocprim3tagENS8_11use_defaultESE_EEEENSA_INSB_IlSD_SE_SE_EEEEZNS1_13binary_searchIS3_S5_NSA_INSB_IiSD_RiSE_EEEESG_SI_NS1_21lower_bound_search_opENS9_16wrapped_functionINS8_7greaterIiEEbEEEE10hipError_tPvRmT1_T2_T3_mmT4_T5_P12ihipStream_tbEUlRKiE_EESS_SW_SX_mSY_S11_bEUlT_E_NS1_11comp_targetILNS1_3genE3ELNS1_11target_archE908ELNS1_3gpuE7ELNS1_3repE0EEENS1_30default_config_static_selectorELNS0_4arch9wavefront6targetE0EEEvSV_.uses_vcc, 0
	.set _ZN7rocprim17ROCPRIM_400000_NS6detail17trampoline_kernelINS0_14default_configENS1_27lower_bound_config_selectorIilEEZNS1_14transform_implILb0ES3_S5_N6thrust23THRUST_200600_302600_NS6detail15normal_iteratorINS8_7pointerIiNS8_11hip_rocprim3tagENS8_11use_defaultESE_EEEENSA_INSB_IlSD_SE_SE_EEEEZNS1_13binary_searchIS3_S5_NSA_INSB_IiSD_RiSE_EEEESG_SI_NS1_21lower_bound_search_opENS9_16wrapped_functionINS8_7greaterIiEEbEEEE10hipError_tPvRmT1_T2_T3_mmT4_T5_P12ihipStream_tbEUlRKiE_EESS_SW_SX_mSY_S11_bEUlT_E_NS1_11comp_targetILNS1_3genE3ELNS1_11target_archE908ELNS1_3gpuE7ELNS1_3repE0EEENS1_30default_config_static_selectorELNS0_4arch9wavefront6targetE0EEEvSV_.uses_flat_scratch, 0
	.set _ZN7rocprim17ROCPRIM_400000_NS6detail17trampoline_kernelINS0_14default_configENS1_27lower_bound_config_selectorIilEEZNS1_14transform_implILb0ES3_S5_N6thrust23THRUST_200600_302600_NS6detail15normal_iteratorINS8_7pointerIiNS8_11hip_rocprim3tagENS8_11use_defaultESE_EEEENSA_INSB_IlSD_SE_SE_EEEEZNS1_13binary_searchIS3_S5_NSA_INSB_IiSD_RiSE_EEEESG_SI_NS1_21lower_bound_search_opENS9_16wrapped_functionINS8_7greaterIiEEbEEEE10hipError_tPvRmT1_T2_T3_mmT4_T5_P12ihipStream_tbEUlRKiE_EESS_SW_SX_mSY_S11_bEUlT_E_NS1_11comp_targetILNS1_3genE3ELNS1_11target_archE908ELNS1_3gpuE7ELNS1_3repE0EEENS1_30default_config_static_selectorELNS0_4arch9wavefront6targetE0EEEvSV_.has_dyn_sized_stack, 0
	.set _ZN7rocprim17ROCPRIM_400000_NS6detail17trampoline_kernelINS0_14default_configENS1_27lower_bound_config_selectorIilEEZNS1_14transform_implILb0ES3_S5_N6thrust23THRUST_200600_302600_NS6detail15normal_iteratorINS8_7pointerIiNS8_11hip_rocprim3tagENS8_11use_defaultESE_EEEENSA_INSB_IlSD_SE_SE_EEEEZNS1_13binary_searchIS3_S5_NSA_INSB_IiSD_RiSE_EEEESG_SI_NS1_21lower_bound_search_opENS9_16wrapped_functionINS8_7greaterIiEEbEEEE10hipError_tPvRmT1_T2_T3_mmT4_T5_P12ihipStream_tbEUlRKiE_EESS_SW_SX_mSY_S11_bEUlT_E_NS1_11comp_targetILNS1_3genE3ELNS1_11target_archE908ELNS1_3gpuE7ELNS1_3repE0EEENS1_30default_config_static_selectorELNS0_4arch9wavefront6targetE0EEEvSV_.has_recursion, 0
	.set _ZN7rocprim17ROCPRIM_400000_NS6detail17trampoline_kernelINS0_14default_configENS1_27lower_bound_config_selectorIilEEZNS1_14transform_implILb0ES3_S5_N6thrust23THRUST_200600_302600_NS6detail15normal_iteratorINS8_7pointerIiNS8_11hip_rocprim3tagENS8_11use_defaultESE_EEEENSA_INSB_IlSD_SE_SE_EEEEZNS1_13binary_searchIS3_S5_NSA_INSB_IiSD_RiSE_EEEESG_SI_NS1_21lower_bound_search_opENS9_16wrapped_functionINS8_7greaterIiEEbEEEE10hipError_tPvRmT1_T2_T3_mmT4_T5_P12ihipStream_tbEUlRKiE_EESS_SW_SX_mSY_S11_bEUlT_E_NS1_11comp_targetILNS1_3genE3ELNS1_11target_archE908ELNS1_3gpuE7ELNS1_3repE0EEENS1_30default_config_static_selectorELNS0_4arch9wavefront6targetE0EEEvSV_.has_indirect_call, 0
	.section	.AMDGPU.csdata,"",@progbits
; Kernel info:
; codeLenInByte = 0
; TotalNumSgprs: 0
; NumVgprs: 0
; ScratchSize: 0
; MemoryBound: 0
; FloatMode: 240
; IeeeMode: 1
; LDSByteSize: 0 bytes/workgroup (compile time only)
; SGPRBlocks: 0
; VGPRBlocks: 0
; NumSGPRsForWavesPerEU: 1
; NumVGPRsForWavesPerEU: 1
; NamedBarCnt: 0
; Occupancy: 16
; WaveLimiterHint : 0
; COMPUTE_PGM_RSRC2:SCRATCH_EN: 0
; COMPUTE_PGM_RSRC2:USER_SGPR: 2
; COMPUTE_PGM_RSRC2:TRAP_HANDLER: 0
; COMPUTE_PGM_RSRC2:TGID_X_EN: 1
; COMPUTE_PGM_RSRC2:TGID_Y_EN: 0
; COMPUTE_PGM_RSRC2:TGID_Z_EN: 0
; COMPUTE_PGM_RSRC2:TIDIG_COMP_CNT: 0
	.section	.text._ZN7rocprim17ROCPRIM_400000_NS6detail17trampoline_kernelINS0_14default_configENS1_27lower_bound_config_selectorIilEEZNS1_14transform_implILb0ES3_S5_N6thrust23THRUST_200600_302600_NS6detail15normal_iteratorINS8_7pointerIiNS8_11hip_rocprim3tagENS8_11use_defaultESE_EEEENSA_INSB_IlSD_SE_SE_EEEEZNS1_13binary_searchIS3_S5_NSA_INSB_IiSD_RiSE_EEEESG_SI_NS1_21lower_bound_search_opENS9_16wrapped_functionINS8_7greaterIiEEbEEEE10hipError_tPvRmT1_T2_T3_mmT4_T5_P12ihipStream_tbEUlRKiE_EESS_SW_SX_mSY_S11_bEUlT_E_NS1_11comp_targetILNS1_3genE2ELNS1_11target_archE906ELNS1_3gpuE6ELNS1_3repE0EEENS1_30default_config_static_selectorELNS0_4arch9wavefront6targetE0EEEvSV_,"axG",@progbits,_ZN7rocprim17ROCPRIM_400000_NS6detail17trampoline_kernelINS0_14default_configENS1_27lower_bound_config_selectorIilEEZNS1_14transform_implILb0ES3_S5_N6thrust23THRUST_200600_302600_NS6detail15normal_iteratorINS8_7pointerIiNS8_11hip_rocprim3tagENS8_11use_defaultESE_EEEENSA_INSB_IlSD_SE_SE_EEEEZNS1_13binary_searchIS3_S5_NSA_INSB_IiSD_RiSE_EEEESG_SI_NS1_21lower_bound_search_opENS9_16wrapped_functionINS8_7greaterIiEEbEEEE10hipError_tPvRmT1_T2_T3_mmT4_T5_P12ihipStream_tbEUlRKiE_EESS_SW_SX_mSY_S11_bEUlT_E_NS1_11comp_targetILNS1_3genE2ELNS1_11target_archE906ELNS1_3gpuE6ELNS1_3repE0EEENS1_30default_config_static_selectorELNS0_4arch9wavefront6targetE0EEEvSV_,comdat
	.protected	_ZN7rocprim17ROCPRIM_400000_NS6detail17trampoline_kernelINS0_14default_configENS1_27lower_bound_config_selectorIilEEZNS1_14transform_implILb0ES3_S5_N6thrust23THRUST_200600_302600_NS6detail15normal_iteratorINS8_7pointerIiNS8_11hip_rocprim3tagENS8_11use_defaultESE_EEEENSA_INSB_IlSD_SE_SE_EEEEZNS1_13binary_searchIS3_S5_NSA_INSB_IiSD_RiSE_EEEESG_SI_NS1_21lower_bound_search_opENS9_16wrapped_functionINS8_7greaterIiEEbEEEE10hipError_tPvRmT1_T2_T3_mmT4_T5_P12ihipStream_tbEUlRKiE_EESS_SW_SX_mSY_S11_bEUlT_E_NS1_11comp_targetILNS1_3genE2ELNS1_11target_archE906ELNS1_3gpuE6ELNS1_3repE0EEENS1_30default_config_static_selectorELNS0_4arch9wavefront6targetE0EEEvSV_ ; -- Begin function _ZN7rocprim17ROCPRIM_400000_NS6detail17trampoline_kernelINS0_14default_configENS1_27lower_bound_config_selectorIilEEZNS1_14transform_implILb0ES3_S5_N6thrust23THRUST_200600_302600_NS6detail15normal_iteratorINS8_7pointerIiNS8_11hip_rocprim3tagENS8_11use_defaultESE_EEEENSA_INSB_IlSD_SE_SE_EEEEZNS1_13binary_searchIS3_S5_NSA_INSB_IiSD_RiSE_EEEESG_SI_NS1_21lower_bound_search_opENS9_16wrapped_functionINS8_7greaterIiEEbEEEE10hipError_tPvRmT1_T2_T3_mmT4_T5_P12ihipStream_tbEUlRKiE_EESS_SW_SX_mSY_S11_bEUlT_E_NS1_11comp_targetILNS1_3genE2ELNS1_11target_archE906ELNS1_3gpuE6ELNS1_3repE0EEENS1_30default_config_static_selectorELNS0_4arch9wavefront6targetE0EEEvSV_
	.globl	_ZN7rocprim17ROCPRIM_400000_NS6detail17trampoline_kernelINS0_14default_configENS1_27lower_bound_config_selectorIilEEZNS1_14transform_implILb0ES3_S5_N6thrust23THRUST_200600_302600_NS6detail15normal_iteratorINS8_7pointerIiNS8_11hip_rocprim3tagENS8_11use_defaultESE_EEEENSA_INSB_IlSD_SE_SE_EEEEZNS1_13binary_searchIS3_S5_NSA_INSB_IiSD_RiSE_EEEESG_SI_NS1_21lower_bound_search_opENS9_16wrapped_functionINS8_7greaterIiEEbEEEE10hipError_tPvRmT1_T2_T3_mmT4_T5_P12ihipStream_tbEUlRKiE_EESS_SW_SX_mSY_S11_bEUlT_E_NS1_11comp_targetILNS1_3genE2ELNS1_11target_archE906ELNS1_3gpuE6ELNS1_3repE0EEENS1_30default_config_static_selectorELNS0_4arch9wavefront6targetE0EEEvSV_
	.p2align	8
	.type	_ZN7rocprim17ROCPRIM_400000_NS6detail17trampoline_kernelINS0_14default_configENS1_27lower_bound_config_selectorIilEEZNS1_14transform_implILb0ES3_S5_N6thrust23THRUST_200600_302600_NS6detail15normal_iteratorINS8_7pointerIiNS8_11hip_rocprim3tagENS8_11use_defaultESE_EEEENSA_INSB_IlSD_SE_SE_EEEEZNS1_13binary_searchIS3_S5_NSA_INSB_IiSD_RiSE_EEEESG_SI_NS1_21lower_bound_search_opENS9_16wrapped_functionINS8_7greaterIiEEbEEEE10hipError_tPvRmT1_T2_T3_mmT4_T5_P12ihipStream_tbEUlRKiE_EESS_SW_SX_mSY_S11_bEUlT_E_NS1_11comp_targetILNS1_3genE2ELNS1_11target_archE906ELNS1_3gpuE6ELNS1_3repE0EEENS1_30default_config_static_selectorELNS0_4arch9wavefront6targetE0EEEvSV_,@function
_ZN7rocprim17ROCPRIM_400000_NS6detail17trampoline_kernelINS0_14default_configENS1_27lower_bound_config_selectorIilEEZNS1_14transform_implILb0ES3_S5_N6thrust23THRUST_200600_302600_NS6detail15normal_iteratorINS8_7pointerIiNS8_11hip_rocprim3tagENS8_11use_defaultESE_EEEENSA_INSB_IlSD_SE_SE_EEEEZNS1_13binary_searchIS3_S5_NSA_INSB_IiSD_RiSE_EEEESG_SI_NS1_21lower_bound_search_opENS9_16wrapped_functionINS8_7greaterIiEEbEEEE10hipError_tPvRmT1_T2_T3_mmT4_T5_P12ihipStream_tbEUlRKiE_EESS_SW_SX_mSY_S11_bEUlT_E_NS1_11comp_targetILNS1_3genE2ELNS1_11target_archE906ELNS1_3gpuE6ELNS1_3repE0EEENS1_30default_config_static_selectorELNS0_4arch9wavefront6targetE0EEEvSV_: ; @_ZN7rocprim17ROCPRIM_400000_NS6detail17trampoline_kernelINS0_14default_configENS1_27lower_bound_config_selectorIilEEZNS1_14transform_implILb0ES3_S5_N6thrust23THRUST_200600_302600_NS6detail15normal_iteratorINS8_7pointerIiNS8_11hip_rocprim3tagENS8_11use_defaultESE_EEEENSA_INSB_IlSD_SE_SE_EEEEZNS1_13binary_searchIS3_S5_NSA_INSB_IiSD_RiSE_EEEESG_SI_NS1_21lower_bound_search_opENS9_16wrapped_functionINS8_7greaterIiEEbEEEE10hipError_tPvRmT1_T2_T3_mmT4_T5_P12ihipStream_tbEUlRKiE_EESS_SW_SX_mSY_S11_bEUlT_E_NS1_11comp_targetILNS1_3genE2ELNS1_11target_archE906ELNS1_3gpuE6ELNS1_3repE0EEENS1_30default_config_static_selectorELNS0_4arch9wavefront6targetE0EEEvSV_
; %bb.0:
	.section	.rodata,"a",@progbits
	.p2align	6, 0x0
	.amdhsa_kernel _ZN7rocprim17ROCPRIM_400000_NS6detail17trampoline_kernelINS0_14default_configENS1_27lower_bound_config_selectorIilEEZNS1_14transform_implILb0ES3_S5_N6thrust23THRUST_200600_302600_NS6detail15normal_iteratorINS8_7pointerIiNS8_11hip_rocprim3tagENS8_11use_defaultESE_EEEENSA_INSB_IlSD_SE_SE_EEEEZNS1_13binary_searchIS3_S5_NSA_INSB_IiSD_RiSE_EEEESG_SI_NS1_21lower_bound_search_opENS9_16wrapped_functionINS8_7greaterIiEEbEEEE10hipError_tPvRmT1_T2_T3_mmT4_T5_P12ihipStream_tbEUlRKiE_EESS_SW_SX_mSY_S11_bEUlT_E_NS1_11comp_targetILNS1_3genE2ELNS1_11target_archE906ELNS1_3gpuE6ELNS1_3repE0EEENS1_30default_config_static_selectorELNS0_4arch9wavefront6targetE0EEEvSV_
		.amdhsa_group_segment_fixed_size 0
		.amdhsa_private_segment_fixed_size 0
		.amdhsa_kernarg_size 56
		.amdhsa_user_sgpr_count 2
		.amdhsa_user_sgpr_dispatch_ptr 0
		.amdhsa_user_sgpr_queue_ptr 0
		.amdhsa_user_sgpr_kernarg_segment_ptr 1
		.amdhsa_user_sgpr_dispatch_id 0
		.amdhsa_user_sgpr_kernarg_preload_length 0
		.amdhsa_user_sgpr_kernarg_preload_offset 0
		.amdhsa_user_sgpr_private_segment_size 0
		.amdhsa_wavefront_size32 1
		.amdhsa_uses_dynamic_stack 0
		.amdhsa_enable_private_segment 0
		.amdhsa_system_sgpr_workgroup_id_x 1
		.amdhsa_system_sgpr_workgroup_id_y 0
		.amdhsa_system_sgpr_workgroup_id_z 0
		.amdhsa_system_sgpr_workgroup_info 0
		.amdhsa_system_vgpr_workitem_id 0
		.amdhsa_next_free_vgpr 1
		.amdhsa_next_free_sgpr 1
		.amdhsa_named_barrier_count 0
		.amdhsa_reserve_vcc 0
		.amdhsa_float_round_mode_32 0
		.amdhsa_float_round_mode_16_64 0
		.amdhsa_float_denorm_mode_32 3
		.amdhsa_float_denorm_mode_16_64 3
		.amdhsa_fp16_overflow 0
		.amdhsa_memory_ordered 1
		.amdhsa_forward_progress 1
		.amdhsa_inst_pref_size 0
		.amdhsa_round_robin_scheduling 0
		.amdhsa_exception_fp_ieee_invalid_op 0
		.amdhsa_exception_fp_denorm_src 0
		.amdhsa_exception_fp_ieee_div_zero 0
		.amdhsa_exception_fp_ieee_overflow 0
		.amdhsa_exception_fp_ieee_underflow 0
		.amdhsa_exception_fp_ieee_inexact 0
		.amdhsa_exception_int_div_zero 0
	.end_amdhsa_kernel
	.section	.text._ZN7rocprim17ROCPRIM_400000_NS6detail17trampoline_kernelINS0_14default_configENS1_27lower_bound_config_selectorIilEEZNS1_14transform_implILb0ES3_S5_N6thrust23THRUST_200600_302600_NS6detail15normal_iteratorINS8_7pointerIiNS8_11hip_rocprim3tagENS8_11use_defaultESE_EEEENSA_INSB_IlSD_SE_SE_EEEEZNS1_13binary_searchIS3_S5_NSA_INSB_IiSD_RiSE_EEEESG_SI_NS1_21lower_bound_search_opENS9_16wrapped_functionINS8_7greaterIiEEbEEEE10hipError_tPvRmT1_T2_T3_mmT4_T5_P12ihipStream_tbEUlRKiE_EESS_SW_SX_mSY_S11_bEUlT_E_NS1_11comp_targetILNS1_3genE2ELNS1_11target_archE906ELNS1_3gpuE6ELNS1_3repE0EEENS1_30default_config_static_selectorELNS0_4arch9wavefront6targetE0EEEvSV_,"axG",@progbits,_ZN7rocprim17ROCPRIM_400000_NS6detail17trampoline_kernelINS0_14default_configENS1_27lower_bound_config_selectorIilEEZNS1_14transform_implILb0ES3_S5_N6thrust23THRUST_200600_302600_NS6detail15normal_iteratorINS8_7pointerIiNS8_11hip_rocprim3tagENS8_11use_defaultESE_EEEENSA_INSB_IlSD_SE_SE_EEEEZNS1_13binary_searchIS3_S5_NSA_INSB_IiSD_RiSE_EEEESG_SI_NS1_21lower_bound_search_opENS9_16wrapped_functionINS8_7greaterIiEEbEEEE10hipError_tPvRmT1_T2_T3_mmT4_T5_P12ihipStream_tbEUlRKiE_EESS_SW_SX_mSY_S11_bEUlT_E_NS1_11comp_targetILNS1_3genE2ELNS1_11target_archE906ELNS1_3gpuE6ELNS1_3repE0EEENS1_30default_config_static_selectorELNS0_4arch9wavefront6targetE0EEEvSV_,comdat
.Lfunc_end72:
	.size	_ZN7rocprim17ROCPRIM_400000_NS6detail17trampoline_kernelINS0_14default_configENS1_27lower_bound_config_selectorIilEEZNS1_14transform_implILb0ES3_S5_N6thrust23THRUST_200600_302600_NS6detail15normal_iteratorINS8_7pointerIiNS8_11hip_rocprim3tagENS8_11use_defaultESE_EEEENSA_INSB_IlSD_SE_SE_EEEEZNS1_13binary_searchIS3_S5_NSA_INSB_IiSD_RiSE_EEEESG_SI_NS1_21lower_bound_search_opENS9_16wrapped_functionINS8_7greaterIiEEbEEEE10hipError_tPvRmT1_T2_T3_mmT4_T5_P12ihipStream_tbEUlRKiE_EESS_SW_SX_mSY_S11_bEUlT_E_NS1_11comp_targetILNS1_3genE2ELNS1_11target_archE906ELNS1_3gpuE6ELNS1_3repE0EEENS1_30default_config_static_selectorELNS0_4arch9wavefront6targetE0EEEvSV_, .Lfunc_end72-_ZN7rocprim17ROCPRIM_400000_NS6detail17trampoline_kernelINS0_14default_configENS1_27lower_bound_config_selectorIilEEZNS1_14transform_implILb0ES3_S5_N6thrust23THRUST_200600_302600_NS6detail15normal_iteratorINS8_7pointerIiNS8_11hip_rocprim3tagENS8_11use_defaultESE_EEEENSA_INSB_IlSD_SE_SE_EEEEZNS1_13binary_searchIS3_S5_NSA_INSB_IiSD_RiSE_EEEESG_SI_NS1_21lower_bound_search_opENS9_16wrapped_functionINS8_7greaterIiEEbEEEE10hipError_tPvRmT1_T2_T3_mmT4_T5_P12ihipStream_tbEUlRKiE_EESS_SW_SX_mSY_S11_bEUlT_E_NS1_11comp_targetILNS1_3genE2ELNS1_11target_archE906ELNS1_3gpuE6ELNS1_3repE0EEENS1_30default_config_static_selectorELNS0_4arch9wavefront6targetE0EEEvSV_
                                        ; -- End function
	.set _ZN7rocprim17ROCPRIM_400000_NS6detail17trampoline_kernelINS0_14default_configENS1_27lower_bound_config_selectorIilEEZNS1_14transform_implILb0ES3_S5_N6thrust23THRUST_200600_302600_NS6detail15normal_iteratorINS8_7pointerIiNS8_11hip_rocprim3tagENS8_11use_defaultESE_EEEENSA_INSB_IlSD_SE_SE_EEEEZNS1_13binary_searchIS3_S5_NSA_INSB_IiSD_RiSE_EEEESG_SI_NS1_21lower_bound_search_opENS9_16wrapped_functionINS8_7greaterIiEEbEEEE10hipError_tPvRmT1_T2_T3_mmT4_T5_P12ihipStream_tbEUlRKiE_EESS_SW_SX_mSY_S11_bEUlT_E_NS1_11comp_targetILNS1_3genE2ELNS1_11target_archE906ELNS1_3gpuE6ELNS1_3repE0EEENS1_30default_config_static_selectorELNS0_4arch9wavefront6targetE0EEEvSV_.num_vgpr, 0
	.set _ZN7rocprim17ROCPRIM_400000_NS6detail17trampoline_kernelINS0_14default_configENS1_27lower_bound_config_selectorIilEEZNS1_14transform_implILb0ES3_S5_N6thrust23THRUST_200600_302600_NS6detail15normal_iteratorINS8_7pointerIiNS8_11hip_rocprim3tagENS8_11use_defaultESE_EEEENSA_INSB_IlSD_SE_SE_EEEEZNS1_13binary_searchIS3_S5_NSA_INSB_IiSD_RiSE_EEEESG_SI_NS1_21lower_bound_search_opENS9_16wrapped_functionINS8_7greaterIiEEbEEEE10hipError_tPvRmT1_T2_T3_mmT4_T5_P12ihipStream_tbEUlRKiE_EESS_SW_SX_mSY_S11_bEUlT_E_NS1_11comp_targetILNS1_3genE2ELNS1_11target_archE906ELNS1_3gpuE6ELNS1_3repE0EEENS1_30default_config_static_selectorELNS0_4arch9wavefront6targetE0EEEvSV_.num_agpr, 0
	.set _ZN7rocprim17ROCPRIM_400000_NS6detail17trampoline_kernelINS0_14default_configENS1_27lower_bound_config_selectorIilEEZNS1_14transform_implILb0ES3_S5_N6thrust23THRUST_200600_302600_NS6detail15normal_iteratorINS8_7pointerIiNS8_11hip_rocprim3tagENS8_11use_defaultESE_EEEENSA_INSB_IlSD_SE_SE_EEEEZNS1_13binary_searchIS3_S5_NSA_INSB_IiSD_RiSE_EEEESG_SI_NS1_21lower_bound_search_opENS9_16wrapped_functionINS8_7greaterIiEEbEEEE10hipError_tPvRmT1_T2_T3_mmT4_T5_P12ihipStream_tbEUlRKiE_EESS_SW_SX_mSY_S11_bEUlT_E_NS1_11comp_targetILNS1_3genE2ELNS1_11target_archE906ELNS1_3gpuE6ELNS1_3repE0EEENS1_30default_config_static_selectorELNS0_4arch9wavefront6targetE0EEEvSV_.numbered_sgpr, 0
	.set _ZN7rocprim17ROCPRIM_400000_NS6detail17trampoline_kernelINS0_14default_configENS1_27lower_bound_config_selectorIilEEZNS1_14transform_implILb0ES3_S5_N6thrust23THRUST_200600_302600_NS6detail15normal_iteratorINS8_7pointerIiNS8_11hip_rocprim3tagENS8_11use_defaultESE_EEEENSA_INSB_IlSD_SE_SE_EEEEZNS1_13binary_searchIS3_S5_NSA_INSB_IiSD_RiSE_EEEESG_SI_NS1_21lower_bound_search_opENS9_16wrapped_functionINS8_7greaterIiEEbEEEE10hipError_tPvRmT1_T2_T3_mmT4_T5_P12ihipStream_tbEUlRKiE_EESS_SW_SX_mSY_S11_bEUlT_E_NS1_11comp_targetILNS1_3genE2ELNS1_11target_archE906ELNS1_3gpuE6ELNS1_3repE0EEENS1_30default_config_static_selectorELNS0_4arch9wavefront6targetE0EEEvSV_.num_named_barrier, 0
	.set _ZN7rocprim17ROCPRIM_400000_NS6detail17trampoline_kernelINS0_14default_configENS1_27lower_bound_config_selectorIilEEZNS1_14transform_implILb0ES3_S5_N6thrust23THRUST_200600_302600_NS6detail15normal_iteratorINS8_7pointerIiNS8_11hip_rocprim3tagENS8_11use_defaultESE_EEEENSA_INSB_IlSD_SE_SE_EEEEZNS1_13binary_searchIS3_S5_NSA_INSB_IiSD_RiSE_EEEESG_SI_NS1_21lower_bound_search_opENS9_16wrapped_functionINS8_7greaterIiEEbEEEE10hipError_tPvRmT1_T2_T3_mmT4_T5_P12ihipStream_tbEUlRKiE_EESS_SW_SX_mSY_S11_bEUlT_E_NS1_11comp_targetILNS1_3genE2ELNS1_11target_archE906ELNS1_3gpuE6ELNS1_3repE0EEENS1_30default_config_static_selectorELNS0_4arch9wavefront6targetE0EEEvSV_.private_seg_size, 0
	.set _ZN7rocprim17ROCPRIM_400000_NS6detail17trampoline_kernelINS0_14default_configENS1_27lower_bound_config_selectorIilEEZNS1_14transform_implILb0ES3_S5_N6thrust23THRUST_200600_302600_NS6detail15normal_iteratorINS8_7pointerIiNS8_11hip_rocprim3tagENS8_11use_defaultESE_EEEENSA_INSB_IlSD_SE_SE_EEEEZNS1_13binary_searchIS3_S5_NSA_INSB_IiSD_RiSE_EEEESG_SI_NS1_21lower_bound_search_opENS9_16wrapped_functionINS8_7greaterIiEEbEEEE10hipError_tPvRmT1_T2_T3_mmT4_T5_P12ihipStream_tbEUlRKiE_EESS_SW_SX_mSY_S11_bEUlT_E_NS1_11comp_targetILNS1_3genE2ELNS1_11target_archE906ELNS1_3gpuE6ELNS1_3repE0EEENS1_30default_config_static_selectorELNS0_4arch9wavefront6targetE0EEEvSV_.uses_vcc, 0
	.set _ZN7rocprim17ROCPRIM_400000_NS6detail17trampoline_kernelINS0_14default_configENS1_27lower_bound_config_selectorIilEEZNS1_14transform_implILb0ES3_S5_N6thrust23THRUST_200600_302600_NS6detail15normal_iteratorINS8_7pointerIiNS8_11hip_rocprim3tagENS8_11use_defaultESE_EEEENSA_INSB_IlSD_SE_SE_EEEEZNS1_13binary_searchIS3_S5_NSA_INSB_IiSD_RiSE_EEEESG_SI_NS1_21lower_bound_search_opENS9_16wrapped_functionINS8_7greaterIiEEbEEEE10hipError_tPvRmT1_T2_T3_mmT4_T5_P12ihipStream_tbEUlRKiE_EESS_SW_SX_mSY_S11_bEUlT_E_NS1_11comp_targetILNS1_3genE2ELNS1_11target_archE906ELNS1_3gpuE6ELNS1_3repE0EEENS1_30default_config_static_selectorELNS0_4arch9wavefront6targetE0EEEvSV_.uses_flat_scratch, 0
	.set _ZN7rocprim17ROCPRIM_400000_NS6detail17trampoline_kernelINS0_14default_configENS1_27lower_bound_config_selectorIilEEZNS1_14transform_implILb0ES3_S5_N6thrust23THRUST_200600_302600_NS6detail15normal_iteratorINS8_7pointerIiNS8_11hip_rocprim3tagENS8_11use_defaultESE_EEEENSA_INSB_IlSD_SE_SE_EEEEZNS1_13binary_searchIS3_S5_NSA_INSB_IiSD_RiSE_EEEESG_SI_NS1_21lower_bound_search_opENS9_16wrapped_functionINS8_7greaterIiEEbEEEE10hipError_tPvRmT1_T2_T3_mmT4_T5_P12ihipStream_tbEUlRKiE_EESS_SW_SX_mSY_S11_bEUlT_E_NS1_11comp_targetILNS1_3genE2ELNS1_11target_archE906ELNS1_3gpuE6ELNS1_3repE0EEENS1_30default_config_static_selectorELNS0_4arch9wavefront6targetE0EEEvSV_.has_dyn_sized_stack, 0
	.set _ZN7rocprim17ROCPRIM_400000_NS6detail17trampoline_kernelINS0_14default_configENS1_27lower_bound_config_selectorIilEEZNS1_14transform_implILb0ES3_S5_N6thrust23THRUST_200600_302600_NS6detail15normal_iteratorINS8_7pointerIiNS8_11hip_rocprim3tagENS8_11use_defaultESE_EEEENSA_INSB_IlSD_SE_SE_EEEEZNS1_13binary_searchIS3_S5_NSA_INSB_IiSD_RiSE_EEEESG_SI_NS1_21lower_bound_search_opENS9_16wrapped_functionINS8_7greaterIiEEbEEEE10hipError_tPvRmT1_T2_T3_mmT4_T5_P12ihipStream_tbEUlRKiE_EESS_SW_SX_mSY_S11_bEUlT_E_NS1_11comp_targetILNS1_3genE2ELNS1_11target_archE906ELNS1_3gpuE6ELNS1_3repE0EEENS1_30default_config_static_selectorELNS0_4arch9wavefront6targetE0EEEvSV_.has_recursion, 0
	.set _ZN7rocprim17ROCPRIM_400000_NS6detail17trampoline_kernelINS0_14default_configENS1_27lower_bound_config_selectorIilEEZNS1_14transform_implILb0ES3_S5_N6thrust23THRUST_200600_302600_NS6detail15normal_iteratorINS8_7pointerIiNS8_11hip_rocprim3tagENS8_11use_defaultESE_EEEENSA_INSB_IlSD_SE_SE_EEEEZNS1_13binary_searchIS3_S5_NSA_INSB_IiSD_RiSE_EEEESG_SI_NS1_21lower_bound_search_opENS9_16wrapped_functionINS8_7greaterIiEEbEEEE10hipError_tPvRmT1_T2_T3_mmT4_T5_P12ihipStream_tbEUlRKiE_EESS_SW_SX_mSY_S11_bEUlT_E_NS1_11comp_targetILNS1_3genE2ELNS1_11target_archE906ELNS1_3gpuE6ELNS1_3repE0EEENS1_30default_config_static_selectorELNS0_4arch9wavefront6targetE0EEEvSV_.has_indirect_call, 0
	.section	.AMDGPU.csdata,"",@progbits
; Kernel info:
; codeLenInByte = 0
; TotalNumSgprs: 0
; NumVgprs: 0
; ScratchSize: 0
; MemoryBound: 0
; FloatMode: 240
; IeeeMode: 1
; LDSByteSize: 0 bytes/workgroup (compile time only)
; SGPRBlocks: 0
; VGPRBlocks: 0
; NumSGPRsForWavesPerEU: 1
; NumVGPRsForWavesPerEU: 1
; NamedBarCnt: 0
; Occupancy: 16
; WaveLimiterHint : 0
; COMPUTE_PGM_RSRC2:SCRATCH_EN: 0
; COMPUTE_PGM_RSRC2:USER_SGPR: 2
; COMPUTE_PGM_RSRC2:TRAP_HANDLER: 0
; COMPUTE_PGM_RSRC2:TGID_X_EN: 1
; COMPUTE_PGM_RSRC2:TGID_Y_EN: 0
; COMPUTE_PGM_RSRC2:TGID_Z_EN: 0
; COMPUTE_PGM_RSRC2:TIDIG_COMP_CNT: 0
	.section	.text._ZN7rocprim17ROCPRIM_400000_NS6detail17trampoline_kernelINS0_14default_configENS1_27lower_bound_config_selectorIilEEZNS1_14transform_implILb0ES3_S5_N6thrust23THRUST_200600_302600_NS6detail15normal_iteratorINS8_7pointerIiNS8_11hip_rocprim3tagENS8_11use_defaultESE_EEEENSA_INSB_IlSD_SE_SE_EEEEZNS1_13binary_searchIS3_S5_NSA_INSB_IiSD_RiSE_EEEESG_SI_NS1_21lower_bound_search_opENS9_16wrapped_functionINS8_7greaterIiEEbEEEE10hipError_tPvRmT1_T2_T3_mmT4_T5_P12ihipStream_tbEUlRKiE_EESS_SW_SX_mSY_S11_bEUlT_E_NS1_11comp_targetILNS1_3genE10ELNS1_11target_archE1201ELNS1_3gpuE5ELNS1_3repE0EEENS1_30default_config_static_selectorELNS0_4arch9wavefront6targetE0EEEvSV_,"axG",@progbits,_ZN7rocprim17ROCPRIM_400000_NS6detail17trampoline_kernelINS0_14default_configENS1_27lower_bound_config_selectorIilEEZNS1_14transform_implILb0ES3_S5_N6thrust23THRUST_200600_302600_NS6detail15normal_iteratorINS8_7pointerIiNS8_11hip_rocprim3tagENS8_11use_defaultESE_EEEENSA_INSB_IlSD_SE_SE_EEEEZNS1_13binary_searchIS3_S5_NSA_INSB_IiSD_RiSE_EEEESG_SI_NS1_21lower_bound_search_opENS9_16wrapped_functionINS8_7greaterIiEEbEEEE10hipError_tPvRmT1_T2_T3_mmT4_T5_P12ihipStream_tbEUlRKiE_EESS_SW_SX_mSY_S11_bEUlT_E_NS1_11comp_targetILNS1_3genE10ELNS1_11target_archE1201ELNS1_3gpuE5ELNS1_3repE0EEENS1_30default_config_static_selectorELNS0_4arch9wavefront6targetE0EEEvSV_,comdat
	.protected	_ZN7rocprim17ROCPRIM_400000_NS6detail17trampoline_kernelINS0_14default_configENS1_27lower_bound_config_selectorIilEEZNS1_14transform_implILb0ES3_S5_N6thrust23THRUST_200600_302600_NS6detail15normal_iteratorINS8_7pointerIiNS8_11hip_rocprim3tagENS8_11use_defaultESE_EEEENSA_INSB_IlSD_SE_SE_EEEEZNS1_13binary_searchIS3_S5_NSA_INSB_IiSD_RiSE_EEEESG_SI_NS1_21lower_bound_search_opENS9_16wrapped_functionINS8_7greaterIiEEbEEEE10hipError_tPvRmT1_T2_T3_mmT4_T5_P12ihipStream_tbEUlRKiE_EESS_SW_SX_mSY_S11_bEUlT_E_NS1_11comp_targetILNS1_3genE10ELNS1_11target_archE1201ELNS1_3gpuE5ELNS1_3repE0EEENS1_30default_config_static_selectorELNS0_4arch9wavefront6targetE0EEEvSV_ ; -- Begin function _ZN7rocprim17ROCPRIM_400000_NS6detail17trampoline_kernelINS0_14default_configENS1_27lower_bound_config_selectorIilEEZNS1_14transform_implILb0ES3_S5_N6thrust23THRUST_200600_302600_NS6detail15normal_iteratorINS8_7pointerIiNS8_11hip_rocprim3tagENS8_11use_defaultESE_EEEENSA_INSB_IlSD_SE_SE_EEEEZNS1_13binary_searchIS3_S5_NSA_INSB_IiSD_RiSE_EEEESG_SI_NS1_21lower_bound_search_opENS9_16wrapped_functionINS8_7greaterIiEEbEEEE10hipError_tPvRmT1_T2_T3_mmT4_T5_P12ihipStream_tbEUlRKiE_EESS_SW_SX_mSY_S11_bEUlT_E_NS1_11comp_targetILNS1_3genE10ELNS1_11target_archE1201ELNS1_3gpuE5ELNS1_3repE0EEENS1_30default_config_static_selectorELNS0_4arch9wavefront6targetE0EEEvSV_
	.globl	_ZN7rocprim17ROCPRIM_400000_NS6detail17trampoline_kernelINS0_14default_configENS1_27lower_bound_config_selectorIilEEZNS1_14transform_implILb0ES3_S5_N6thrust23THRUST_200600_302600_NS6detail15normal_iteratorINS8_7pointerIiNS8_11hip_rocprim3tagENS8_11use_defaultESE_EEEENSA_INSB_IlSD_SE_SE_EEEEZNS1_13binary_searchIS3_S5_NSA_INSB_IiSD_RiSE_EEEESG_SI_NS1_21lower_bound_search_opENS9_16wrapped_functionINS8_7greaterIiEEbEEEE10hipError_tPvRmT1_T2_T3_mmT4_T5_P12ihipStream_tbEUlRKiE_EESS_SW_SX_mSY_S11_bEUlT_E_NS1_11comp_targetILNS1_3genE10ELNS1_11target_archE1201ELNS1_3gpuE5ELNS1_3repE0EEENS1_30default_config_static_selectorELNS0_4arch9wavefront6targetE0EEEvSV_
	.p2align	8
	.type	_ZN7rocprim17ROCPRIM_400000_NS6detail17trampoline_kernelINS0_14default_configENS1_27lower_bound_config_selectorIilEEZNS1_14transform_implILb0ES3_S5_N6thrust23THRUST_200600_302600_NS6detail15normal_iteratorINS8_7pointerIiNS8_11hip_rocprim3tagENS8_11use_defaultESE_EEEENSA_INSB_IlSD_SE_SE_EEEEZNS1_13binary_searchIS3_S5_NSA_INSB_IiSD_RiSE_EEEESG_SI_NS1_21lower_bound_search_opENS9_16wrapped_functionINS8_7greaterIiEEbEEEE10hipError_tPvRmT1_T2_T3_mmT4_T5_P12ihipStream_tbEUlRKiE_EESS_SW_SX_mSY_S11_bEUlT_E_NS1_11comp_targetILNS1_3genE10ELNS1_11target_archE1201ELNS1_3gpuE5ELNS1_3repE0EEENS1_30default_config_static_selectorELNS0_4arch9wavefront6targetE0EEEvSV_,@function
_ZN7rocprim17ROCPRIM_400000_NS6detail17trampoline_kernelINS0_14default_configENS1_27lower_bound_config_selectorIilEEZNS1_14transform_implILb0ES3_S5_N6thrust23THRUST_200600_302600_NS6detail15normal_iteratorINS8_7pointerIiNS8_11hip_rocprim3tagENS8_11use_defaultESE_EEEENSA_INSB_IlSD_SE_SE_EEEEZNS1_13binary_searchIS3_S5_NSA_INSB_IiSD_RiSE_EEEESG_SI_NS1_21lower_bound_search_opENS9_16wrapped_functionINS8_7greaterIiEEbEEEE10hipError_tPvRmT1_T2_T3_mmT4_T5_P12ihipStream_tbEUlRKiE_EESS_SW_SX_mSY_S11_bEUlT_E_NS1_11comp_targetILNS1_3genE10ELNS1_11target_archE1201ELNS1_3gpuE5ELNS1_3repE0EEENS1_30default_config_static_selectorELNS0_4arch9wavefront6targetE0EEEvSV_: ; @_ZN7rocprim17ROCPRIM_400000_NS6detail17trampoline_kernelINS0_14default_configENS1_27lower_bound_config_selectorIilEEZNS1_14transform_implILb0ES3_S5_N6thrust23THRUST_200600_302600_NS6detail15normal_iteratorINS8_7pointerIiNS8_11hip_rocprim3tagENS8_11use_defaultESE_EEEENSA_INSB_IlSD_SE_SE_EEEEZNS1_13binary_searchIS3_S5_NSA_INSB_IiSD_RiSE_EEEESG_SI_NS1_21lower_bound_search_opENS9_16wrapped_functionINS8_7greaterIiEEbEEEE10hipError_tPvRmT1_T2_T3_mmT4_T5_P12ihipStream_tbEUlRKiE_EESS_SW_SX_mSY_S11_bEUlT_E_NS1_11comp_targetILNS1_3genE10ELNS1_11target_archE1201ELNS1_3gpuE5ELNS1_3repE0EEENS1_30default_config_static_selectorELNS0_4arch9wavefront6targetE0EEEvSV_
; %bb.0:
	.section	.rodata,"a",@progbits
	.p2align	6, 0x0
	.amdhsa_kernel _ZN7rocprim17ROCPRIM_400000_NS6detail17trampoline_kernelINS0_14default_configENS1_27lower_bound_config_selectorIilEEZNS1_14transform_implILb0ES3_S5_N6thrust23THRUST_200600_302600_NS6detail15normal_iteratorINS8_7pointerIiNS8_11hip_rocprim3tagENS8_11use_defaultESE_EEEENSA_INSB_IlSD_SE_SE_EEEEZNS1_13binary_searchIS3_S5_NSA_INSB_IiSD_RiSE_EEEESG_SI_NS1_21lower_bound_search_opENS9_16wrapped_functionINS8_7greaterIiEEbEEEE10hipError_tPvRmT1_T2_T3_mmT4_T5_P12ihipStream_tbEUlRKiE_EESS_SW_SX_mSY_S11_bEUlT_E_NS1_11comp_targetILNS1_3genE10ELNS1_11target_archE1201ELNS1_3gpuE5ELNS1_3repE0EEENS1_30default_config_static_selectorELNS0_4arch9wavefront6targetE0EEEvSV_
		.amdhsa_group_segment_fixed_size 0
		.amdhsa_private_segment_fixed_size 0
		.amdhsa_kernarg_size 56
		.amdhsa_user_sgpr_count 2
		.amdhsa_user_sgpr_dispatch_ptr 0
		.amdhsa_user_sgpr_queue_ptr 0
		.amdhsa_user_sgpr_kernarg_segment_ptr 1
		.amdhsa_user_sgpr_dispatch_id 0
		.amdhsa_user_sgpr_kernarg_preload_length 0
		.amdhsa_user_sgpr_kernarg_preload_offset 0
		.amdhsa_user_sgpr_private_segment_size 0
		.amdhsa_wavefront_size32 1
		.amdhsa_uses_dynamic_stack 0
		.amdhsa_enable_private_segment 0
		.amdhsa_system_sgpr_workgroup_id_x 1
		.amdhsa_system_sgpr_workgroup_id_y 0
		.amdhsa_system_sgpr_workgroup_id_z 0
		.amdhsa_system_sgpr_workgroup_info 0
		.amdhsa_system_vgpr_workitem_id 0
		.amdhsa_next_free_vgpr 1
		.amdhsa_next_free_sgpr 1
		.amdhsa_named_barrier_count 0
		.amdhsa_reserve_vcc 0
		.amdhsa_float_round_mode_32 0
		.amdhsa_float_round_mode_16_64 0
		.amdhsa_float_denorm_mode_32 3
		.amdhsa_float_denorm_mode_16_64 3
		.amdhsa_fp16_overflow 0
		.amdhsa_memory_ordered 1
		.amdhsa_forward_progress 1
		.amdhsa_inst_pref_size 0
		.amdhsa_round_robin_scheduling 0
		.amdhsa_exception_fp_ieee_invalid_op 0
		.amdhsa_exception_fp_denorm_src 0
		.amdhsa_exception_fp_ieee_div_zero 0
		.amdhsa_exception_fp_ieee_overflow 0
		.amdhsa_exception_fp_ieee_underflow 0
		.amdhsa_exception_fp_ieee_inexact 0
		.amdhsa_exception_int_div_zero 0
	.end_amdhsa_kernel
	.section	.text._ZN7rocprim17ROCPRIM_400000_NS6detail17trampoline_kernelINS0_14default_configENS1_27lower_bound_config_selectorIilEEZNS1_14transform_implILb0ES3_S5_N6thrust23THRUST_200600_302600_NS6detail15normal_iteratorINS8_7pointerIiNS8_11hip_rocprim3tagENS8_11use_defaultESE_EEEENSA_INSB_IlSD_SE_SE_EEEEZNS1_13binary_searchIS3_S5_NSA_INSB_IiSD_RiSE_EEEESG_SI_NS1_21lower_bound_search_opENS9_16wrapped_functionINS8_7greaterIiEEbEEEE10hipError_tPvRmT1_T2_T3_mmT4_T5_P12ihipStream_tbEUlRKiE_EESS_SW_SX_mSY_S11_bEUlT_E_NS1_11comp_targetILNS1_3genE10ELNS1_11target_archE1201ELNS1_3gpuE5ELNS1_3repE0EEENS1_30default_config_static_selectorELNS0_4arch9wavefront6targetE0EEEvSV_,"axG",@progbits,_ZN7rocprim17ROCPRIM_400000_NS6detail17trampoline_kernelINS0_14default_configENS1_27lower_bound_config_selectorIilEEZNS1_14transform_implILb0ES3_S5_N6thrust23THRUST_200600_302600_NS6detail15normal_iteratorINS8_7pointerIiNS8_11hip_rocprim3tagENS8_11use_defaultESE_EEEENSA_INSB_IlSD_SE_SE_EEEEZNS1_13binary_searchIS3_S5_NSA_INSB_IiSD_RiSE_EEEESG_SI_NS1_21lower_bound_search_opENS9_16wrapped_functionINS8_7greaterIiEEbEEEE10hipError_tPvRmT1_T2_T3_mmT4_T5_P12ihipStream_tbEUlRKiE_EESS_SW_SX_mSY_S11_bEUlT_E_NS1_11comp_targetILNS1_3genE10ELNS1_11target_archE1201ELNS1_3gpuE5ELNS1_3repE0EEENS1_30default_config_static_selectorELNS0_4arch9wavefront6targetE0EEEvSV_,comdat
.Lfunc_end73:
	.size	_ZN7rocprim17ROCPRIM_400000_NS6detail17trampoline_kernelINS0_14default_configENS1_27lower_bound_config_selectorIilEEZNS1_14transform_implILb0ES3_S5_N6thrust23THRUST_200600_302600_NS6detail15normal_iteratorINS8_7pointerIiNS8_11hip_rocprim3tagENS8_11use_defaultESE_EEEENSA_INSB_IlSD_SE_SE_EEEEZNS1_13binary_searchIS3_S5_NSA_INSB_IiSD_RiSE_EEEESG_SI_NS1_21lower_bound_search_opENS9_16wrapped_functionINS8_7greaterIiEEbEEEE10hipError_tPvRmT1_T2_T3_mmT4_T5_P12ihipStream_tbEUlRKiE_EESS_SW_SX_mSY_S11_bEUlT_E_NS1_11comp_targetILNS1_3genE10ELNS1_11target_archE1201ELNS1_3gpuE5ELNS1_3repE0EEENS1_30default_config_static_selectorELNS0_4arch9wavefront6targetE0EEEvSV_, .Lfunc_end73-_ZN7rocprim17ROCPRIM_400000_NS6detail17trampoline_kernelINS0_14default_configENS1_27lower_bound_config_selectorIilEEZNS1_14transform_implILb0ES3_S5_N6thrust23THRUST_200600_302600_NS6detail15normal_iteratorINS8_7pointerIiNS8_11hip_rocprim3tagENS8_11use_defaultESE_EEEENSA_INSB_IlSD_SE_SE_EEEEZNS1_13binary_searchIS3_S5_NSA_INSB_IiSD_RiSE_EEEESG_SI_NS1_21lower_bound_search_opENS9_16wrapped_functionINS8_7greaterIiEEbEEEE10hipError_tPvRmT1_T2_T3_mmT4_T5_P12ihipStream_tbEUlRKiE_EESS_SW_SX_mSY_S11_bEUlT_E_NS1_11comp_targetILNS1_3genE10ELNS1_11target_archE1201ELNS1_3gpuE5ELNS1_3repE0EEENS1_30default_config_static_selectorELNS0_4arch9wavefront6targetE0EEEvSV_
                                        ; -- End function
	.set _ZN7rocprim17ROCPRIM_400000_NS6detail17trampoline_kernelINS0_14default_configENS1_27lower_bound_config_selectorIilEEZNS1_14transform_implILb0ES3_S5_N6thrust23THRUST_200600_302600_NS6detail15normal_iteratorINS8_7pointerIiNS8_11hip_rocprim3tagENS8_11use_defaultESE_EEEENSA_INSB_IlSD_SE_SE_EEEEZNS1_13binary_searchIS3_S5_NSA_INSB_IiSD_RiSE_EEEESG_SI_NS1_21lower_bound_search_opENS9_16wrapped_functionINS8_7greaterIiEEbEEEE10hipError_tPvRmT1_T2_T3_mmT4_T5_P12ihipStream_tbEUlRKiE_EESS_SW_SX_mSY_S11_bEUlT_E_NS1_11comp_targetILNS1_3genE10ELNS1_11target_archE1201ELNS1_3gpuE5ELNS1_3repE0EEENS1_30default_config_static_selectorELNS0_4arch9wavefront6targetE0EEEvSV_.num_vgpr, 0
	.set _ZN7rocprim17ROCPRIM_400000_NS6detail17trampoline_kernelINS0_14default_configENS1_27lower_bound_config_selectorIilEEZNS1_14transform_implILb0ES3_S5_N6thrust23THRUST_200600_302600_NS6detail15normal_iteratorINS8_7pointerIiNS8_11hip_rocprim3tagENS8_11use_defaultESE_EEEENSA_INSB_IlSD_SE_SE_EEEEZNS1_13binary_searchIS3_S5_NSA_INSB_IiSD_RiSE_EEEESG_SI_NS1_21lower_bound_search_opENS9_16wrapped_functionINS8_7greaterIiEEbEEEE10hipError_tPvRmT1_T2_T3_mmT4_T5_P12ihipStream_tbEUlRKiE_EESS_SW_SX_mSY_S11_bEUlT_E_NS1_11comp_targetILNS1_3genE10ELNS1_11target_archE1201ELNS1_3gpuE5ELNS1_3repE0EEENS1_30default_config_static_selectorELNS0_4arch9wavefront6targetE0EEEvSV_.num_agpr, 0
	.set _ZN7rocprim17ROCPRIM_400000_NS6detail17trampoline_kernelINS0_14default_configENS1_27lower_bound_config_selectorIilEEZNS1_14transform_implILb0ES3_S5_N6thrust23THRUST_200600_302600_NS6detail15normal_iteratorINS8_7pointerIiNS8_11hip_rocprim3tagENS8_11use_defaultESE_EEEENSA_INSB_IlSD_SE_SE_EEEEZNS1_13binary_searchIS3_S5_NSA_INSB_IiSD_RiSE_EEEESG_SI_NS1_21lower_bound_search_opENS9_16wrapped_functionINS8_7greaterIiEEbEEEE10hipError_tPvRmT1_T2_T3_mmT4_T5_P12ihipStream_tbEUlRKiE_EESS_SW_SX_mSY_S11_bEUlT_E_NS1_11comp_targetILNS1_3genE10ELNS1_11target_archE1201ELNS1_3gpuE5ELNS1_3repE0EEENS1_30default_config_static_selectorELNS0_4arch9wavefront6targetE0EEEvSV_.numbered_sgpr, 0
	.set _ZN7rocprim17ROCPRIM_400000_NS6detail17trampoline_kernelINS0_14default_configENS1_27lower_bound_config_selectorIilEEZNS1_14transform_implILb0ES3_S5_N6thrust23THRUST_200600_302600_NS6detail15normal_iteratorINS8_7pointerIiNS8_11hip_rocprim3tagENS8_11use_defaultESE_EEEENSA_INSB_IlSD_SE_SE_EEEEZNS1_13binary_searchIS3_S5_NSA_INSB_IiSD_RiSE_EEEESG_SI_NS1_21lower_bound_search_opENS9_16wrapped_functionINS8_7greaterIiEEbEEEE10hipError_tPvRmT1_T2_T3_mmT4_T5_P12ihipStream_tbEUlRKiE_EESS_SW_SX_mSY_S11_bEUlT_E_NS1_11comp_targetILNS1_3genE10ELNS1_11target_archE1201ELNS1_3gpuE5ELNS1_3repE0EEENS1_30default_config_static_selectorELNS0_4arch9wavefront6targetE0EEEvSV_.num_named_barrier, 0
	.set _ZN7rocprim17ROCPRIM_400000_NS6detail17trampoline_kernelINS0_14default_configENS1_27lower_bound_config_selectorIilEEZNS1_14transform_implILb0ES3_S5_N6thrust23THRUST_200600_302600_NS6detail15normal_iteratorINS8_7pointerIiNS8_11hip_rocprim3tagENS8_11use_defaultESE_EEEENSA_INSB_IlSD_SE_SE_EEEEZNS1_13binary_searchIS3_S5_NSA_INSB_IiSD_RiSE_EEEESG_SI_NS1_21lower_bound_search_opENS9_16wrapped_functionINS8_7greaterIiEEbEEEE10hipError_tPvRmT1_T2_T3_mmT4_T5_P12ihipStream_tbEUlRKiE_EESS_SW_SX_mSY_S11_bEUlT_E_NS1_11comp_targetILNS1_3genE10ELNS1_11target_archE1201ELNS1_3gpuE5ELNS1_3repE0EEENS1_30default_config_static_selectorELNS0_4arch9wavefront6targetE0EEEvSV_.private_seg_size, 0
	.set _ZN7rocprim17ROCPRIM_400000_NS6detail17trampoline_kernelINS0_14default_configENS1_27lower_bound_config_selectorIilEEZNS1_14transform_implILb0ES3_S5_N6thrust23THRUST_200600_302600_NS6detail15normal_iteratorINS8_7pointerIiNS8_11hip_rocprim3tagENS8_11use_defaultESE_EEEENSA_INSB_IlSD_SE_SE_EEEEZNS1_13binary_searchIS3_S5_NSA_INSB_IiSD_RiSE_EEEESG_SI_NS1_21lower_bound_search_opENS9_16wrapped_functionINS8_7greaterIiEEbEEEE10hipError_tPvRmT1_T2_T3_mmT4_T5_P12ihipStream_tbEUlRKiE_EESS_SW_SX_mSY_S11_bEUlT_E_NS1_11comp_targetILNS1_3genE10ELNS1_11target_archE1201ELNS1_3gpuE5ELNS1_3repE0EEENS1_30default_config_static_selectorELNS0_4arch9wavefront6targetE0EEEvSV_.uses_vcc, 0
	.set _ZN7rocprim17ROCPRIM_400000_NS6detail17trampoline_kernelINS0_14default_configENS1_27lower_bound_config_selectorIilEEZNS1_14transform_implILb0ES3_S5_N6thrust23THRUST_200600_302600_NS6detail15normal_iteratorINS8_7pointerIiNS8_11hip_rocprim3tagENS8_11use_defaultESE_EEEENSA_INSB_IlSD_SE_SE_EEEEZNS1_13binary_searchIS3_S5_NSA_INSB_IiSD_RiSE_EEEESG_SI_NS1_21lower_bound_search_opENS9_16wrapped_functionINS8_7greaterIiEEbEEEE10hipError_tPvRmT1_T2_T3_mmT4_T5_P12ihipStream_tbEUlRKiE_EESS_SW_SX_mSY_S11_bEUlT_E_NS1_11comp_targetILNS1_3genE10ELNS1_11target_archE1201ELNS1_3gpuE5ELNS1_3repE0EEENS1_30default_config_static_selectorELNS0_4arch9wavefront6targetE0EEEvSV_.uses_flat_scratch, 0
	.set _ZN7rocprim17ROCPRIM_400000_NS6detail17trampoline_kernelINS0_14default_configENS1_27lower_bound_config_selectorIilEEZNS1_14transform_implILb0ES3_S5_N6thrust23THRUST_200600_302600_NS6detail15normal_iteratorINS8_7pointerIiNS8_11hip_rocprim3tagENS8_11use_defaultESE_EEEENSA_INSB_IlSD_SE_SE_EEEEZNS1_13binary_searchIS3_S5_NSA_INSB_IiSD_RiSE_EEEESG_SI_NS1_21lower_bound_search_opENS9_16wrapped_functionINS8_7greaterIiEEbEEEE10hipError_tPvRmT1_T2_T3_mmT4_T5_P12ihipStream_tbEUlRKiE_EESS_SW_SX_mSY_S11_bEUlT_E_NS1_11comp_targetILNS1_3genE10ELNS1_11target_archE1201ELNS1_3gpuE5ELNS1_3repE0EEENS1_30default_config_static_selectorELNS0_4arch9wavefront6targetE0EEEvSV_.has_dyn_sized_stack, 0
	.set _ZN7rocprim17ROCPRIM_400000_NS6detail17trampoline_kernelINS0_14default_configENS1_27lower_bound_config_selectorIilEEZNS1_14transform_implILb0ES3_S5_N6thrust23THRUST_200600_302600_NS6detail15normal_iteratorINS8_7pointerIiNS8_11hip_rocprim3tagENS8_11use_defaultESE_EEEENSA_INSB_IlSD_SE_SE_EEEEZNS1_13binary_searchIS3_S5_NSA_INSB_IiSD_RiSE_EEEESG_SI_NS1_21lower_bound_search_opENS9_16wrapped_functionINS8_7greaterIiEEbEEEE10hipError_tPvRmT1_T2_T3_mmT4_T5_P12ihipStream_tbEUlRKiE_EESS_SW_SX_mSY_S11_bEUlT_E_NS1_11comp_targetILNS1_3genE10ELNS1_11target_archE1201ELNS1_3gpuE5ELNS1_3repE0EEENS1_30default_config_static_selectorELNS0_4arch9wavefront6targetE0EEEvSV_.has_recursion, 0
	.set _ZN7rocprim17ROCPRIM_400000_NS6detail17trampoline_kernelINS0_14default_configENS1_27lower_bound_config_selectorIilEEZNS1_14transform_implILb0ES3_S5_N6thrust23THRUST_200600_302600_NS6detail15normal_iteratorINS8_7pointerIiNS8_11hip_rocprim3tagENS8_11use_defaultESE_EEEENSA_INSB_IlSD_SE_SE_EEEEZNS1_13binary_searchIS3_S5_NSA_INSB_IiSD_RiSE_EEEESG_SI_NS1_21lower_bound_search_opENS9_16wrapped_functionINS8_7greaterIiEEbEEEE10hipError_tPvRmT1_T2_T3_mmT4_T5_P12ihipStream_tbEUlRKiE_EESS_SW_SX_mSY_S11_bEUlT_E_NS1_11comp_targetILNS1_3genE10ELNS1_11target_archE1201ELNS1_3gpuE5ELNS1_3repE0EEENS1_30default_config_static_selectorELNS0_4arch9wavefront6targetE0EEEvSV_.has_indirect_call, 0
	.section	.AMDGPU.csdata,"",@progbits
; Kernel info:
; codeLenInByte = 0
; TotalNumSgprs: 0
; NumVgprs: 0
; ScratchSize: 0
; MemoryBound: 0
; FloatMode: 240
; IeeeMode: 1
; LDSByteSize: 0 bytes/workgroup (compile time only)
; SGPRBlocks: 0
; VGPRBlocks: 0
; NumSGPRsForWavesPerEU: 1
; NumVGPRsForWavesPerEU: 1
; NamedBarCnt: 0
; Occupancy: 16
; WaveLimiterHint : 0
; COMPUTE_PGM_RSRC2:SCRATCH_EN: 0
; COMPUTE_PGM_RSRC2:USER_SGPR: 2
; COMPUTE_PGM_RSRC2:TRAP_HANDLER: 0
; COMPUTE_PGM_RSRC2:TGID_X_EN: 1
; COMPUTE_PGM_RSRC2:TGID_Y_EN: 0
; COMPUTE_PGM_RSRC2:TGID_Z_EN: 0
; COMPUTE_PGM_RSRC2:TIDIG_COMP_CNT: 0
	.section	.text._ZN7rocprim17ROCPRIM_400000_NS6detail17trampoline_kernelINS0_14default_configENS1_27lower_bound_config_selectorIilEEZNS1_14transform_implILb0ES3_S5_N6thrust23THRUST_200600_302600_NS6detail15normal_iteratorINS8_7pointerIiNS8_11hip_rocprim3tagENS8_11use_defaultESE_EEEENSA_INSB_IlSD_SE_SE_EEEEZNS1_13binary_searchIS3_S5_NSA_INSB_IiSD_RiSE_EEEESG_SI_NS1_21lower_bound_search_opENS9_16wrapped_functionINS8_7greaterIiEEbEEEE10hipError_tPvRmT1_T2_T3_mmT4_T5_P12ihipStream_tbEUlRKiE_EESS_SW_SX_mSY_S11_bEUlT_E_NS1_11comp_targetILNS1_3genE10ELNS1_11target_archE1200ELNS1_3gpuE4ELNS1_3repE0EEENS1_30default_config_static_selectorELNS0_4arch9wavefront6targetE0EEEvSV_,"axG",@progbits,_ZN7rocprim17ROCPRIM_400000_NS6detail17trampoline_kernelINS0_14default_configENS1_27lower_bound_config_selectorIilEEZNS1_14transform_implILb0ES3_S5_N6thrust23THRUST_200600_302600_NS6detail15normal_iteratorINS8_7pointerIiNS8_11hip_rocprim3tagENS8_11use_defaultESE_EEEENSA_INSB_IlSD_SE_SE_EEEEZNS1_13binary_searchIS3_S5_NSA_INSB_IiSD_RiSE_EEEESG_SI_NS1_21lower_bound_search_opENS9_16wrapped_functionINS8_7greaterIiEEbEEEE10hipError_tPvRmT1_T2_T3_mmT4_T5_P12ihipStream_tbEUlRKiE_EESS_SW_SX_mSY_S11_bEUlT_E_NS1_11comp_targetILNS1_3genE10ELNS1_11target_archE1200ELNS1_3gpuE4ELNS1_3repE0EEENS1_30default_config_static_selectorELNS0_4arch9wavefront6targetE0EEEvSV_,comdat
	.protected	_ZN7rocprim17ROCPRIM_400000_NS6detail17trampoline_kernelINS0_14default_configENS1_27lower_bound_config_selectorIilEEZNS1_14transform_implILb0ES3_S5_N6thrust23THRUST_200600_302600_NS6detail15normal_iteratorINS8_7pointerIiNS8_11hip_rocprim3tagENS8_11use_defaultESE_EEEENSA_INSB_IlSD_SE_SE_EEEEZNS1_13binary_searchIS3_S5_NSA_INSB_IiSD_RiSE_EEEESG_SI_NS1_21lower_bound_search_opENS9_16wrapped_functionINS8_7greaterIiEEbEEEE10hipError_tPvRmT1_T2_T3_mmT4_T5_P12ihipStream_tbEUlRKiE_EESS_SW_SX_mSY_S11_bEUlT_E_NS1_11comp_targetILNS1_3genE10ELNS1_11target_archE1200ELNS1_3gpuE4ELNS1_3repE0EEENS1_30default_config_static_selectorELNS0_4arch9wavefront6targetE0EEEvSV_ ; -- Begin function _ZN7rocprim17ROCPRIM_400000_NS6detail17trampoline_kernelINS0_14default_configENS1_27lower_bound_config_selectorIilEEZNS1_14transform_implILb0ES3_S5_N6thrust23THRUST_200600_302600_NS6detail15normal_iteratorINS8_7pointerIiNS8_11hip_rocprim3tagENS8_11use_defaultESE_EEEENSA_INSB_IlSD_SE_SE_EEEEZNS1_13binary_searchIS3_S5_NSA_INSB_IiSD_RiSE_EEEESG_SI_NS1_21lower_bound_search_opENS9_16wrapped_functionINS8_7greaterIiEEbEEEE10hipError_tPvRmT1_T2_T3_mmT4_T5_P12ihipStream_tbEUlRKiE_EESS_SW_SX_mSY_S11_bEUlT_E_NS1_11comp_targetILNS1_3genE10ELNS1_11target_archE1200ELNS1_3gpuE4ELNS1_3repE0EEENS1_30default_config_static_selectorELNS0_4arch9wavefront6targetE0EEEvSV_
	.globl	_ZN7rocprim17ROCPRIM_400000_NS6detail17trampoline_kernelINS0_14default_configENS1_27lower_bound_config_selectorIilEEZNS1_14transform_implILb0ES3_S5_N6thrust23THRUST_200600_302600_NS6detail15normal_iteratorINS8_7pointerIiNS8_11hip_rocprim3tagENS8_11use_defaultESE_EEEENSA_INSB_IlSD_SE_SE_EEEEZNS1_13binary_searchIS3_S5_NSA_INSB_IiSD_RiSE_EEEESG_SI_NS1_21lower_bound_search_opENS9_16wrapped_functionINS8_7greaterIiEEbEEEE10hipError_tPvRmT1_T2_T3_mmT4_T5_P12ihipStream_tbEUlRKiE_EESS_SW_SX_mSY_S11_bEUlT_E_NS1_11comp_targetILNS1_3genE10ELNS1_11target_archE1200ELNS1_3gpuE4ELNS1_3repE0EEENS1_30default_config_static_selectorELNS0_4arch9wavefront6targetE0EEEvSV_
	.p2align	8
	.type	_ZN7rocprim17ROCPRIM_400000_NS6detail17trampoline_kernelINS0_14default_configENS1_27lower_bound_config_selectorIilEEZNS1_14transform_implILb0ES3_S5_N6thrust23THRUST_200600_302600_NS6detail15normal_iteratorINS8_7pointerIiNS8_11hip_rocprim3tagENS8_11use_defaultESE_EEEENSA_INSB_IlSD_SE_SE_EEEEZNS1_13binary_searchIS3_S5_NSA_INSB_IiSD_RiSE_EEEESG_SI_NS1_21lower_bound_search_opENS9_16wrapped_functionINS8_7greaterIiEEbEEEE10hipError_tPvRmT1_T2_T3_mmT4_T5_P12ihipStream_tbEUlRKiE_EESS_SW_SX_mSY_S11_bEUlT_E_NS1_11comp_targetILNS1_3genE10ELNS1_11target_archE1200ELNS1_3gpuE4ELNS1_3repE0EEENS1_30default_config_static_selectorELNS0_4arch9wavefront6targetE0EEEvSV_,@function
_ZN7rocprim17ROCPRIM_400000_NS6detail17trampoline_kernelINS0_14default_configENS1_27lower_bound_config_selectorIilEEZNS1_14transform_implILb0ES3_S5_N6thrust23THRUST_200600_302600_NS6detail15normal_iteratorINS8_7pointerIiNS8_11hip_rocprim3tagENS8_11use_defaultESE_EEEENSA_INSB_IlSD_SE_SE_EEEEZNS1_13binary_searchIS3_S5_NSA_INSB_IiSD_RiSE_EEEESG_SI_NS1_21lower_bound_search_opENS9_16wrapped_functionINS8_7greaterIiEEbEEEE10hipError_tPvRmT1_T2_T3_mmT4_T5_P12ihipStream_tbEUlRKiE_EESS_SW_SX_mSY_S11_bEUlT_E_NS1_11comp_targetILNS1_3genE10ELNS1_11target_archE1200ELNS1_3gpuE4ELNS1_3repE0EEENS1_30default_config_static_selectorELNS0_4arch9wavefront6targetE0EEEvSV_: ; @_ZN7rocprim17ROCPRIM_400000_NS6detail17trampoline_kernelINS0_14default_configENS1_27lower_bound_config_selectorIilEEZNS1_14transform_implILb0ES3_S5_N6thrust23THRUST_200600_302600_NS6detail15normal_iteratorINS8_7pointerIiNS8_11hip_rocprim3tagENS8_11use_defaultESE_EEEENSA_INSB_IlSD_SE_SE_EEEEZNS1_13binary_searchIS3_S5_NSA_INSB_IiSD_RiSE_EEEESG_SI_NS1_21lower_bound_search_opENS9_16wrapped_functionINS8_7greaterIiEEbEEEE10hipError_tPvRmT1_T2_T3_mmT4_T5_P12ihipStream_tbEUlRKiE_EESS_SW_SX_mSY_S11_bEUlT_E_NS1_11comp_targetILNS1_3genE10ELNS1_11target_archE1200ELNS1_3gpuE4ELNS1_3repE0EEENS1_30default_config_static_selectorELNS0_4arch9wavefront6targetE0EEEvSV_
; %bb.0:
	.section	.rodata,"a",@progbits
	.p2align	6, 0x0
	.amdhsa_kernel _ZN7rocprim17ROCPRIM_400000_NS6detail17trampoline_kernelINS0_14default_configENS1_27lower_bound_config_selectorIilEEZNS1_14transform_implILb0ES3_S5_N6thrust23THRUST_200600_302600_NS6detail15normal_iteratorINS8_7pointerIiNS8_11hip_rocprim3tagENS8_11use_defaultESE_EEEENSA_INSB_IlSD_SE_SE_EEEEZNS1_13binary_searchIS3_S5_NSA_INSB_IiSD_RiSE_EEEESG_SI_NS1_21lower_bound_search_opENS9_16wrapped_functionINS8_7greaterIiEEbEEEE10hipError_tPvRmT1_T2_T3_mmT4_T5_P12ihipStream_tbEUlRKiE_EESS_SW_SX_mSY_S11_bEUlT_E_NS1_11comp_targetILNS1_3genE10ELNS1_11target_archE1200ELNS1_3gpuE4ELNS1_3repE0EEENS1_30default_config_static_selectorELNS0_4arch9wavefront6targetE0EEEvSV_
		.amdhsa_group_segment_fixed_size 0
		.amdhsa_private_segment_fixed_size 0
		.amdhsa_kernarg_size 56
		.amdhsa_user_sgpr_count 2
		.amdhsa_user_sgpr_dispatch_ptr 0
		.amdhsa_user_sgpr_queue_ptr 0
		.amdhsa_user_sgpr_kernarg_segment_ptr 1
		.amdhsa_user_sgpr_dispatch_id 0
		.amdhsa_user_sgpr_kernarg_preload_length 0
		.amdhsa_user_sgpr_kernarg_preload_offset 0
		.amdhsa_user_sgpr_private_segment_size 0
		.amdhsa_wavefront_size32 1
		.amdhsa_uses_dynamic_stack 0
		.amdhsa_enable_private_segment 0
		.amdhsa_system_sgpr_workgroup_id_x 1
		.amdhsa_system_sgpr_workgroup_id_y 0
		.amdhsa_system_sgpr_workgroup_id_z 0
		.amdhsa_system_sgpr_workgroup_info 0
		.amdhsa_system_vgpr_workitem_id 0
		.amdhsa_next_free_vgpr 1
		.amdhsa_next_free_sgpr 1
		.amdhsa_named_barrier_count 0
		.amdhsa_reserve_vcc 0
		.amdhsa_float_round_mode_32 0
		.amdhsa_float_round_mode_16_64 0
		.amdhsa_float_denorm_mode_32 3
		.amdhsa_float_denorm_mode_16_64 3
		.amdhsa_fp16_overflow 0
		.amdhsa_memory_ordered 1
		.amdhsa_forward_progress 1
		.amdhsa_inst_pref_size 0
		.amdhsa_round_robin_scheduling 0
		.amdhsa_exception_fp_ieee_invalid_op 0
		.amdhsa_exception_fp_denorm_src 0
		.amdhsa_exception_fp_ieee_div_zero 0
		.amdhsa_exception_fp_ieee_overflow 0
		.amdhsa_exception_fp_ieee_underflow 0
		.amdhsa_exception_fp_ieee_inexact 0
		.amdhsa_exception_int_div_zero 0
	.end_amdhsa_kernel
	.section	.text._ZN7rocprim17ROCPRIM_400000_NS6detail17trampoline_kernelINS0_14default_configENS1_27lower_bound_config_selectorIilEEZNS1_14transform_implILb0ES3_S5_N6thrust23THRUST_200600_302600_NS6detail15normal_iteratorINS8_7pointerIiNS8_11hip_rocprim3tagENS8_11use_defaultESE_EEEENSA_INSB_IlSD_SE_SE_EEEEZNS1_13binary_searchIS3_S5_NSA_INSB_IiSD_RiSE_EEEESG_SI_NS1_21lower_bound_search_opENS9_16wrapped_functionINS8_7greaterIiEEbEEEE10hipError_tPvRmT1_T2_T3_mmT4_T5_P12ihipStream_tbEUlRKiE_EESS_SW_SX_mSY_S11_bEUlT_E_NS1_11comp_targetILNS1_3genE10ELNS1_11target_archE1200ELNS1_3gpuE4ELNS1_3repE0EEENS1_30default_config_static_selectorELNS0_4arch9wavefront6targetE0EEEvSV_,"axG",@progbits,_ZN7rocprim17ROCPRIM_400000_NS6detail17trampoline_kernelINS0_14default_configENS1_27lower_bound_config_selectorIilEEZNS1_14transform_implILb0ES3_S5_N6thrust23THRUST_200600_302600_NS6detail15normal_iteratorINS8_7pointerIiNS8_11hip_rocprim3tagENS8_11use_defaultESE_EEEENSA_INSB_IlSD_SE_SE_EEEEZNS1_13binary_searchIS3_S5_NSA_INSB_IiSD_RiSE_EEEESG_SI_NS1_21lower_bound_search_opENS9_16wrapped_functionINS8_7greaterIiEEbEEEE10hipError_tPvRmT1_T2_T3_mmT4_T5_P12ihipStream_tbEUlRKiE_EESS_SW_SX_mSY_S11_bEUlT_E_NS1_11comp_targetILNS1_3genE10ELNS1_11target_archE1200ELNS1_3gpuE4ELNS1_3repE0EEENS1_30default_config_static_selectorELNS0_4arch9wavefront6targetE0EEEvSV_,comdat
.Lfunc_end74:
	.size	_ZN7rocprim17ROCPRIM_400000_NS6detail17trampoline_kernelINS0_14default_configENS1_27lower_bound_config_selectorIilEEZNS1_14transform_implILb0ES3_S5_N6thrust23THRUST_200600_302600_NS6detail15normal_iteratorINS8_7pointerIiNS8_11hip_rocprim3tagENS8_11use_defaultESE_EEEENSA_INSB_IlSD_SE_SE_EEEEZNS1_13binary_searchIS3_S5_NSA_INSB_IiSD_RiSE_EEEESG_SI_NS1_21lower_bound_search_opENS9_16wrapped_functionINS8_7greaterIiEEbEEEE10hipError_tPvRmT1_T2_T3_mmT4_T5_P12ihipStream_tbEUlRKiE_EESS_SW_SX_mSY_S11_bEUlT_E_NS1_11comp_targetILNS1_3genE10ELNS1_11target_archE1200ELNS1_3gpuE4ELNS1_3repE0EEENS1_30default_config_static_selectorELNS0_4arch9wavefront6targetE0EEEvSV_, .Lfunc_end74-_ZN7rocprim17ROCPRIM_400000_NS6detail17trampoline_kernelINS0_14default_configENS1_27lower_bound_config_selectorIilEEZNS1_14transform_implILb0ES3_S5_N6thrust23THRUST_200600_302600_NS6detail15normal_iteratorINS8_7pointerIiNS8_11hip_rocprim3tagENS8_11use_defaultESE_EEEENSA_INSB_IlSD_SE_SE_EEEEZNS1_13binary_searchIS3_S5_NSA_INSB_IiSD_RiSE_EEEESG_SI_NS1_21lower_bound_search_opENS9_16wrapped_functionINS8_7greaterIiEEbEEEE10hipError_tPvRmT1_T2_T3_mmT4_T5_P12ihipStream_tbEUlRKiE_EESS_SW_SX_mSY_S11_bEUlT_E_NS1_11comp_targetILNS1_3genE10ELNS1_11target_archE1200ELNS1_3gpuE4ELNS1_3repE0EEENS1_30default_config_static_selectorELNS0_4arch9wavefront6targetE0EEEvSV_
                                        ; -- End function
	.set _ZN7rocprim17ROCPRIM_400000_NS6detail17trampoline_kernelINS0_14default_configENS1_27lower_bound_config_selectorIilEEZNS1_14transform_implILb0ES3_S5_N6thrust23THRUST_200600_302600_NS6detail15normal_iteratorINS8_7pointerIiNS8_11hip_rocprim3tagENS8_11use_defaultESE_EEEENSA_INSB_IlSD_SE_SE_EEEEZNS1_13binary_searchIS3_S5_NSA_INSB_IiSD_RiSE_EEEESG_SI_NS1_21lower_bound_search_opENS9_16wrapped_functionINS8_7greaterIiEEbEEEE10hipError_tPvRmT1_T2_T3_mmT4_T5_P12ihipStream_tbEUlRKiE_EESS_SW_SX_mSY_S11_bEUlT_E_NS1_11comp_targetILNS1_3genE10ELNS1_11target_archE1200ELNS1_3gpuE4ELNS1_3repE0EEENS1_30default_config_static_selectorELNS0_4arch9wavefront6targetE0EEEvSV_.num_vgpr, 0
	.set _ZN7rocprim17ROCPRIM_400000_NS6detail17trampoline_kernelINS0_14default_configENS1_27lower_bound_config_selectorIilEEZNS1_14transform_implILb0ES3_S5_N6thrust23THRUST_200600_302600_NS6detail15normal_iteratorINS8_7pointerIiNS8_11hip_rocprim3tagENS8_11use_defaultESE_EEEENSA_INSB_IlSD_SE_SE_EEEEZNS1_13binary_searchIS3_S5_NSA_INSB_IiSD_RiSE_EEEESG_SI_NS1_21lower_bound_search_opENS9_16wrapped_functionINS8_7greaterIiEEbEEEE10hipError_tPvRmT1_T2_T3_mmT4_T5_P12ihipStream_tbEUlRKiE_EESS_SW_SX_mSY_S11_bEUlT_E_NS1_11comp_targetILNS1_3genE10ELNS1_11target_archE1200ELNS1_3gpuE4ELNS1_3repE0EEENS1_30default_config_static_selectorELNS0_4arch9wavefront6targetE0EEEvSV_.num_agpr, 0
	.set _ZN7rocprim17ROCPRIM_400000_NS6detail17trampoline_kernelINS0_14default_configENS1_27lower_bound_config_selectorIilEEZNS1_14transform_implILb0ES3_S5_N6thrust23THRUST_200600_302600_NS6detail15normal_iteratorINS8_7pointerIiNS8_11hip_rocprim3tagENS8_11use_defaultESE_EEEENSA_INSB_IlSD_SE_SE_EEEEZNS1_13binary_searchIS3_S5_NSA_INSB_IiSD_RiSE_EEEESG_SI_NS1_21lower_bound_search_opENS9_16wrapped_functionINS8_7greaterIiEEbEEEE10hipError_tPvRmT1_T2_T3_mmT4_T5_P12ihipStream_tbEUlRKiE_EESS_SW_SX_mSY_S11_bEUlT_E_NS1_11comp_targetILNS1_3genE10ELNS1_11target_archE1200ELNS1_3gpuE4ELNS1_3repE0EEENS1_30default_config_static_selectorELNS0_4arch9wavefront6targetE0EEEvSV_.numbered_sgpr, 0
	.set _ZN7rocprim17ROCPRIM_400000_NS6detail17trampoline_kernelINS0_14default_configENS1_27lower_bound_config_selectorIilEEZNS1_14transform_implILb0ES3_S5_N6thrust23THRUST_200600_302600_NS6detail15normal_iteratorINS8_7pointerIiNS8_11hip_rocprim3tagENS8_11use_defaultESE_EEEENSA_INSB_IlSD_SE_SE_EEEEZNS1_13binary_searchIS3_S5_NSA_INSB_IiSD_RiSE_EEEESG_SI_NS1_21lower_bound_search_opENS9_16wrapped_functionINS8_7greaterIiEEbEEEE10hipError_tPvRmT1_T2_T3_mmT4_T5_P12ihipStream_tbEUlRKiE_EESS_SW_SX_mSY_S11_bEUlT_E_NS1_11comp_targetILNS1_3genE10ELNS1_11target_archE1200ELNS1_3gpuE4ELNS1_3repE0EEENS1_30default_config_static_selectorELNS0_4arch9wavefront6targetE0EEEvSV_.num_named_barrier, 0
	.set _ZN7rocprim17ROCPRIM_400000_NS6detail17trampoline_kernelINS0_14default_configENS1_27lower_bound_config_selectorIilEEZNS1_14transform_implILb0ES3_S5_N6thrust23THRUST_200600_302600_NS6detail15normal_iteratorINS8_7pointerIiNS8_11hip_rocprim3tagENS8_11use_defaultESE_EEEENSA_INSB_IlSD_SE_SE_EEEEZNS1_13binary_searchIS3_S5_NSA_INSB_IiSD_RiSE_EEEESG_SI_NS1_21lower_bound_search_opENS9_16wrapped_functionINS8_7greaterIiEEbEEEE10hipError_tPvRmT1_T2_T3_mmT4_T5_P12ihipStream_tbEUlRKiE_EESS_SW_SX_mSY_S11_bEUlT_E_NS1_11comp_targetILNS1_3genE10ELNS1_11target_archE1200ELNS1_3gpuE4ELNS1_3repE0EEENS1_30default_config_static_selectorELNS0_4arch9wavefront6targetE0EEEvSV_.private_seg_size, 0
	.set _ZN7rocprim17ROCPRIM_400000_NS6detail17trampoline_kernelINS0_14default_configENS1_27lower_bound_config_selectorIilEEZNS1_14transform_implILb0ES3_S5_N6thrust23THRUST_200600_302600_NS6detail15normal_iteratorINS8_7pointerIiNS8_11hip_rocprim3tagENS8_11use_defaultESE_EEEENSA_INSB_IlSD_SE_SE_EEEEZNS1_13binary_searchIS3_S5_NSA_INSB_IiSD_RiSE_EEEESG_SI_NS1_21lower_bound_search_opENS9_16wrapped_functionINS8_7greaterIiEEbEEEE10hipError_tPvRmT1_T2_T3_mmT4_T5_P12ihipStream_tbEUlRKiE_EESS_SW_SX_mSY_S11_bEUlT_E_NS1_11comp_targetILNS1_3genE10ELNS1_11target_archE1200ELNS1_3gpuE4ELNS1_3repE0EEENS1_30default_config_static_selectorELNS0_4arch9wavefront6targetE0EEEvSV_.uses_vcc, 0
	.set _ZN7rocprim17ROCPRIM_400000_NS6detail17trampoline_kernelINS0_14default_configENS1_27lower_bound_config_selectorIilEEZNS1_14transform_implILb0ES3_S5_N6thrust23THRUST_200600_302600_NS6detail15normal_iteratorINS8_7pointerIiNS8_11hip_rocprim3tagENS8_11use_defaultESE_EEEENSA_INSB_IlSD_SE_SE_EEEEZNS1_13binary_searchIS3_S5_NSA_INSB_IiSD_RiSE_EEEESG_SI_NS1_21lower_bound_search_opENS9_16wrapped_functionINS8_7greaterIiEEbEEEE10hipError_tPvRmT1_T2_T3_mmT4_T5_P12ihipStream_tbEUlRKiE_EESS_SW_SX_mSY_S11_bEUlT_E_NS1_11comp_targetILNS1_3genE10ELNS1_11target_archE1200ELNS1_3gpuE4ELNS1_3repE0EEENS1_30default_config_static_selectorELNS0_4arch9wavefront6targetE0EEEvSV_.uses_flat_scratch, 0
	.set _ZN7rocprim17ROCPRIM_400000_NS6detail17trampoline_kernelINS0_14default_configENS1_27lower_bound_config_selectorIilEEZNS1_14transform_implILb0ES3_S5_N6thrust23THRUST_200600_302600_NS6detail15normal_iteratorINS8_7pointerIiNS8_11hip_rocprim3tagENS8_11use_defaultESE_EEEENSA_INSB_IlSD_SE_SE_EEEEZNS1_13binary_searchIS3_S5_NSA_INSB_IiSD_RiSE_EEEESG_SI_NS1_21lower_bound_search_opENS9_16wrapped_functionINS8_7greaterIiEEbEEEE10hipError_tPvRmT1_T2_T3_mmT4_T5_P12ihipStream_tbEUlRKiE_EESS_SW_SX_mSY_S11_bEUlT_E_NS1_11comp_targetILNS1_3genE10ELNS1_11target_archE1200ELNS1_3gpuE4ELNS1_3repE0EEENS1_30default_config_static_selectorELNS0_4arch9wavefront6targetE0EEEvSV_.has_dyn_sized_stack, 0
	.set _ZN7rocprim17ROCPRIM_400000_NS6detail17trampoline_kernelINS0_14default_configENS1_27lower_bound_config_selectorIilEEZNS1_14transform_implILb0ES3_S5_N6thrust23THRUST_200600_302600_NS6detail15normal_iteratorINS8_7pointerIiNS8_11hip_rocprim3tagENS8_11use_defaultESE_EEEENSA_INSB_IlSD_SE_SE_EEEEZNS1_13binary_searchIS3_S5_NSA_INSB_IiSD_RiSE_EEEESG_SI_NS1_21lower_bound_search_opENS9_16wrapped_functionINS8_7greaterIiEEbEEEE10hipError_tPvRmT1_T2_T3_mmT4_T5_P12ihipStream_tbEUlRKiE_EESS_SW_SX_mSY_S11_bEUlT_E_NS1_11comp_targetILNS1_3genE10ELNS1_11target_archE1200ELNS1_3gpuE4ELNS1_3repE0EEENS1_30default_config_static_selectorELNS0_4arch9wavefront6targetE0EEEvSV_.has_recursion, 0
	.set _ZN7rocprim17ROCPRIM_400000_NS6detail17trampoline_kernelINS0_14default_configENS1_27lower_bound_config_selectorIilEEZNS1_14transform_implILb0ES3_S5_N6thrust23THRUST_200600_302600_NS6detail15normal_iteratorINS8_7pointerIiNS8_11hip_rocprim3tagENS8_11use_defaultESE_EEEENSA_INSB_IlSD_SE_SE_EEEEZNS1_13binary_searchIS3_S5_NSA_INSB_IiSD_RiSE_EEEESG_SI_NS1_21lower_bound_search_opENS9_16wrapped_functionINS8_7greaterIiEEbEEEE10hipError_tPvRmT1_T2_T3_mmT4_T5_P12ihipStream_tbEUlRKiE_EESS_SW_SX_mSY_S11_bEUlT_E_NS1_11comp_targetILNS1_3genE10ELNS1_11target_archE1200ELNS1_3gpuE4ELNS1_3repE0EEENS1_30default_config_static_selectorELNS0_4arch9wavefront6targetE0EEEvSV_.has_indirect_call, 0
	.section	.AMDGPU.csdata,"",@progbits
; Kernel info:
; codeLenInByte = 0
; TotalNumSgprs: 0
; NumVgprs: 0
; ScratchSize: 0
; MemoryBound: 0
; FloatMode: 240
; IeeeMode: 1
; LDSByteSize: 0 bytes/workgroup (compile time only)
; SGPRBlocks: 0
; VGPRBlocks: 0
; NumSGPRsForWavesPerEU: 1
; NumVGPRsForWavesPerEU: 1
; NamedBarCnt: 0
; Occupancy: 16
; WaveLimiterHint : 0
; COMPUTE_PGM_RSRC2:SCRATCH_EN: 0
; COMPUTE_PGM_RSRC2:USER_SGPR: 2
; COMPUTE_PGM_RSRC2:TRAP_HANDLER: 0
; COMPUTE_PGM_RSRC2:TGID_X_EN: 1
; COMPUTE_PGM_RSRC2:TGID_Y_EN: 0
; COMPUTE_PGM_RSRC2:TGID_Z_EN: 0
; COMPUTE_PGM_RSRC2:TIDIG_COMP_CNT: 0
	.section	.text._ZN7rocprim17ROCPRIM_400000_NS6detail17trampoline_kernelINS0_14default_configENS1_27lower_bound_config_selectorIilEEZNS1_14transform_implILb0ES3_S5_N6thrust23THRUST_200600_302600_NS6detail15normal_iteratorINS8_7pointerIiNS8_11hip_rocprim3tagENS8_11use_defaultESE_EEEENSA_INSB_IlSD_SE_SE_EEEEZNS1_13binary_searchIS3_S5_NSA_INSB_IiSD_RiSE_EEEESG_SI_NS1_21lower_bound_search_opENS9_16wrapped_functionINS8_7greaterIiEEbEEEE10hipError_tPvRmT1_T2_T3_mmT4_T5_P12ihipStream_tbEUlRKiE_EESS_SW_SX_mSY_S11_bEUlT_E_NS1_11comp_targetILNS1_3genE9ELNS1_11target_archE1100ELNS1_3gpuE3ELNS1_3repE0EEENS1_30default_config_static_selectorELNS0_4arch9wavefront6targetE0EEEvSV_,"axG",@progbits,_ZN7rocprim17ROCPRIM_400000_NS6detail17trampoline_kernelINS0_14default_configENS1_27lower_bound_config_selectorIilEEZNS1_14transform_implILb0ES3_S5_N6thrust23THRUST_200600_302600_NS6detail15normal_iteratorINS8_7pointerIiNS8_11hip_rocprim3tagENS8_11use_defaultESE_EEEENSA_INSB_IlSD_SE_SE_EEEEZNS1_13binary_searchIS3_S5_NSA_INSB_IiSD_RiSE_EEEESG_SI_NS1_21lower_bound_search_opENS9_16wrapped_functionINS8_7greaterIiEEbEEEE10hipError_tPvRmT1_T2_T3_mmT4_T5_P12ihipStream_tbEUlRKiE_EESS_SW_SX_mSY_S11_bEUlT_E_NS1_11comp_targetILNS1_3genE9ELNS1_11target_archE1100ELNS1_3gpuE3ELNS1_3repE0EEENS1_30default_config_static_selectorELNS0_4arch9wavefront6targetE0EEEvSV_,comdat
	.protected	_ZN7rocprim17ROCPRIM_400000_NS6detail17trampoline_kernelINS0_14default_configENS1_27lower_bound_config_selectorIilEEZNS1_14transform_implILb0ES3_S5_N6thrust23THRUST_200600_302600_NS6detail15normal_iteratorINS8_7pointerIiNS8_11hip_rocprim3tagENS8_11use_defaultESE_EEEENSA_INSB_IlSD_SE_SE_EEEEZNS1_13binary_searchIS3_S5_NSA_INSB_IiSD_RiSE_EEEESG_SI_NS1_21lower_bound_search_opENS9_16wrapped_functionINS8_7greaterIiEEbEEEE10hipError_tPvRmT1_T2_T3_mmT4_T5_P12ihipStream_tbEUlRKiE_EESS_SW_SX_mSY_S11_bEUlT_E_NS1_11comp_targetILNS1_3genE9ELNS1_11target_archE1100ELNS1_3gpuE3ELNS1_3repE0EEENS1_30default_config_static_selectorELNS0_4arch9wavefront6targetE0EEEvSV_ ; -- Begin function _ZN7rocprim17ROCPRIM_400000_NS6detail17trampoline_kernelINS0_14default_configENS1_27lower_bound_config_selectorIilEEZNS1_14transform_implILb0ES3_S5_N6thrust23THRUST_200600_302600_NS6detail15normal_iteratorINS8_7pointerIiNS8_11hip_rocprim3tagENS8_11use_defaultESE_EEEENSA_INSB_IlSD_SE_SE_EEEEZNS1_13binary_searchIS3_S5_NSA_INSB_IiSD_RiSE_EEEESG_SI_NS1_21lower_bound_search_opENS9_16wrapped_functionINS8_7greaterIiEEbEEEE10hipError_tPvRmT1_T2_T3_mmT4_T5_P12ihipStream_tbEUlRKiE_EESS_SW_SX_mSY_S11_bEUlT_E_NS1_11comp_targetILNS1_3genE9ELNS1_11target_archE1100ELNS1_3gpuE3ELNS1_3repE0EEENS1_30default_config_static_selectorELNS0_4arch9wavefront6targetE0EEEvSV_
	.globl	_ZN7rocprim17ROCPRIM_400000_NS6detail17trampoline_kernelINS0_14default_configENS1_27lower_bound_config_selectorIilEEZNS1_14transform_implILb0ES3_S5_N6thrust23THRUST_200600_302600_NS6detail15normal_iteratorINS8_7pointerIiNS8_11hip_rocprim3tagENS8_11use_defaultESE_EEEENSA_INSB_IlSD_SE_SE_EEEEZNS1_13binary_searchIS3_S5_NSA_INSB_IiSD_RiSE_EEEESG_SI_NS1_21lower_bound_search_opENS9_16wrapped_functionINS8_7greaterIiEEbEEEE10hipError_tPvRmT1_T2_T3_mmT4_T5_P12ihipStream_tbEUlRKiE_EESS_SW_SX_mSY_S11_bEUlT_E_NS1_11comp_targetILNS1_3genE9ELNS1_11target_archE1100ELNS1_3gpuE3ELNS1_3repE0EEENS1_30default_config_static_selectorELNS0_4arch9wavefront6targetE0EEEvSV_
	.p2align	8
	.type	_ZN7rocprim17ROCPRIM_400000_NS6detail17trampoline_kernelINS0_14default_configENS1_27lower_bound_config_selectorIilEEZNS1_14transform_implILb0ES3_S5_N6thrust23THRUST_200600_302600_NS6detail15normal_iteratorINS8_7pointerIiNS8_11hip_rocprim3tagENS8_11use_defaultESE_EEEENSA_INSB_IlSD_SE_SE_EEEEZNS1_13binary_searchIS3_S5_NSA_INSB_IiSD_RiSE_EEEESG_SI_NS1_21lower_bound_search_opENS9_16wrapped_functionINS8_7greaterIiEEbEEEE10hipError_tPvRmT1_T2_T3_mmT4_T5_P12ihipStream_tbEUlRKiE_EESS_SW_SX_mSY_S11_bEUlT_E_NS1_11comp_targetILNS1_3genE9ELNS1_11target_archE1100ELNS1_3gpuE3ELNS1_3repE0EEENS1_30default_config_static_selectorELNS0_4arch9wavefront6targetE0EEEvSV_,@function
_ZN7rocprim17ROCPRIM_400000_NS6detail17trampoline_kernelINS0_14default_configENS1_27lower_bound_config_selectorIilEEZNS1_14transform_implILb0ES3_S5_N6thrust23THRUST_200600_302600_NS6detail15normal_iteratorINS8_7pointerIiNS8_11hip_rocprim3tagENS8_11use_defaultESE_EEEENSA_INSB_IlSD_SE_SE_EEEEZNS1_13binary_searchIS3_S5_NSA_INSB_IiSD_RiSE_EEEESG_SI_NS1_21lower_bound_search_opENS9_16wrapped_functionINS8_7greaterIiEEbEEEE10hipError_tPvRmT1_T2_T3_mmT4_T5_P12ihipStream_tbEUlRKiE_EESS_SW_SX_mSY_S11_bEUlT_E_NS1_11comp_targetILNS1_3genE9ELNS1_11target_archE1100ELNS1_3gpuE3ELNS1_3repE0EEENS1_30default_config_static_selectorELNS0_4arch9wavefront6targetE0EEEvSV_: ; @_ZN7rocprim17ROCPRIM_400000_NS6detail17trampoline_kernelINS0_14default_configENS1_27lower_bound_config_selectorIilEEZNS1_14transform_implILb0ES3_S5_N6thrust23THRUST_200600_302600_NS6detail15normal_iteratorINS8_7pointerIiNS8_11hip_rocprim3tagENS8_11use_defaultESE_EEEENSA_INSB_IlSD_SE_SE_EEEEZNS1_13binary_searchIS3_S5_NSA_INSB_IiSD_RiSE_EEEESG_SI_NS1_21lower_bound_search_opENS9_16wrapped_functionINS8_7greaterIiEEbEEEE10hipError_tPvRmT1_T2_T3_mmT4_T5_P12ihipStream_tbEUlRKiE_EESS_SW_SX_mSY_S11_bEUlT_E_NS1_11comp_targetILNS1_3genE9ELNS1_11target_archE1100ELNS1_3gpuE3ELNS1_3repE0EEENS1_30default_config_static_selectorELNS0_4arch9wavefront6targetE0EEEvSV_
; %bb.0:
	.section	.rodata,"a",@progbits
	.p2align	6, 0x0
	.amdhsa_kernel _ZN7rocprim17ROCPRIM_400000_NS6detail17trampoline_kernelINS0_14default_configENS1_27lower_bound_config_selectorIilEEZNS1_14transform_implILb0ES3_S5_N6thrust23THRUST_200600_302600_NS6detail15normal_iteratorINS8_7pointerIiNS8_11hip_rocprim3tagENS8_11use_defaultESE_EEEENSA_INSB_IlSD_SE_SE_EEEEZNS1_13binary_searchIS3_S5_NSA_INSB_IiSD_RiSE_EEEESG_SI_NS1_21lower_bound_search_opENS9_16wrapped_functionINS8_7greaterIiEEbEEEE10hipError_tPvRmT1_T2_T3_mmT4_T5_P12ihipStream_tbEUlRKiE_EESS_SW_SX_mSY_S11_bEUlT_E_NS1_11comp_targetILNS1_3genE9ELNS1_11target_archE1100ELNS1_3gpuE3ELNS1_3repE0EEENS1_30default_config_static_selectorELNS0_4arch9wavefront6targetE0EEEvSV_
		.amdhsa_group_segment_fixed_size 0
		.amdhsa_private_segment_fixed_size 0
		.amdhsa_kernarg_size 56
		.amdhsa_user_sgpr_count 2
		.amdhsa_user_sgpr_dispatch_ptr 0
		.amdhsa_user_sgpr_queue_ptr 0
		.amdhsa_user_sgpr_kernarg_segment_ptr 1
		.amdhsa_user_sgpr_dispatch_id 0
		.amdhsa_user_sgpr_kernarg_preload_length 0
		.amdhsa_user_sgpr_kernarg_preload_offset 0
		.amdhsa_user_sgpr_private_segment_size 0
		.amdhsa_wavefront_size32 1
		.amdhsa_uses_dynamic_stack 0
		.amdhsa_enable_private_segment 0
		.amdhsa_system_sgpr_workgroup_id_x 1
		.amdhsa_system_sgpr_workgroup_id_y 0
		.amdhsa_system_sgpr_workgroup_id_z 0
		.amdhsa_system_sgpr_workgroup_info 0
		.amdhsa_system_vgpr_workitem_id 0
		.amdhsa_next_free_vgpr 1
		.amdhsa_next_free_sgpr 1
		.amdhsa_named_barrier_count 0
		.amdhsa_reserve_vcc 0
		.amdhsa_float_round_mode_32 0
		.amdhsa_float_round_mode_16_64 0
		.amdhsa_float_denorm_mode_32 3
		.amdhsa_float_denorm_mode_16_64 3
		.amdhsa_fp16_overflow 0
		.amdhsa_memory_ordered 1
		.amdhsa_forward_progress 1
		.amdhsa_inst_pref_size 0
		.amdhsa_round_robin_scheduling 0
		.amdhsa_exception_fp_ieee_invalid_op 0
		.amdhsa_exception_fp_denorm_src 0
		.amdhsa_exception_fp_ieee_div_zero 0
		.amdhsa_exception_fp_ieee_overflow 0
		.amdhsa_exception_fp_ieee_underflow 0
		.amdhsa_exception_fp_ieee_inexact 0
		.amdhsa_exception_int_div_zero 0
	.end_amdhsa_kernel
	.section	.text._ZN7rocprim17ROCPRIM_400000_NS6detail17trampoline_kernelINS0_14default_configENS1_27lower_bound_config_selectorIilEEZNS1_14transform_implILb0ES3_S5_N6thrust23THRUST_200600_302600_NS6detail15normal_iteratorINS8_7pointerIiNS8_11hip_rocprim3tagENS8_11use_defaultESE_EEEENSA_INSB_IlSD_SE_SE_EEEEZNS1_13binary_searchIS3_S5_NSA_INSB_IiSD_RiSE_EEEESG_SI_NS1_21lower_bound_search_opENS9_16wrapped_functionINS8_7greaterIiEEbEEEE10hipError_tPvRmT1_T2_T3_mmT4_T5_P12ihipStream_tbEUlRKiE_EESS_SW_SX_mSY_S11_bEUlT_E_NS1_11comp_targetILNS1_3genE9ELNS1_11target_archE1100ELNS1_3gpuE3ELNS1_3repE0EEENS1_30default_config_static_selectorELNS0_4arch9wavefront6targetE0EEEvSV_,"axG",@progbits,_ZN7rocprim17ROCPRIM_400000_NS6detail17trampoline_kernelINS0_14default_configENS1_27lower_bound_config_selectorIilEEZNS1_14transform_implILb0ES3_S5_N6thrust23THRUST_200600_302600_NS6detail15normal_iteratorINS8_7pointerIiNS8_11hip_rocprim3tagENS8_11use_defaultESE_EEEENSA_INSB_IlSD_SE_SE_EEEEZNS1_13binary_searchIS3_S5_NSA_INSB_IiSD_RiSE_EEEESG_SI_NS1_21lower_bound_search_opENS9_16wrapped_functionINS8_7greaterIiEEbEEEE10hipError_tPvRmT1_T2_T3_mmT4_T5_P12ihipStream_tbEUlRKiE_EESS_SW_SX_mSY_S11_bEUlT_E_NS1_11comp_targetILNS1_3genE9ELNS1_11target_archE1100ELNS1_3gpuE3ELNS1_3repE0EEENS1_30default_config_static_selectorELNS0_4arch9wavefront6targetE0EEEvSV_,comdat
.Lfunc_end75:
	.size	_ZN7rocprim17ROCPRIM_400000_NS6detail17trampoline_kernelINS0_14default_configENS1_27lower_bound_config_selectorIilEEZNS1_14transform_implILb0ES3_S5_N6thrust23THRUST_200600_302600_NS6detail15normal_iteratorINS8_7pointerIiNS8_11hip_rocprim3tagENS8_11use_defaultESE_EEEENSA_INSB_IlSD_SE_SE_EEEEZNS1_13binary_searchIS3_S5_NSA_INSB_IiSD_RiSE_EEEESG_SI_NS1_21lower_bound_search_opENS9_16wrapped_functionINS8_7greaterIiEEbEEEE10hipError_tPvRmT1_T2_T3_mmT4_T5_P12ihipStream_tbEUlRKiE_EESS_SW_SX_mSY_S11_bEUlT_E_NS1_11comp_targetILNS1_3genE9ELNS1_11target_archE1100ELNS1_3gpuE3ELNS1_3repE0EEENS1_30default_config_static_selectorELNS0_4arch9wavefront6targetE0EEEvSV_, .Lfunc_end75-_ZN7rocprim17ROCPRIM_400000_NS6detail17trampoline_kernelINS0_14default_configENS1_27lower_bound_config_selectorIilEEZNS1_14transform_implILb0ES3_S5_N6thrust23THRUST_200600_302600_NS6detail15normal_iteratorINS8_7pointerIiNS8_11hip_rocprim3tagENS8_11use_defaultESE_EEEENSA_INSB_IlSD_SE_SE_EEEEZNS1_13binary_searchIS3_S5_NSA_INSB_IiSD_RiSE_EEEESG_SI_NS1_21lower_bound_search_opENS9_16wrapped_functionINS8_7greaterIiEEbEEEE10hipError_tPvRmT1_T2_T3_mmT4_T5_P12ihipStream_tbEUlRKiE_EESS_SW_SX_mSY_S11_bEUlT_E_NS1_11comp_targetILNS1_3genE9ELNS1_11target_archE1100ELNS1_3gpuE3ELNS1_3repE0EEENS1_30default_config_static_selectorELNS0_4arch9wavefront6targetE0EEEvSV_
                                        ; -- End function
	.set _ZN7rocprim17ROCPRIM_400000_NS6detail17trampoline_kernelINS0_14default_configENS1_27lower_bound_config_selectorIilEEZNS1_14transform_implILb0ES3_S5_N6thrust23THRUST_200600_302600_NS6detail15normal_iteratorINS8_7pointerIiNS8_11hip_rocprim3tagENS8_11use_defaultESE_EEEENSA_INSB_IlSD_SE_SE_EEEEZNS1_13binary_searchIS3_S5_NSA_INSB_IiSD_RiSE_EEEESG_SI_NS1_21lower_bound_search_opENS9_16wrapped_functionINS8_7greaterIiEEbEEEE10hipError_tPvRmT1_T2_T3_mmT4_T5_P12ihipStream_tbEUlRKiE_EESS_SW_SX_mSY_S11_bEUlT_E_NS1_11comp_targetILNS1_3genE9ELNS1_11target_archE1100ELNS1_3gpuE3ELNS1_3repE0EEENS1_30default_config_static_selectorELNS0_4arch9wavefront6targetE0EEEvSV_.num_vgpr, 0
	.set _ZN7rocprim17ROCPRIM_400000_NS6detail17trampoline_kernelINS0_14default_configENS1_27lower_bound_config_selectorIilEEZNS1_14transform_implILb0ES3_S5_N6thrust23THRUST_200600_302600_NS6detail15normal_iteratorINS8_7pointerIiNS8_11hip_rocprim3tagENS8_11use_defaultESE_EEEENSA_INSB_IlSD_SE_SE_EEEEZNS1_13binary_searchIS3_S5_NSA_INSB_IiSD_RiSE_EEEESG_SI_NS1_21lower_bound_search_opENS9_16wrapped_functionINS8_7greaterIiEEbEEEE10hipError_tPvRmT1_T2_T3_mmT4_T5_P12ihipStream_tbEUlRKiE_EESS_SW_SX_mSY_S11_bEUlT_E_NS1_11comp_targetILNS1_3genE9ELNS1_11target_archE1100ELNS1_3gpuE3ELNS1_3repE0EEENS1_30default_config_static_selectorELNS0_4arch9wavefront6targetE0EEEvSV_.num_agpr, 0
	.set _ZN7rocprim17ROCPRIM_400000_NS6detail17trampoline_kernelINS0_14default_configENS1_27lower_bound_config_selectorIilEEZNS1_14transform_implILb0ES3_S5_N6thrust23THRUST_200600_302600_NS6detail15normal_iteratorINS8_7pointerIiNS8_11hip_rocprim3tagENS8_11use_defaultESE_EEEENSA_INSB_IlSD_SE_SE_EEEEZNS1_13binary_searchIS3_S5_NSA_INSB_IiSD_RiSE_EEEESG_SI_NS1_21lower_bound_search_opENS9_16wrapped_functionINS8_7greaterIiEEbEEEE10hipError_tPvRmT1_T2_T3_mmT4_T5_P12ihipStream_tbEUlRKiE_EESS_SW_SX_mSY_S11_bEUlT_E_NS1_11comp_targetILNS1_3genE9ELNS1_11target_archE1100ELNS1_3gpuE3ELNS1_3repE0EEENS1_30default_config_static_selectorELNS0_4arch9wavefront6targetE0EEEvSV_.numbered_sgpr, 0
	.set _ZN7rocprim17ROCPRIM_400000_NS6detail17trampoline_kernelINS0_14default_configENS1_27lower_bound_config_selectorIilEEZNS1_14transform_implILb0ES3_S5_N6thrust23THRUST_200600_302600_NS6detail15normal_iteratorINS8_7pointerIiNS8_11hip_rocprim3tagENS8_11use_defaultESE_EEEENSA_INSB_IlSD_SE_SE_EEEEZNS1_13binary_searchIS3_S5_NSA_INSB_IiSD_RiSE_EEEESG_SI_NS1_21lower_bound_search_opENS9_16wrapped_functionINS8_7greaterIiEEbEEEE10hipError_tPvRmT1_T2_T3_mmT4_T5_P12ihipStream_tbEUlRKiE_EESS_SW_SX_mSY_S11_bEUlT_E_NS1_11comp_targetILNS1_3genE9ELNS1_11target_archE1100ELNS1_3gpuE3ELNS1_3repE0EEENS1_30default_config_static_selectorELNS0_4arch9wavefront6targetE0EEEvSV_.num_named_barrier, 0
	.set _ZN7rocprim17ROCPRIM_400000_NS6detail17trampoline_kernelINS0_14default_configENS1_27lower_bound_config_selectorIilEEZNS1_14transform_implILb0ES3_S5_N6thrust23THRUST_200600_302600_NS6detail15normal_iteratorINS8_7pointerIiNS8_11hip_rocprim3tagENS8_11use_defaultESE_EEEENSA_INSB_IlSD_SE_SE_EEEEZNS1_13binary_searchIS3_S5_NSA_INSB_IiSD_RiSE_EEEESG_SI_NS1_21lower_bound_search_opENS9_16wrapped_functionINS8_7greaterIiEEbEEEE10hipError_tPvRmT1_T2_T3_mmT4_T5_P12ihipStream_tbEUlRKiE_EESS_SW_SX_mSY_S11_bEUlT_E_NS1_11comp_targetILNS1_3genE9ELNS1_11target_archE1100ELNS1_3gpuE3ELNS1_3repE0EEENS1_30default_config_static_selectorELNS0_4arch9wavefront6targetE0EEEvSV_.private_seg_size, 0
	.set _ZN7rocprim17ROCPRIM_400000_NS6detail17trampoline_kernelINS0_14default_configENS1_27lower_bound_config_selectorIilEEZNS1_14transform_implILb0ES3_S5_N6thrust23THRUST_200600_302600_NS6detail15normal_iteratorINS8_7pointerIiNS8_11hip_rocprim3tagENS8_11use_defaultESE_EEEENSA_INSB_IlSD_SE_SE_EEEEZNS1_13binary_searchIS3_S5_NSA_INSB_IiSD_RiSE_EEEESG_SI_NS1_21lower_bound_search_opENS9_16wrapped_functionINS8_7greaterIiEEbEEEE10hipError_tPvRmT1_T2_T3_mmT4_T5_P12ihipStream_tbEUlRKiE_EESS_SW_SX_mSY_S11_bEUlT_E_NS1_11comp_targetILNS1_3genE9ELNS1_11target_archE1100ELNS1_3gpuE3ELNS1_3repE0EEENS1_30default_config_static_selectorELNS0_4arch9wavefront6targetE0EEEvSV_.uses_vcc, 0
	.set _ZN7rocprim17ROCPRIM_400000_NS6detail17trampoline_kernelINS0_14default_configENS1_27lower_bound_config_selectorIilEEZNS1_14transform_implILb0ES3_S5_N6thrust23THRUST_200600_302600_NS6detail15normal_iteratorINS8_7pointerIiNS8_11hip_rocprim3tagENS8_11use_defaultESE_EEEENSA_INSB_IlSD_SE_SE_EEEEZNS1_13binary_searchIS3_S5_NSA_INSB_IiSD_RiSE_EEEESG_SI_NS1_21lower_bound_search_opENS9_16wrapped_functionINS8_7greaterIiEEbEEEE10hipError_tPvRmT1_T2_T3_mmT4_T5_P12ihipStream_tbEUlRKiE_EESS_SW_SX_mSY_S11_bEUlT_E_NS1_11comp_targetILNS1_3genE9ELNS1_11target_archE1100ELNS1_3gpuE3ELNS1_3repE0EEENS1_30default_config_static_selectorELNS0_4arch9wavefront6targetE0EEEvSV_.uses_flat_scratch, 0
	.set _ZN7rocprim17ROCPRIM_400000_NS6detail17trampoline_kernelINS0_14default_configENS1_27lower_bound_config_selectorIilEEZNS1_14transform_implILb0ES3_S5_N6thrust23THRUST_200600_302600_NS6detail15normal_iteratorINS8_7pointerIiNS8_11hip_rocprim3tagENS8_11use_defaultESE_EEEENSA_INSB_IlSD_SE_SE_EEEEZNS1_13binary_searchIS3_S5_NSA_INSB_IiSD_RiSE_EEEESG_SI_NS1_21lower_bound_search_opENS9_16wrapped_functionINS8_7greaterIiEEbEEEE10hipError_tPvRmT1_T2_T3_mmT4_T5_P12ihipStream_tbEUlRKiE_EESS_SW_SX_mSY_S11_bEUlT_E_NS1_11comp_targetILNS1_3genE9ELNS1_11target_archE1100ELNS1_3gpuE3ELNS1_3repE0EEENS1_30default_config_static_selectorELNS0_4arch9wavefront6targetE0EEEvSV_.has_dyn_sized_stack, 0
	.set _ZN7rocprim17ROCPRIM_400000_NS6detail17trampoline_kernelINS0_14default_configENS1_27lower_bound_config_selectorIilEEZNS1_14transform_implILb0ES3_S5_N6thrust23THRUST_200600_302600_NS6detail15normal_iteratorINS8_7pointerIiNS8_11hip_rocprim3tagENS8_11use_defaultESE_EEEENSA_INSB_IlSD_SE_SE_EEEEZNS1_13binary_searchIS3_S5_NSA_INSB_IiSD_RiSE_EEEESG_SI_NS1_21lower_bound_search_opENS9_16wrapped_functionINS8_7greaterIiEEbEEEE10hipError_tPvRmT1_T2_T3_mmT4_T5_P12ihipStream_tbEUlRKiE_EESS_SW_SX_mSY_S11_bEUlT_E_NS1_11comp_targetILNS1_3genE9ELNS1_11target_archE1100ELNS1_3gpuE3ELNS1_3repE0EEENS1_30default_config_static_selectorELNS0_4arch9wavefront6targetE0EEEvSV_.has_recursion, 0
	.set _ZN7rocprim17ROCPRIM_400000_NS6detail17trampoline_kernelINS0_14default_configENS1_27lower_bound_config_selectorIilEEZNS1_14transform_implILb0ES3_S5_N6thrust23THRUST_200600_302600_NS6detail15normal_iteratorINS8_7pointerIiNS8_11hip_rocprim3tagENS8_11use_defaultESE_EEEENSA_INSB_IlSD_SE_SE_EEEEZNS1_13binary_searchIS3_S5_NSA_INSB_IiSD_RiSE_EEEESG_SI_NS1_21lower_bound_search_opENS9_16wrapped_functionINS8_7greaterIiEEbEEEE10hipError_tPvRmT1_T2_T3_mmT4_T5_P12ihipStream_tbEUlRKiE_EESS_SW_SX_mSY_S11_bEUlT_E_NS1_11comp_targetILNS1_3genE9ELNS1_11target_archE1100ELNS1_3gpuE3ELNS1_3repE0EEENS1_30default_config_static_selectorELNS0_4arch9wavefront6targetE0EEEvSV_.has_indirect_call, 0
	.section	.AMDGPU.csdata,"",@progbits
; Kernel info:
; codeLenInByte = 0
; TotalNumSgprs: 0
; NumVgprs: 0
; ScratchSize: 0
; MemoryBound: 0
; FloatMode: 240
; IeeeMode: 1
; LDSByteSize: 0 bytes/workgroup (compile time only)
; SGPRBlocks: 0
; VGPRBlocks: 0
; NumSGPRsForWavesPerEU: 1
; NumVGPRsForWavesPerEU: 1
; NamedBarCnt: 0
; Occupancy: 16
; WaveLimiterHint : 0
; COMPUTE_PGM_RSRC2:SCRATCH_EN: 0
; COMPUTE_PGM_RSRC2:USER_SGPR: 2
; COMPUTE_PGM_RSRC2:TRAP_HANDLER: 0
; COMPUTE_PGM_RSRC2:TGID_X_EN: 1
; COMPUTE_PGM_RSRC2:TGID_Y_EN: 0
; COMPUTE_PGM_RSRC2:TGID_Z_EN: 0
; COMPUTE_PGM_RSRC2:TIDIG_COMP_CNT: 0
	.section	.text._ZN7rocprim17ROCPRIM_400000_NS6detail17trampoline_kernelINS0_14default_configENS1_27lower_bound_config_selectorIilEEZNS1_14transform_implILb0ES3_S5_N6thrust23THRUST_200600_302600_NS6detail15normal_iteratorINS8_7pointerIiNS8_11hip_rocprim3tagENS8_11use_defaultESE_EEEENSA_INSB_IlSD_SE_SE_EEEEZNS1_13binary_searchIS3_S5_NSA_INSB_IiSD_RiSE_EEEESG_SI_NS1_21lower_bound_search_opENS9_16wrapped_functionINS8_7greaterIiEEbEEEE10hipError_tPvRmT1_T2_T3_mmT4_T5_P12ihipStream_tbEUlRKiE_EESS_SW_SX_mSY_S11_bEUlT_E_NS1_11comp_targetILNS1_3genE8ELNS1_11target_archE1030ELNS1_3gpuE2ELNS1_3repE0EEENS1_30default_config_static_selectorELNS0_4arch9wavefront6targetE0EEEvSV_,"axG",@progbits,_ZN7rocprim17ROCPRIM_400000_NS6detail17trampoline_kernelINS0_14default_configENS1_27lower_bound_config_selectorIilEEZNS1_14transform_implILb0ES3_S5_N6thrust23THRUST_200600_302600_NS6detail15normal_iteratorINS8_7pointerIiNS8_11hip_rocprim3tagENS8_11use_defaultESE_EEEENSA_INSB_IlSD_SE_SE_EEEEZNS1_13binary_searchIS3_S5_NSA_INSB_IiSD_RiSE_EEEESG_SI_NS1_21lower_bound_search_opENS9_16wrapped_functionINS8_7greaterIiEEbEEEE10hipError_tPvRmT1_T2_T3_mmT4_T5_P12ihipStream_tbEUlRKiE_EESS_SW_SX_mSY_S11_bEUlT_E_NS1_11comp_targetILNS1_3genE8ELNS1_11target_archE1030ELNS1_3gpuE2ELNS1_3repE0EEENS1_30default_config_static_selectorELNS0_4arch9wavefront6targetE0EEEvSV_,comdat
	.protected	_ZN7rocprim17ROCPRIM_400000_NS6detail17trampoline_kernelINS0_14default_configENS1_27lower_bound_config_selectorIilEEZNS1_14transform_implILb0ES3_S5_N6thrust23THRUST_200600_302600_NS6detail15normal_iteratorINS8_7pointerIiNS8_11hip_rocprim3tagENS8_11use_defaultESE_EEEENSA_INSB_IlSD_SE_SE_EEEEZNS1_13binary_searchIS3_S5_NSA_INSB_IiSD_RiSE_EEEESG_SI_NS1_21lower_bound_search_opENS9_16wrapped_functionINS8_7greaterIiEEbEEEE10hipError_tPvRmT1_T2_T3_mmT4_T5_P12ihipStream_tbEUlRKiE_EESS_SW_SX_mSY_S11_bEUlT_E_NS1_11comp_targetILNS1_3genE8ELNS1_11target_archE1030ELNS1_3gpuE2ELNS1_3repE0EEENS1_30default_config_static_selectorELNS0_4arch9wavefront6targetE0EEEvSV_ ; -- Begin function _ZN7rocprim17ROCPRIM_400000_NS6detail17trampoline_kernelINS0_14default_configENS1_27lower_bound_config_selectorIilEEZNS1_14transform_implILb0ES3_S5_N6thrust23THRUST_200600_302600_NS6detail15normal_iteratorINS8_7pointerIiNS8_11hip_rocprim3tagENS8_11use_defaultESE_EEEENSA_INSB_IlSD_SE_SE_EEEEZNS1_13binary_searchIS3_S5_NSA_INSB_IiSD_RiSE_EEEESG_SI_NS1_21lower_bound_search_opENS9_16wrapped_functionINS8_7greaterIiEEbEEEE10hipError_tPvRmT1_T2_T3_mmT4_T5_P12ihipStream_tbEUlRKiE_EESS_SW_SX_mSY_S11_bEUlT_E_NS1_11comp_targetILNS1_3genE8ELNS1_11target_archE1030ELNS1_3gpuE2ELNS1_3repE0EEENS1_30default_config_static_selectorELNS0_4arch9wavefront6targetE0EEEvSV_
	.globl	_ZN7rocprim17ROCPRIM_400000_NS6detail17trampoline_kernelINS0_14default_configENS1_27lower_bound_config_selectorIilEEZNS1_14transform_implILb0ES3_S5_N6thrust23THRUST_200600_302600_NS6detail15normal_iteratorINS8_7pointerIiNS8_11hip_rocprim3tagENS8_11use_defaultESE_EEEENSA_INSB_IlSD_SE_SE_EEEEZNS1_13binary_searchIS3_S5_NSA_INSB_IiSD_RiSE_EEEESG_SI_NS1_21lower_bound_search_opENS9_16wrapped_functionINS8_7greaterIiEEbEEEE10hipError_tPvRmT1_T2_T3_mmT4_T5_P12ihipStream_tbEUlRKiE_EESS_SW_SX_mSY_S11_bEUlT_E_NS1_11comp_targetILNS1_3genE8ELNS1_11target_archE1030ELNS1_3gpuE2ELNS1_3repE0EEENS1_30default_config_static_selectorELNS0_4arch9wavefront6targetE0EEEvSV_
	.p2align	8
	.type	_ZN7rocprim17ROCPRIM_400000_NS6detail17trampoline_kernelINS0_14default_configENS1_27lower_bound_config_selectorIilEEZNS1_14transform_implILb0ES3_S5_N6thrust23THRUST_200600_302600_NS6detail15normal_iteratorINS8_7pointerIiNS8_11hip_rocprim3tagENS8_11use_defaultESE_EEEENSA_INSB_IlSD_SE_SE_EEEEZNS1_13binary_searchIS3_S5_NSA_INSB_IiSD_RiSE_EEEESG_SI_NS1_21lower_bound_search_opENS9_16wrapped_functionINS8_7greaterIiEEbEEEE10hipError_tPvRmT1_T2_T3_mmT4_T5_P12ihipStream_tbEUlRKiE_EESS_SW_SX_mSY_S11_bEUlT_E_NS1_11comp_targetILNS1_3genE8ELNS1_11target_archE1030ELNS1_3gpuE2ELNS1_3repE0EEENS1_30default_config_static_selectorELNS0_4arch9wavefront6targetE0EEEvSV_,@function
_ZN7rocprim17ROCPRIM_400000_NS6detail17trampoline_kernelINS0_14default_configENS1_27lower_bound_config_selectorIilEEZNS1_14transform_implILb0ES3_S5_N6thrust23THRUST_200600_302600_NS6detail15normal_iteratorINS8_7pointerIiNS8_11hip_rocprim3tagENS8_11use_defaultESE_EEEENSA_INSB_IlSD_SE_SE_EEEEZNS1_13binary_searchIS3_S5_NSA_INSB_IiSD_RiSE_EEEESG_SI_NS1_21lower_bound_search_opENS9_16wrapped_functionINS8_7greaterIiEEbEEEE10hipError_tPvRmT1_T2_T3_mmT4_T5_P12ihipStream_tbEUlRKiE_EESS_SW_SX_mSY_S11_bEUlT_E_NS1_11comp_targetILNS1_3genE8ELNS1_11target_archE1030ELNS1_3gpuE2ELNS1_3repE0EEENS1_30default_config_static_selectorELNS0_4arch9wavefront6targetE0EEEvSV_: ; @_ZN7rocprim17ROCPRIM_400000_NS6detail17trampoline_kernelINS0_14default_configENS1_27lower_bound_config_selectorIilEEZNS1_14transform_implILb0ES3_S5_N6thrust23THRUST_200600_302600_NS6detail15normal_iteratorINS8_7pointerIiNS8_11hip_rocprim3tagENS8_11use_defaultESE_EEEENSA_INSB_IlSD_SE_SE_EEEEZNS1_13binary_searchIS3_S5_NSA_INSB_IiSD_RiSE_EEEESG_SI_NS1_21lower_bound_search_opENS9_16wrapped_functionINS8_7greaterIiEEbEEEE10hipError_tPvRmT1_T2_T3_mmT4_T5_P12ihipStream_tbEUlRKiE_EESS_SW_SX_mSY_S11_bEUlT_E_NS1_11comp_targetILNS1_3genE8ELNS1_11target_archE1030ELNS1_3gpuE2ELNS1_3repE0EEENS1_30default_config_static_selectorELNS0_4arch9wavefront6targetE0EEEvSV_
; %bb.0:
	.section	.rodata,"a",@progbits
	.p2align	6, 0x0
	.amdhsa_kernel _ZN7rocprim17ROCPRIM_400000_NS6detail17trampoline_kernelINS0_14default_configENS1_27lower_bound_config_selectorIilEEZNS1_14transform_implILb0ES3_S5_N6thrust23THRUST_200600_302600_NS6detail15normal_iteratorINS8_7pointerIiNS8_11hip_rocprim3tagENS8_11use_defaultESE_EEEENSA_INSB_IlSD_SE_SE_EEEEZNS1_13binary_searchIS3_S5_NSA_INSB_IiSD_RiSE_EEEESG_SI_NS1_21lower_bound_search_opENS9_16wrapped_functionINS8_7greaterIiEEbEEEE10hipError_tPvRmT1_T2_T3_mmT4_T5_P12ihipStream_tbEUlRKiE_EESS_SW_SX_mSY_S11_bEUlT_E_NS1_11comp_targetILNS1_3genE8ELNS1_11target_archE1030ELNS1_3gpuE2ELNS1_3repE0EEENS1_30default_config_static_selectorELNS0_4arch9wavefront6targetE0EEEvSV_
		.amdhsa_group_segment_fixed_size 0
		.amdhsa_private_segment_fixed_size 0
		.amdhsa_kernarg_size 56
		.amdhsa_user_sgpr_count 2
		.amdhsa_user_sgpr_dispatch_ptr 0
		.amdhsa_user_sgpr_queue_ptr 0
		.amdhsa_user_sgpr_kernarg_segment_ptr 1
		.amdhsa_user_sgpr_dispatch_id 0
		.amdhsa_user_sgpr_kernarg_preload_length 0
		.amdhsa_user_sgpr_kernarg_preload_offset 0
		.amdhsa_user_sgpr_private_segment_size 0
		.amdhsa_wavefront_size32 1
		.amdhsa_uses_dynamic_stack 0
		.amdhsa_enable_private_segment 0
		.amdhsa_system_sgpr_workgroup_id_x 1
		.amdhsa_system_sgpr_workgroup_id_y 0
		.amdhsa_system_sgpr_workgroup_id_z 0
		.amdhsa_system_sgpr_workgroup_info 0
		.amdhsa_system_vgpr_workitem_id 0
		.amdhsa_next_free_vgpr 1
		.amdhsa_next_free_sgpr 1
		.amdhsa_named_barrier_count 0
		.amdhsa_reserve_vcc 0
		.amdhsa_float_round_mode_32 0
		.amdhsa_float_round_mode_16_64 0
		.amdhsa_float_denorm_mode_32 3
		.amdhsa_float_denorm_mode_16_64 3
		.amdhsa_fp16_overflow 0
		.amdhsa_memory_ordered 1
		.amdhsa_forward_progress 1
		.amdhsa_inst_pref_size 0
		.amdhsa_round_robin_scheduling 0
		.amdhsa_exception_fp_ieee_invalid_op 0
		.amdhsa_exception_fp_denorm_src 0
		.amdhsa_exception_fp_ieee_div_zero 0
		.amdhsa_exception_fp_ieee_overflow 0
		.amdhsa_exception_fp_ieee_underflow 0
		.amdhsa_exception_fp_ieee_inexact 0
		.amdhsa_exception_int_div_zero 0
	.end_amdhsa_kernel
	.section	.text._ZN7rocprim17ROCPRIM_400000_NS6detail17trampoline_kernelINS0_14default_configENS1_27lower_bound_config_selectorIilEEZNS1_14transform_implILb0ES3_S5_N6thrust23THRUST_200600_302600_NS6detail15normal_iteratorINS8_7pointerIiNS8_11hip_rocprim3tagENS8_11use_defaultESE_EEEENSA_INSB_IlSD_SE_SE_EEEEZNS1_13binary_searchIS3_S5_NSA_INSB_IiSD_RiSE_EEEESG_SI_NS1_21lower_bound_search_opENS9_16wrapped_functionINS8_7greaterIiEEbEEEE10hipError_tPvRmT1_T2_T3_mmT4_T5_P12ihipStream_tbEUlRKiE_EESS_SW_SX_mSY_S11_bEUlT_E_NS1_11comp_targetILNS1_3genE8ELNS1_11target_archE1030ELNS1_3gpuE2ELNS1_3repE0EEENS1_30default_config_static_selectorELNS0_4arch9wavefront6targetE0EEEvSV_,"axG",@progbits,_ZN7rocprim17ROCPRIM_400000_NS6detail17trampoline_kernelINS0_14default_configENS1_27lower_bound_config_selectorIilEEZNS1_14transform_implILb0ES3_S5_N6thrust23THRUST_200600_302600_NS6detail15normal_iteratorINS8_7pointerIiNS8_11hip_rocprim3tagENS8_11use_defaultESE_EEEENSA_INSB_IlSD_SE_SE_EEEEZNS1_13binary_searchIS3_S5_NSA_INSB_IiSD_RiSE_EEEESG_SI_NS1_21lower_bound_search_opENS9_16wrapped_functionINS8_7greaterIiEEbEEEE10hipError_tPvRmT1_T2_T3_mmT4_T5_P12ihipStream_tbEUlRKiE_EESS_SW_SX_mSY_S11_bEUlT_E_NS1_11comp_targetILNS1_3genE8ELNS1_11target_archE1030ELNS1_3gpuE2ELNS1_3repE0EEENS1_30default_config_static_selectorELNS0_4arch9wavefront6targetE0EEEvSV_,comdat
.Lfunc_end76:
	.size	_ZN7rocprim17ROCPRIM_400000_NS6detail17trampoline_kernelINS0_14default_configENS1_27lower_bound_config_selectorIilEEZNS1_14transform_implILb0ES3_S5_N6thrust23THRUST_200600_302600_NS6detail15normal_iteratorINS8_7pointerIiNS8_11hip_rocprim3tagENS8_11use_defaultESE_EEEENSA_INSB_IlSD_SE_SE_EEEEZNS1_13binary_searchIS3_S5_NSA_INSB_IiSD_RiSE_EEEESG_SI_NS1_21lower_bound_search_opENS9_16wrapped_functionINS8_7greaterIiEEbEEEE10hipError_tPvRmT1_T2_T3_mmT4_T5_P12ihipStream_tbEUlRKiE_EESS_SW_SX_mSY_S11_bEUlT_E_NS1_11comp_targetILNS1_3genE8ELNS1_11target_archE1030ELNS1_3gpuE2ELNS1_3repE0EEENS1_30default_config_static_selectorELNS0_4arch9wavefront6targetE0EEEvSV_, .Lfunc_end76-_ZN7rocprim17ROCPRIM_400000_NS6detail17trampoline_kernelINS0_14default_configENS1_27lower_bound_config_selectorIilEEZNS1_14transform_implILb0ES3_S5_N6thrust23THRUST_200600_302600_NS6detail15normal_iteratorINS8_7pointerIiNS8_11hip_rocprim3tagENS8_11use_defaultESE_EEEENSA_INSB_IlSD_SE_SE_EEEEZNS1_13binary_searchIS3_S5_NSA_INSB_IiSD_RiSE_EEEESG_SI_NS1_21lower_bound_search_opENS9_16wrapped_functionINS8_7greaterIiEEbEEEE10hipError_tPvRmT1_T2_T3_mmT4_T5_P12ihipStream_tbEUlRKiE_EESS_SW_SX_mSY_S11_bEUlT_E_NS1_11comp_targetILNS1_3genE8ELNS1_11target_archE1030ELNS1_3gpuE2ELNS1_3repE0EEENS1_30default_config_static_selectorELNS0_4arch9wavefront6targetE0EEEvSV_
                                        ; -- End function
	.set _ZN7rocprim17ROCPRIM_400000_NS6detail17trampoline_kernelINS0_14default_configENS1_27lower_bound_config_selectorIilEEZNS1_14transform_implILb0ES3_S5_N6thrust23THRUST_200600_302600_NS6detail15normal_iteratorINS8_7pointerIiNS8_11hip_rocprim3tagENS8_11use_defaultESE_EEEENSA_INSB_IlSD_SE_SE_EEEEZNS1_13binary_searchIS3_S5_NSA_INSB_IiSD_RiSE_EEEESG_SI_NS1_21lower_bound_search_opENS9_16wrapped_functionINS8_7greaterIiEEbEEEE10hipError_tPvRmT1_T2_T3_mmT4_T5_P12ihipStream_tbEUlRKiE_EESS_SW_SX_mSY_S11_bEUlT_E_NS1_11comp_targetILNS1_3genE8ELNS1_11target_archE1030ELNS1_3gpuE2ELNS1_3repE0EEENS1_30default_config_static_selectorELNS0_4arch9wavefront6targetE0EEEvSV_.num_vgpr, 0
	.set _ZN7rocprim17ROCPRIM_400000_NS6detail17trampoline_kernelINS0_14default_configENS1_27lower_bound_config_selectorIilEEZNS1_14transform_implILb0ES3_S5_N6thrust23THRUST_200600_302600_NS6detail15normal_iteratorINS8_7pointerIiNS8_11hip_rocprim3tagENS8_11use_defaultESE_EEEENSA_INSB_IlSD_SE_SE_EEEEZNS1_13binary_searchIS3_S5_NSA_INSB_IiSD_RiSE_EEEESG_SI_NS1_21lower_bound_search_opENS9_16wrapped_functionINS8_7greaterIiEEbEEEE10hipError_tPvRmT1_T2_T3_mmT4_T5_P12ihipStream_tbEUlRKiE_EESS_SW_SX_mSY_S11_bEUlT_E_NS1_11comp_targetILNS1_3genE8ELNS1_11target_archE1030ELNS1_3gpuE2ELNS1_3repE0EEENS1_30default_config_static_selectorELNS0_4arch9wavefront6targetE0EEEvSV_.num_agpr, 0
	.set _ZN7rocprim17ROCPRIM_400000_NS6detail17trampoline_kernelINS0_14default_configENS1_27lower_bound_config_selectorIilEEZNS1_14transform_implILb0ES3_S5_N6thrust23THRUST_200600_302600_NS6detail15normal_iteratorINS8_7pointerIiNS8_11hip_rocprim3tagENS8_11use_defaultESE_EEEENSA_INSB_IlSD_SE_SE_EEEEZNS1_13binary_searchIS3_S5_NSA_INSB_IiSD_RiSE_EEEESG_SI_NS1_21lower_bound_search_opENS9_16wrapped_functionINS8_7greaterIiEEbEEEE10hipError_tPvRmT1_T2_T3_mmT4_T5_P12ihipStream_tbEUlRKiE_EESS_SW_SX_mSY_S11_bEUlT_E_NS1_11comp_targetILNS1_3genE8ELNS1_11target_archE1030ELNS1_3gpuE2ELNS1_3repE0EEENS1_30default_config_static_selectorELNS0_4arch9wavefront6targetE0EEEvSV_.numbered_sgpr, 0
	.set _ZN7rocprim17ROCPRIM_400000_NS6detail17trampoline_kernelINS0_14default_configENS1_27lower_bound_config_selectorIilEEZNS1_14transform_implILb0ES3_S5_N6thrust23THRUST_200600_302600_NS6detail15normal_iteratorINS8_7pointerIiNS8_11hip_rocprim3tagENS8_11use_defaultESE_EEEENSA_INSB_IlSD_SE_SE_EEEEZNS1_13binary_searchIS3_S5_NSA_INSB_IiSD_RiSE_EEEESG_SI_NS1_21lower_bound_search_opENS9_16wrapped_functionINS8_7greaterIiEEbEEEE10hipError_tPvRmT1_T2_T3_mmT4_T5_P12ihipStream_tbEUlRKiE_EESS_SW_SX_mSY_S11_bEUlT_E_NS1_11comp_targetILNS1_3genE8ELNS1_11target_archE1030ELNS1_3gpuE2ELNS1_3repE0EEENS1_30default_config_static_selectorELNS0_4arch9wavefront6targetE0EEEvSV_.num_named_barrier, 0
	.set _ZN7rocprim17ROCPRIM_400000_NS6detail17trampoline_kernelINS0_14default_configENS1_27lower_bound_config_selectorIilEEZNS1_14transform_implILb0ES3_S5_N6thrust23THRUST_200600_302600_NS6detail15normal_iteratorINS8_7pointerIiNS8_11hip_rocprim3tagENS8_11use_defaultESE_EEEENSA_INSB_IlSD_SE_SE_EEEEZNS1_13binary_searchIS3_S5_NSA_INSB_IiSD_RiSE_EEEESG_SI_NS1_21lower_bound_search_opENS9_16wrapped_functionINS8_7greaterIiEEbEEEE10hipError_tPvRmT1_T2_T3_mmT4_T5_P12ihipStream_tbEUlRKiE_EESS_SW_SX_mSY_S11_bEUlT_E_NS1_11comp_targetILNS1_3genE8ELNS1_11target_archE1030ELNS1_3gpuE2ELNS1_3repE0EEENS1_30default_config_static_selectorELNS0_4arch9wavefront6targetE0EEEvSV_.private_seg_size, 0
	.set _ZN7rocprim17ROCPRIM_400000_NS6detail17trampoline_kernelINS0_14default_configENS1_27lower_bound_config_selectorIilEEZNS1_14transform_implILb0ES3_S5_N6thrust23THRUST_200600_302600_NS6detail15normal_iteratorINS8_7pointerIiNS8_11hip_rocprim3tagENS8_11use_defaultESE_EEEENSA_INSB_IlSD_SE_SE_EEEEZNS1_13binary_searchIS3_S5_NSA_INSB_IiSD_RiSE_EEEESG_SI_NS1_21lower_bound_search_opENS9_16wrapped_functionINS8_7greaterIiEEbEEEE10hipError_tPvRmT1_T2_T3_mmT4_T5_P12ihipStream_tbEUlRKiE_EESS_SW_SX_mSY_S11_bEUlT_E_NS1_11comp_targetILNS1_3genE8ELNS1_11target_archE1030ELNS1_3gpuE2ELNS1_3repE0EEENS1_30default_config_static_selectorELNS0_4arch9wavefront6targetE0EEEvSV_.uses_vcc, 0
	.set _ZN7rocprim17ROCPRIM_400000_NS6detail17trampoline_kernelINS0_14default_configENS1_27lower_bound_config_selectorIilEEZNS1_14transform_implILb0ES3_S5_N6thrust23THRUST_200600_302600_NS6detail15normal_iteratorINS8_7pointerIiNS8_11hip_rocprim3tagENS8_11use_defaultESE_EEEENSA_INSB_IlSD_SE_SE_EEEEZNS1_13binary_searchIS3_S5_NSA_INSB_IiSD_RiSE_EEEESG_SI_NS1_21lower_bound_search_opENS9_16wrapped_functionINS8_7greaterIiEEbEEEE10hipError_tPvRmT1_T2_T3_mmT4_T5_P12ihipStream_tbEUlRKiE_EESS_SW_SX_mSY_S11_bEUlT_E_NS1_11comp_targetILNS1_3genE8ELNS1_11target_archE1030ELNS1_3gpuE2ELNS1_3repE0EEENS1_30default_config_static_selectorELNS0_4arch9wavefront6targetE0EEEvSV_.uses_flat_scratch, 0
	.set _ZN7rocprim17ROCPRIM_400000_NS6detail17trampoline_kernelINS0_14default_configENS1_27lower_bound_config_selectorIilEEZNS1_14transform_implILb0ES3_S5_N6thrust23THRUST_200600_302600_NS6detail15normal_iteratorINS8_7pointerIiNS8_11hip_rocprim3tagENS8_11use_defaultESE_EEEENSA_INSB_IlSD_SE_SE_EEEEZNS1_13binary_searchIS3_S5_NSA_INSB_IiSD_RiSE_EEEESG_SI_NS1_21lower_bound_search_opENS9_16wrapped_functionINS8_7greaterIiEEbEEEE10hipError_tPvRmT1_T2_T3_mmT4_T5_P12ihipStream_tbEUlRKiE_EESS_SW_SX_mSY_S11_bEUlT_E_NS1_11comp_targetILNS1_3genE8ELNS1_11target_archE1030ELNS1_3gpuE2ELNS1_3repE0EEENS1_30default_config_static_selectorELNS0_4arch9wavefront6targetE0EEEvSV_.has_dyn_sized_stack, 0
	.set _ZN7rocprim17ROCPRIM_400000_NS6detail17trampoline_kernelINS0_14default_configENS1_27lower_bound_config_selectorIilEEZNS1_14transform_implILb0ES3_S5_N6thrust23THRUST_200600_302600_NS6detail15normal_iteratorINS8_7pointerIiNS8_11hip_rocprim3tagENS8_11use_defaultESE_EEEENSA_INSB_IlSD_SE_SE_EEEEZNS1_13binary_searchIS3_S5_NSA_INSB_IiSD_RiSE_EEEESG_SI_NS1_21lower_bound_search_opENS9_16wrapped_functionINS8_7greaterIiEEbEEEE10hipError_tPvRmT1_T2_T3_mmT4_T5_P12ihipStream_tbEUlRKiE_EESS_SW_SX_mSY_S11_bEUlT_E_NS1_11comp_targetILNS1_3genE8ELNS1_11target_archE1030ELNS1_3gpuE2ELNS1_3repE0EEENS1_30default_config_static_selectorELNS0_4arch9wavefront6targetE0EEEvSV_.has_recursion, 0
	.set _ZN7rocprim17ROCPRIM_400000_NS6detail17trampoline_kernelINS0_14default_configENS1_27lower_bound_config_selectorIilEEZNS1_14transform_implILb0ES3_S5_N6thrust23THRUST_200600_302600_NS6detail15normal_iteratorINS8_7pointerIiNS8_11hip_rocprim3tagENS8_11use_defaultESE_EEEENSA_INSB_IlSD_SE_SE_EEEEZNS1_13binary_searchIS3_S5_NSA_INSB_IiSD_RiSE_EEEESG_SI_NS1_21lower_bound_search_opENS9_16wrapped_functionINS8_7greaterIiEEbEEEE10hipError_tPvRmT1_T2_T3_mmT4_T5_P12ihipStream_tbEUlRKiE_EESS_SW_SX_mSY_S11_bEUlT_E_NS1_11comp_targetILNS1_3genE8ELNS1_11target_archE1030ELNS1_3gpuE2ELNS1_3repE0EEENS1_30default_config_static_selectorELNS0_4arch9wavefront6targetE0EEEvSV_.has_indirect_call, 0
	.section	.AMDGPU.csdata,"",@progbits
; Kernel info:
; codeLenInByte = 0
; TotalNumSgprs: 0
; NumVgprs: 0
; ScratchSize: 0
; MemoryBound: 0
; FloatMode: 240
; IeeeMode: 1
; LDSByteSize: 0 bytes/workgroup (compile time only)
; SGPRBlocks: 0
; VGPRBlocks: 0
; NumSGPRsForWavesPerEU: 1
; NumVGPRsForWavesPerEU: 1
; NamedBarCnt: 0
; Occupancy: 16
; WaveLimiterHint : 0
; COMPUTE_PGM_RSRC2:SCRATCH_EN: 0
; COMPUTE_PGM_RSRC2:USER_SGPR: 2
; COMPUTE_PGM_RSRC2:TRAP_HANDLER: 0
; COMPUTE_PGM_RSRC2:TGID_X_EN: 1
; COMPUTE_PGM_RSRC2:TGID_Y_EN: 0
; COMPUTE_PGM_RSRC2:TGID_Z_EN: 0
; COMPUTE_PGM_RSRC2:TIDIG_COMP_CNT: 0
	.section	.text._ZN7rocprim17ROCPRIM_400000_NS6detail17trampoline_kernelINS0_14default_configENS1_27upper_bound_config_selectorIalEEZNS1_14transform_implILb0ES3_S5_N6thrust23THRUST_200600_302600_NS6detail15normal_iteratorINS8_7pointerIaNS8_11hip_rocprim3tagENS8_11use_defaultESE_EEEENSA_INSB_IlSD_SE_SE_EEEEZNS1_13binary_searchIS3_S5_NSA_INS8_10device_ptrIaEEEESG_SI_NS1_21upper_bound_search_opENS9_16wrapped_functionINS8_7greaterIaEEbEEEE10hipError_tPvRmT1_T2_T3_mmT4_T5_P12ihipStream_tbEUlRKaE_EESS_SW_SX_mSY_S11_bEUlT_E_NS1_11comp_targetILNS1_3genE0ELNS1_11target_archE4294967295ELNS1_3gpuE0ELNS1_3repE0EEENS1_30default_config_static_selectorELNS0_4arch9wavefront6targetE0EEEvSV_,"axG",@progbits,_ZN7rocprim17ROCPRIM_400000_NS6detail17trampoline_kernelINS0_14default_configENS1_27upper_bound_config_selectorIalEEZNS1_14transform_implILb0ES3_S5_N6thrust23THRUST_200600_302600_NS6detail15normal_iteratorINS8_7pointerIaNS8_11hip_rocprim3tagENS8_11use_defaultESE_EEEENSA_INSB_IlSD_SE_SE_EEEEZNS1_13binary_searchIS3_S5_NSA_INS8_10device_ptrIaEEEESG_SI_NS1_21upper_bound_search_opENS9_16wrapped_functionINS8_7greaterIaEEbEEEE10hipError_tPvRmT1_T2_T3_mmT4_T5_P12ihipStream_tbEUlRKaE_EESS_SW_SX_mSY_S11_bEUlT_E_NS1_11comp_targetILNS1_3genE0ELNS1_11target_archE4294967295ELNS1_3gpuE0ELNS1_3repE0EEENS1_30default_config_static_selectorELNS0_4arch9wavefront6targetE0EEEvSV_,comdat
	.protected	_ZN7rocprim17ROCPRIM_400000_NS6detail17trampoline_kernelINS0_14default_configENS1_27upper_bound_config_selectorIalEEZNS1_14transform_implILb0ES3_S5_N6thrust23THRUST_200600_302600_NS6detail15normal_iteratorINS8_7pointerIaNS8_11hip_rocprim3tagENS8_11use_defaultESE_EEEENSA_INSB_IlSD_SE_SE_EEEEZNS1_13binary_searchIS3_S5_NSA_INS8_10device_ptrIaEEEESG_SI_NS1_21upper_bound_search_opENS9_16wrapped_functionINS8_7greaterIaEEbEEEE10hipError_tPvRmT1_T2_T3_mmT4_T5_P12ihipStream_tbEUlRKaE_EESS_SW_SX_mSY_S11_bEUlT_E_NS1_11comp_targetILNS1_3genE0ELNS1_11target_archE4294967295ELNS1_3gpuE0ELNS1_3repE0EEENS1_30default_config_static_selectorELNS0_4arch9wavefront6targetE0EEEvSV_ ; -- Begin function _ZN7rocprim17ROCPRIM_400000_NS6detail17trampoline_kernelINS0_14default_configENS1_27upper_bound_config_selectorIalEEZNS1_14transform_implILb0ES3_S5_N6thrust23THRUST_200600_302600_NS6detail15normal_iteratorINS8_7pointerIaNS8_11hip_rocprim3tagENS8_11use_defaultESE_EEEENSA_INSB_IlSD_SE_SE_EEEEZNS1_13binary_searchIS3_S5_NSA_INS8_10device_ptrIaEEEESG_SI_NS1_21upper_bound_search_opENS9_16wrapped_functionINS8_7greaterIaEEbEEEE10hipError_tPvRmT1_T2_T3_mmT4_T5_P12ihipStream_tbEUlRKaE_EESS_SW_SX_mSY_S11_bEUlT_E_NS1_11comp_targetILNS1_3genE0ELNS1_11target_archE4294967295ELNS1_3gpuE0ELNS1_3repE0EEENS1_30default_config_static_selectorELNS0_4arch9wavefront6targetE0EEEvSV_
	.globl	_ZN7rocprim17ROCPRIM_400000_NS6detail17trampoline_kernelINS0_14default_configENS1_27upper_bound_config_selectorIalEEZNS1_14transform_implILb0ES3_S5_N6thrust23THRUST_200600_302600_NS6detail15normal_iteratorINS8_7pointerIaNS8_11hip_rocprim3tagENS8_11use_defaultESE_EEEENSA_INSB_IlSD_SE_SE_EEEEZNS1_13binary_searchIS3_S5_NSA_INS8_10device_ptrIaEEEESG_SI_NS1_21upper_bound_search_opENS9_16wrapped_functionINS8_7greaterIaEEbEEEE10hipError_tPvRmT1_T2_T3_mmT4_T5_P12ihipStream_tbEUlRKaE_EESS_SW_SX_mSY_S11_bEUlT_E_NS1_11comp_targetILNS1_3genE0ELNS1_11target_archE4294967295ELNS1_3gpuE0ELNS1_3repE0EEENS1_30default_config_static_selectorELNS0_4arch9wavefront6targetE0EEEvSV_
	.p2align	8
	.type	_ZN7rocprim17ROCPRIM_400000_NS6detail17trampoline_kernelINS0_14default_configENS1_27upper_bound_config_selectorIalEEZNS1_14transform_implILb0ES3_S5_N6thrust23THRUST_200600_302600_NS6detail15normal_iteratorINS8_7pointerIaNS8_11hip_rocprim3tagENS8_11use_defaultESE_EEEENSA_INSB_IlSD_SE_SE_EEEEZNS1_13binary_searchIS3_S5_NSA_INS8_10device_ptrIaEEEESG_SI_NS1_21upper_bound_search_opENS9_16wrapped_functionINS8_7greaterIaEEbEEEE10hipError_tPvRmT1_T2_T3_mmT4_T5_P12ihipStream_tbEUlRKaE_EESS_SW_SX_mSY_S11_bEUlT_E_NS1_11comp_targetILNS1_3genE0ELNS1_11target_archE4294967295ELNS1_3gpuE0ELNS1_3repE0EEENS1_30default_config_static_selectorELNS0_4arch9wavefront6targetE0EEEvSV_,@function
_ZN7rocprim17ROCPRIM_400000_NS6detail17trampoline_kernelINS0_14default_configENS1_27upper_bound_config_selectorIalEEZNS1_14transform_implILb0ES3_S5_N6thrust23THRUST_200600_302600_NS6detail15normal_iteratorINS8_7pointerIaNS8_11hip_rocprim3tagENS8_11use_defaultESE_EEEENSA_INSB_IlSD_SE_SE_EEEEZNS1_13binary_searchIS3_S5_NSA_INS8_10device_ptrIaEEEESG_SI_NS1_21upper_bound_search_opENS9_16wrapped_functionINS8_7greaterIaEEbEEEE10hipError_tPvRmT1_T2_T3_mmT4_T5_P12ihipStream_tbEUlRKaE_EESS_SW_SX_mSY_S11_bEUlT_E_NS1_11comp_targetILNS1_3genE0ELNS1_11target_archE4294967295ELNS1_3gpuE0ELNS1_3repE0EEENS1_30default_config_static_selectorELNS0_4arch9wavefront6targetE0EEEvSV_: ; @_ZN7rocprim17ROCPRIM_400000_NS6detail17trampoline_kernelINS0_14default_configENS1_27upper_bound_config_selectorIalEEZNS1_14transform_implILb0ES3_S5_N6thrust23THRUST_200600_302600_NS6detail15normal_iteratorINS8_7pointerIaNS8_11hip_rocprim3tagENS8_11use_defaultESE_EEEENSA_INSB_IlSD_SE_SE_EEEEZNS1_13binary_searchIS3_S5_NSA_INS8_10device_ptrIaEEEESG_SI_NS1_21upper_bound_search_opENS9_16wrapped_functionINS8_7greaterIaEEbEEEE10hipError_tPvRmT1_T2_T3_mmT4_T5_P12ihipStream_tbEUlRKaE_EESS_SW_SX_mSY_S11_bEUlT_E_NS1_11comp_targetILNS1_3genE0ELNS1_11target_archE4294967295ELNS1_3gpuE0ELNS1_3repE0EEENS1_30default_config_static_selectorELNS0_4arch9wavefront6targetE0EEEvSV_
; %bb.0:
	s_clause 0x3
	s_load_b128 s[12:15], s[0:1], 0x0
	s_load_b128 s[4:7], s[0:1], 0x18
	s_load_b32 s16, s[0:1], 0x38
	s_load_b64 s[8:9], s[0:1], 0x28
	s_bfe_u32 s2, ttmp6, 0x4000c
	s_and_b32 s3, ttmp6, 15
	s_add_co_i32 s2, s2, 1
	s_getreg_b32 s17, hwreg(HW_REG_IB_STS2, 6, 4)
	s_mul_i32 s2, ttmp9, s2
	s_delay_alu instid0(SALU_CYCLE_1)
	s_add_co_i32 s18, s3, s2
	s_wait_kmcnt 0x0
	s_lshl_b64 s[2:3], s[14:15], 3
	s_cmp_eq_u32 s17, 0
	s_add_nc_u64 s[10:11], s[12:13], s[14:15]
	s_cselect_b32 s12, ttmp9, s18
	s_add_co_i32 s16, s16, -1
	s_add_nc_u64 s[2:3], s[4:5], s[2:3]
	s_lshl_b32 s4, s12, 7
	s_mov_b32 s5, 0
	s_cmp_lg_u32 s12, s16
	s_mov_b32 s12, -1
	s_cbranch_scc0 .LBB77_7
; %bb.1:
	v_mov_b32_e32 v1, 0
	s_cmp_eq_u64 s[8:9], 0
	s_cbranch_scc1 .LBB77_5
; %bb.2:
	s_add_nc_u64 s[12:13], s[10:11], s[4:5]
	v_mov_b64_e32 v[4:5], s[8:9]
	v_add_nc_u64_e32 v[2:3], s[12:13], v[0:1]
	s_mov_b32 s12, 0
	flat_load_i8 v1, v[2:3]
	s_wait_xcnt 0x0
	v_mov_b64_e32 v[2:3], 0
.LBB77_3:                               ; =>This Inner Loop Header: Depth=1
	s_delay_alu instid0(VALU_DEP_1) | instskip(NEXT) | instid1(VALU_DEP_1)
	v_sub_nc_u64_e32 v[6:7], v[4:5], v[2:3]
	v_lshrrev_b64 v[8:9], 1, v[6:7]
	v_lshrrev_b64 v[6:7], 6, v[6:7]
	s_delay_alu instid0(VALU_DEP_2) | instskip(NEXT) | instid1(VALU_DEP_1)
	v_add_nc_u64_e32 v[8:9], v[8:9], v[2:3]
	v_add_nc_u64_e32 v[6:7], v[8:9], v[6:7]
	s_delay_alu instid0(VALU_DEP_1)
	v_add_nc_u64_e32 v[8:9], s[6:7], v[6:7]
	global_load_i8 v10, v[8:9], off
	s_wait_xcnt 0x0
	v_add_nc_u64_e32 v[8:9], 1, v[6:7]
	s_wait_loadcnt_dscnt 0x0
	v_cmp_gt_i16_e32 vcc_lo, v1, v10
	v_dual_cndmask_b32 v5, v5, v7 :: v_dual_cndmask_b32 v4, v4, v6
	s_delay_alu instid0(VALU_DEP_3) | instskip(NEXT) | instid1(VALU_DEP_1)
	v_dual_cndmask_b32 v3, v9, v3 :: v_dual_cndmask_b32 v2, v8, v2
	v_cmp_ge_u64_e32 vcc_lo, v[2:3], v[4:5]
	s_or_b32 s12, vcc_lo, s12
	s_delay_alu instid0(SALU_CYCLE_1)
	s_and_not1_b32 exec_lo, exec_lo, s12
	s_cbranch_execnz .LBB77_3
; %bb.4:
	s_or_b32 exec_lo, exec_lo, s12
	s_branch .LBB77_6
.LBB77_5:
	v_mov_b64_e32 v[2:3], 0
.LBB77_6:
	s_lshl_b64 s[12:13], s[4:5], 3
	s_delay_alu instid0(SALU_CYCLE_1)
	s_add_nc_u64 s[14:15], s[2:3], s[12:13]
	s_mov_b32 s12, 0
	flat_store_b64 v0, v[2:3], s[14:15] scale_offset
.LBB77_7:
	s_and_b32 vcc_lo, exec_lo, s12
	s_cbranch_vccz .LBB77_16
; %bb.8:
	s_load_b32 s0, s[0:1], 0x10
                                        ; implicit-def: $vgpr1
	s_wait_kmcnt 0x0
	s_sub_co_i32 s1, s0, s4
	s_delay_alu instid0(SALU_CYCLE_1)
	v_cmp_le_u32_e64 s0, s1, v0
	v_cmp_gt_u32_e32 vcc_lo, s1, v0
	s_and_saveexec_b32 s1, vcc_lo
	s_cbranch_execz .LBB77_10
; %bb.9:
	s_add_nc_u64 s[10:11], s[10:11], s[4:5]
	flat_load_u8 v1, v0, s[10:11]
.LBB77_10:
	s_wait_xcnt 0x0
	s_or_b32 exec_lo, exec_lo, s1
	v_mov_b64_e32 v[2:3], 0
	s_cmp_lg_u64 s[8:9], 0
	s_cselect_b32 s1, -1, 0
	s_xor_b32 s0, s0, -1
	s_delay_alu instid0(SALU_CYCLE_1) | instskip(NEXT) | instid1(SALU_CYCLE_1)
	s_and_b32 s0, s0, s1
	s_and_saveexec_b32 s1, s0
	s_cbranch_execz .LBB77_14
; %bb.11:
	v_mov_b64_e32 v[2:3], 0
	v_mov_b64_e32 v[4:5], s[8:9]
	s_wait_loadcnt_dscnt 0x0
	v_bfe_i32 v1, v1, 0, 8
	s_mov_b32 s8, 0
.LBB77_12:                              ; =>This Inner Loop Header: Depth=1
	s_delay_alu instid0(VALU_DEP_2) | instskip(NEXT) | instid1(VALU_DEP_1)
	v_sub_nc_u64_e32 v[6:7], v[4:5], v[2:3]
	v_lshrrev_b64 v[8:9], 1, v[6:7]
	v_lshrrev_b64 v[6:7], 6, v[6:7]
	s_delay_alu instid0(VALU_DEP_2) | instskip(NEXT) | instid1(VALU_DEP_1)
	v_add_nc_u64_e32 v[8:9], v[8:9], v[2:3]
	v_add_nc_u64_e32 v[6:7], v[8:9], v[6:7]
	s_delay_alu instid0(VALU_DEP_1)
	v_add_nc_u64_e32 v[8:9], s[6:7], v[6:7]
	global_load_i8 v10, v[8:9], off
	s_wait_xcnt 0x0
	v_add_nc_u64_e32 v[8:9], 1, v[6:7]
	s_wait_loadcnt 0x0
	v_cmp_gt_i16_e64 s0, v1, v10
	s_delay_alu instid0(VALU_DEP_1) | instskip(NEXT) | instid1(VALU_DEP_3)
	v_dual_cndmask_b32 v5, v5, v7, s0 :: v_dual_cndmask_b32 v4, v4, v6, s0
	v_dual_cndmask_b32 v3, v9, v3, s0 :: v_dual_cndmask_b32 v2, v8, v2, s0
	s_delay_alu instid0(VALU_DEP_1) | instskip(SKIP_1) | instid1(SALU_CYCLE_1)
	v_cmp_ge_u64_e64 s0, v[2:3], v[4:5]
	s_or_b32 s8, s0, s8
	s_and_not1_b32 exec_lo, exec_lo, s8
	s_cbranch_execnz .LBB77_12
; %bb.13:
	s_or_b32 exec_lo, exec_lo, s8
.LBB77_14:
	s_delay_alu instid0(SALU_CYCLE_1)
	s_or_b32 exec_lo, exec_lo, s1
	s_and_saveexec_b32 s0, vcc_lo
	s_cbranch_execz .LBB77_16
; %bb.15:
	s_lshl_b64 s[0:1], s[4:5], 3
	s_delay_alu instid0(SALU_CYCLE_1)
	s_add_nc_u64 s[0:1], s[2:3], s[0:1]
	flat_store_b64 v0, v[2:3], s[0:1] scale_offset
.LBB77_16:
	s_endpgm
	.section	.rodata,"a",@progbits
	.p2align	6, 0x0
	.amdhsa_kernel _ZN7rocprim17ROCPRIM_400000_NS6detail17trampoline_kernelINS0_14default_configENS1_27upper_bound_config_selectorIalEEZNS1_14transform_implILb0ES3_S5_N6thrust23THRUST_200600_302600_NS6detail15normal_iteratorINS8_7pointerIaNS8_11hip_rocprim3tagENS8_11use_defaultESE_EEEENSA_INSB_IlSD_SE_SE_EEEEZNS1_13binary_searchIS3_S5_NSA_INS8_10device_ptrIaEEEESG_SI_NS1_21upper_bound_search_opENS9_16wrapped_functionINS8_7greaterIaEEbEEEE10hipError_tPvRmT1_T2_T3_mmT4_T5_P12ihipStream_tbEUlRKaE_EESS_SW_SX_mSY_S11_bEUlT_E_NS1_11comp_targetILNS1_3genE0ELNS1_11target_archE4294967295ELNS1_3gpuE0ELNS1_3repE0EEENS1_30default_config_static_selectorELNS0_4arch9wavefront6targetE0EEEvSV_
		.amdhsa_group_segment_fixed_size 0
		.amdhsa_private_segment_fixed_size 0
		.amdhsa_kernarg_size 312
		.amdhsa_user_sgpr_count 2
		.amdhsa_user_sgpr_dispatch_ptr 0
		.amdhsa_user_sgpr_queue_ptr 0
		.amdhsa_user_sgpr_kernarg_segment_ptr 1
		.amdhsa_user_sgpr_dispatch_id 0
		.amdhsa_user_sgpr_kernarg_preload_length 0
		.amdhsa_user_sgpr_kernarg_preload_offset 0
		.amdhsa_user_sgpr_private_segment_size 0
		.amdhsa_wavefront_size32 1
		.amdhsa_uses_dynamic_stack 0
		.amdhsa_enable_private_segment 0
		.amdhsa_system_sgpr_workgroup_id_x 1
		.amdhsa_system_sgpr_workgroup_id_y 0
		.amdhsa_system_sgpr_workgroup_id_z 0
		.amdhsa_system_sgpr_workgroup_info 0
		.amdhsa_system_vgpr_workitem_id 0
		.amdhsa_next_free_vgpr 11
		.amdhsa_next_free_sgpr 19
		.amdhsa_named_barrier_count 0
		.amdhsa_reserve_vcc 1
		.amdhsa_float_round_mode_32 0
		.amdhsa_float_round_mode_16_64 0
		.amdhsa_float_denorm_mode_32 3
		.amdhsa_float_denorm_mode_16_64 3
		.amdhsa_fp16_overflow 0
		.amdhsa_memory_ordered 1
		.amdhsa_forward_progress 1
		.amdhsa_inst_pref_size 5
		.amdhsa_round_robin_scheduling 0
		.amdhsa_exception_fp_ieee_invalid_op 0
		.amdhsa_exception_fp_denorm_src 0
		.amdhsa_exception_fp_ieee_div_zero 0
		.amdhsa_exception_fp_ieee_overflow 0
		.amdhsa_exception_fp_ieee_underflow 0
		.amdhsa_exception_fp_ieee_inexact 0
		.amdhsa_exception_int_div_zero 0
	.end_amdhsa_kernel
	.section	.text._ZN7rocprim17ROCPRIM_400000_NS6detail17trampoline_kernelINS0_14default_configENS1_27upper_bound_config_selectorIalEEZNS1_14transform_implILb0ES3_S5_N6thrust23THRUST_200600_302600_NS6detail15normal_iteratorINS8_7pointerIaNS8_11hip_rocprim3tagENS8_11use_defaultESE_EEEENSA_INSB_IlSD_SE_SE_EEEEZNS1_13binary_searchIS3_S5_NSA_INS8_10device_ptrIaEEEESG_SI_NS1_21upper_bound_search_opENS9_16wrapped_functionINS8_7greaterIaEEbEEEE10hipError_tPvRmT1_T2_T3_mmT4_T5_P12ihipStream_tbEUlRKaE_EESS_SW_SX_mSY_S11_bEUlT_E_NS1_11comp_targetILNS1_3genE0ELNS1_11target_archE4294967295ELNS1_3gpuE0ELNS1_3repE0EEENS1_30default_config_static_selectorELNS0_4arch9wavefront6targetE0EEEvSV_,"axG",@progbits,_ZN7rocprim17ROCPRIM_400000_NS6detail17trampoline_kernelINS0_14default_configENS1_27upper_bound_config_selectorIalEEZNS1_14transform_implILb0ES3_S5_N6thrust23THRUST_200600_302600_NS6detail15normal_iteratorINS8_7pointerIaNS8_11hip_rocprim3tagENS8_11use_defaultESE_EEEENSA_INSB_IlSD_SE_SE_EEEEZNS1_13binary_searchIS3_S5_NSA_INS8_10device_ptrIaEEEESG_SI_NS1_21upper_bound_search_opENS9_16wrapped_functionINS8_7greaterIaEEbEEEE10hipError_tPvRmT1_T2_T3_mmT4_T5_P12ihipStream_tbEUlRKaE_EESS_SW_SX_mSY_S11_bEUlT_E_NS1_11comp_targetILNS1_3genE0ELNS1_11target_archE4294967295ELNS1_3gpuE0ELNS1_3repE0EEENS1_30default_config_static_selectorELNS0_4arch9wavefront6targetE0EEEvSV_,comdat
.Lfunc_end77:
	.size	_ZN7rocprim17ROCPRIM_400000_NS6detail17trampoline_kernelINS0_14default_configENS1_27upper_bound_config_selectorIalEEZNS1_14transform_implILb0ES3_S5_N6thrust23THRUST_200600_302600_NS6detail15normal_iteratorINS8_7pointerIaNS8_11hip_rocprim3tagENS8_11use_defaultESE_EEEENSA_INSB_IlSD_SE_SE_EEEEZNS1_13binary_searchIS3_S5_NSA_INS8_10device_ptrIaEEEESG_SI_NS1_21upper_bound_search_opENS9_16wrapped_functionINS8_7greaterIaEEbEEEE10hipError_tPvRmT1_T2_T3_mmT4_T5_P12ihipStream_tbEUlRKaE_EESS_SW_SX_mSY_S11_bEUlT_E_NS1_11comp_targetILNS1_3genE0ELNS1_11target_archE4294967295ELNS1_3gpuE0ELNS1_3repE0EEENS1_30default_config_static_selectorELNS0_4arch9wavefront6targetE0EEEvSV_, .Lfunc_end77-_ZN7rocprim17ROCPRIM_400000_NS6detail17trampoline_kernelINS0_14default_configENS1_27upper_bound_config_selectorIalEEZNS1_14transform_implILb0ES3_S5_N6thrust23THRUST_200600_302600_NS6detail15normal_iteratorINS8_7pointerIaNS8_11hip_rocprim3tagENS8_11use_defaultESE_EEEENSA_INSB_IlSD_SE_SE_EEEEZNS1_13binary_searchIS3_S5_NSA_INS8_10device_ptrIaEEEESG_SI_NS1_21upper_bound_search_opENS9_16wrapped_functionINS8_7greaterIaEEbEEEE10hipError_tPvRmT1_T2_T3_mmT4_T5_P12ihipStream_tbEUlRKaE_EESS_SW_SX_mSY_S11_bEUlT_E_NS1_11comp_targetILNS1_3genE0ELNS1_11target_archE4294967295ELNS1_3gpuE0ELNS1_3repE0EEENS1_30default_config_static_selectorELNS0_4arch9wavefront6targetE0EEEvSV_
                                        ; -- End function
	.set _ZN7rocprim17ROCPRIM_400000_NS6detail17trampoline_kernelINS0_14default_configENS1_27upper_bound_config_selectorIalEEZNS1_14transform_implILb0ES3_S5_N6thrust23THRUST_200600_302600_NS6detail15normal_iteratorINS8_7pointerIaNS8_11hip_rocprim3tagENS8_11use_defaultESE_EEEENSA_INSB_IlSD_SE_SE_EEEEZNS1_13binary_searchIS3_S5_NSA_INS8_10device_ptrIaEEEESG_SI_NS1_21upper_bound_search_opENS9_16wrapped_functionINS8_7greaterIaEEbEEEE10hipError_tPvRmT1_T2_T3_mmT4_T5_P12ihipStream_tbEUlRKaE_EESS_SW_SX_mSY_S11_bEUlT_E_NS1_11comp_targetILNS1_3genE0ELNS1_11target_archE4294967295ELNS1_3gpuE0ELNS1_3repE0EEENS1_30default_config_static_selectorELNS0_4arch9wavefront6targetE0EEEvSV_.num_vgpr, 11
	.set _ZN7rocprim17ROCPRIM_400000_NS6detail17trampoline_kernelINS0_14default_configENS1_27upper_bound_config_selectorIalEEZNS1_14transform_implILb0ES3_S5_N6thrust23THRUST_200600_302600_NS6detail15normal_iteratorINS8_7pointerIaNS8_11hip_rocprim3tagENS8_11use_defaultESE_EEEENSA_INSB_IlSD_SE_SE_EEEEZNS1_13binary_searchIS3_S5_NSA_INS8_10device_ptrIaEEEESG_SI_NS1_21upper_bound_search_opENS9_16wrapped_functionINS8_7greaterIaEEbEEEE10hipError_tPvRmT1_T2_T3_mmT4_T5_P12ihipStream_tbEUlRKaE_EESS_SW_SX_mSY_S11_bEUlT_E_NS1_11comp_targetILNS1_3genE0ELNS1_11target_archE4294967295ELNS1_3gpuE0ELNS1_3repE0EEENS1_30default_config_static_selectorELNS0_4arch9wavefront6targetE0EEEvSV_.num_agpr, 0
	.set _ZN7rocprim17ROCPRIM_400000_NS6detail17trampoline_kernelINS0_14default_configENS1_27upper_bound_config_selectorIalEEZNS1_14transform_implILb0ES3_S5_N6thrust23THRUST_200600_302600_NS6detail15normal_iteratorINS8_7pointerIaNS8_11hip_rocprim3tagENS8_11use_defaultESE_EEEENSA_INSB_IlSD_SE_SE_EEEEZNS1_13binary_searchIS3_S5_NSA_INS8_10device_ptrIaEEEESG_SI_NS1_21upper_bound_search_opENS9_16wrapped_functionINS8_7greaterIaEEbEEEE10hipError_tPvRmT1_T2_T3_mmT4_T5_P12ihipStream_tbEUlRKaE_EESS_SW_SX_mSY_S11_bEUlT_E_NS1_11comp_targetILNS1_3genE0ELNS1_11target_archE4294967295ELNS1_3gpuE0ELNS1_3repE0EEENS1_30default_config_static_selectorELNS0_4arch9wavefront6targetE0EEEvSV_.numbered_sgpr, 19
	.set _ZN7rocprim17ROCPRIM_400000_NS6detail17trampoline_kernelINS0_14default_configENS1_27upper_bound_config_selectorIalEEZNS1_14transform_implILb0ES3_S5_N6thrust23THRUST_200600_302600_NS6detail15normal_iteratorINS8_7pointerIaNS8_11hip_rocprim3tagENS8_11use_defaultESE_EEEENSA_INSB_IlSD_SE_SE_EEEEZNS1_13binary_searchIS3_S5_NSA_INS8_10device_ptrIaEEEESG_SI_NS1_21upper_bound_search_opENS9_16wrapped_functionINS8_7greaterIaEEbEEEE10hipError_tPvRmT1_T2_T3_mmT4_T5_P12ihipStream_tbEUlRKaE_EESS_SW_SX_mSY_S11_bEUlT_E_NS1_11comp_targetILNS1_3genE0ELNS1_11target_archE4294967295ELNS1_3gpuE0ELNS1_3repE0EEENS1_30default_config_static_selectorELNS0_4arch9wavefront6targetE0EEEvSV_.num_named_barrier, 0
	.set _ZN7rocprim17ROCPRIM_400000_NS6detail17trampoline_kernelINS0_14default_configENS1_27upper_bound_config_selectorIalEEZNS1_14transform_implILb0ES3_S5_N6thrust23THRUST_200600_302600_NS6detail15normal_iteratorINS8_7pointerIaNS8_11hip_rocprim3tagENS8_11use_defaultESE_EEEENSA_INSB_IlSD_SE_SE_EEEEZNS1_13binary_searchIS3_S5_NSA_INS8_10device_ptrIaEEEESG_SI_NS1_21upper_bound_search_opENS9_16wrapped_functionINS8_7greaterIaEEbEEEE10hipError_tPvRmT1_T2_T3_mmT4_T5_P12ihipStream_tbEUlRKaE_EESS_SW_SX_mSY_S11_bEUlT_E_NS1_11comp_targetILNS1_3genE0ELNS1_11target_archE4294967295ELNS1_3gpuE0ELNS1_3repE0EEENS1_30default_config_static_selectorELNS0_4arch9wavefront6targetE0EEEvSV_.private_seg_size, 0
	.set _ZN7rocprim17ROCPRIM_400000_NS6detail17trampoline_kernelINS0_14default_configENS1_27upper_bound_config_selectorIalEEZNS1_14transform_implILb0ES3_S5_N6thrust23THRUST_200600_302600_NS6detail15normal_iteratorINS8_7pointerIaNS8_11hip_rocprim3tagENS8_11use_defaultESE_EEEENSA_INSB_IlSD_SE_SE_EEEEZNS1_13binary_searchIS3_S5_NSA_INS8_10device_ptrIaEEEESG_SI_NS1_21upper_bound_search_opENS9_16wrapped_functionINS8_7greaterIaEEbEEEE10hipError_tPvRmT1_T2_T3_mmT4_T5_P12ihipStream_tbEUlRKaE_EESS_SW_SX_mSY_S11_bEUlT_E_NS1_11comp_targetILNS1_3genE0ELNS1_11target_archE4294967295ELNS1_3gpuE0ELNS1_3repE0EEENS1_30default_config_static_selectorELNS0_4arch9wavefront6targetE0EEEvSV_.uses_vcc, 1
	.set _ZN7rocprim17ROCPRIM_400000_NS6detail17trampoline_kernelINS0_14default_configENS1_27upper_bound_config_selectorIalEEZNS1_14transform_implILb0ES3_S5_N6thrust23THRUST_200600_302600_NS6detail15normal_iteratorINS8_7pointerIaNS8_11hip_rocprim3tagENS8_11use_defaultESE_EEEENSA_INSB_IlSD_SE_SE_EEEEZNS1_13binary_searchIS3_S5_NSA_INS8_10device_ptrIaEEEESG_SI_NS1_21upper_bound_search_opENS9_16wrapped_functionINS8_7greaterIaEEbEEEE10hipError_tPvRmT1_T2_T3_mmT4_T5_P12ihipStream_tbEUlRKaE_EESS_SW_SX_mSY_S11_bEUlT_E_NS1_11comp_targetILNS1_3genE0ELNS1_11target_archE4294967295ELNS1_3gpuE0ELNS1_3repE0EEENS1_30default_config_static_selectorELNS0_4arch9wavefront6targetE0EEEvSV_.uses_flat_scratch, 0
	.set _ZN7rocprim17ROCPRIM_400000_NS6detail17trampoline_kernelINS0_14default_configENS1_27upper_bound_config_selectorIalEEZNS1_14transform_implILb0ES3_S5_N6thrust23THRUST_200600_302600_NS6detail15normal_iteratorINS8_7pointerIaNS8_11hip_rocprim3tagENS8_11use_defaultESE_EEEENSA_INSB_IlSD_SE_SE_EEEEZNS1_13binary_searchIS3_S5_NSA_INS8_10device_ptrIaEEEESG_SI_NS1_21upper_bound_search_opENS9_16wrapped_functionINS8_7greaterIaEEbEEEE10hipError_tPvRmT1_T2_T3_mmT4_T5_P12ihipStream_tbEUlRKaE_EESS_SW_SX_mSY_S11_bEUlT_E_NS1_11comp_targetILNS1_3genE0ELNS1_11target_archE4294967295ELNS1_3gpuE0ELNS1_3repE0EEENS1_30default_config_static_selectorELNS0_4arch9wavefront6targetE0EEEvSV_.has_dyn_sized_stack, 0
	.set _ZN7rocprim17ROCPRIM_400000_NS6detail17trampoline_kernelINS0_14default_configENS1_27upper_bound_config_selectorIalEEZNS1_14transform_implILb0ES3_S5_N6thrust23THRUST_200600_302600_NS6detail15normal_iteratorINS8_7pointerIaNS8_11hip_rocprim3tagENS8_11use_defaultESE_EEEENSA_INSB_IlSD_SE_SE_EEEEZNS1_13binary_searchIS3_S5_NSA_INS8_10device_ptrIaEEEESG_SI_NS1_21upper_bound_search_opENS9_16wrapped_functionINS8_7greaterIaEEbEEEE10hipError_tPvRmT1_T2_T3_mmT4_T5_P12ihipStream_tbEUlRKaE_EESS_SW_SX_mSY_S11_bEUlT_E_NS1_11comp_targetILNS1_3genE0ELNS1_11target_archE4294967295ELNS1_3gpuE0ELNS1_3repE0EEENS1_30default_config_static_selectorELNS0_4arch9wavefront6targetE0EEEvSV_.has_recursion, 0
	.set _ZN7rocprim17ROCPRIM_400000_NS6detail17trampoline_kernelINS0_14default_configENS1_27upper_bound_config_selectorIalEEZNS1_14transform_implILb0ES3_S5_N6thrust23THRUST_200600_302600_NS6detail15normal_iteratorINS8_7pointerIaNS8_11hip_rocprim3tagENS8_11use_defaultESE_EEEENSA_INSB_IlSD_SE_SE_EEEEZNS1_13binary_searchIS3_S5_NSA_INS8_10device_ptrIaEEEESG_SI_NS1_21upper_bound_search_opENS9_16wrapped_functionINS8_7greaterIaEEbEEEE10hipError_tPvRmT1_T2_T3_mmT4_T5_P12ihipStream_tbEUlRKaE_EESS_SW_SX_mSY_S11_bEUlT_E_NS1_11comp_targetILNS1_3genE0ELNS1_11target_archE4294967295ELNS1_3gpuE0ELNS1_3repE0EEENS1_30default_config_static_selectorELNS0_4arch9wavefront6targetE0EEEvSV_.has_indirect_call, 0
	.section	.AMDGPU.csdata,"",@progbits
; Kernel info:
; codeLenInByte = 620
; TotalNumSgprs: 21
; NumVgprs: 11
; ScratchSize: 0
; MemoryBound: 0
; FloatMode: 240
; IeeeMode: 1
; LDSByteSize: 0 bytes/workgroup (compile time only)
; SGPRBlocks: 0
; VGPRBlocks: 0
; NumSGPRsForWavesPerEU: 21
; NumVGPRsForWavesPerEU: 11
; NamedBarCnt: 0
; Occupancy: 16
; WaveLimiterHint : 0
; COMPUTE_PGM_RSRC2:SCRATCH_EN: 0
; COMPUTE_PGM_RSRC2:USER_SGPR: 2
; COMPUTE_PGM_RSRC2:TRAP_HANDLER: 0
; COMPUTE_PGM_RSRC2:TGID_X_EN: 1
; COMPUTE_PGM_RSRC2:TGID_Y_EN: 0
; COMPUTE_PGM_RSRC2:TGID_Z_EN: 0
; COMPUTE_PGM_RSRC2:TIDIG_COMP_CNT: 0
	.section	.text._ZN7rocprim17ROCPRIM_400000_NS6detail17trampoline_kernelINS0_14default_configENS1_27upper_bound_config_selectorIalEEZNS1_14transform_implILb0ES3_S5_N6thrust23THRUST_200600_302600_NS6detail15normal_iteratorINS8_7pointerIaNS8_11hip_rocprim3tagENS8_11use_defaultESE_EEEENSA_INSB_IlSD_SE_SE_EEEEZNS1_13binary_searchIS3_S5_NSA_INS8_10device_ptrIaEEEESG_SI_NS1_21upper_bound_search_opENS9_16wrapped_functionINS8_7greaterIaEEbEEEE10hipError_tPvRmT1_T2_T3_mmT4_T5_P12ihipStream_tbEUlRKaE_EESS_SW_SX_mSY_S11_bEUlT_E_NS1_11comp_targetILNS1_3genE5ELNS1_11target_archE942ELNS1_3gpuE9ELNS1_3repE0EEENS1_30default_config_static_selectorELNS0_4arch9wavefront6targetE0EEEvSV_,"axG",@progbits,_ZN7rocprim17ROCPRIM_400000_NS6detail17trampoline_kernelINS0_14default_configENS1_27upper_bound_config_selectorIalEEZNS1_14transform_implILb0ES3_S5_N6thrust23THRUST_200600_302600_NS6detail15normal_iteratorINS8_7pointerIaNS8_11hip_rocprim3tagENS8_11use_defaultESE_EEEENSA_INSB_IlSD_SE_SE_EEEEZNS1_13binary_searchIS3_S5_NSA_INS8_10device_ptrIaEEEESG_SI_NS1_21upper_bound_search_opENS9_16wrapped_functionINS8_7greaterIaEEbEEEE10hipError_tPvRmT1_T2_T3_mmT4_T5_P12ihipStream_tbEUlRKaE_EESS_SW_SX_mSY_S11_bEUlT_E_NS1_11comp_targetILNS1_3genE5ELNS1_11target_archE942ELNS1_3gpuE9ELNS1_3repE0EEENS1_30default_config_static_selectorELNS0_4arch9wavefront6targetE0EEEvSV_,comdat
	.protected	_ZN7rocprim17ROCPRIM_400000_NS6detail17trampoline_kernelINS0_14default_configENS1_27upper_bound_config_selectorIalEEZNS1_14transform_implILb0ES3_S5_N6thrust23THRUST_200600_302600_NS6detail15normal_iteratorINS8_7pointerIaNS8_11hip_rocprim3tagENS8_11use_defaultESE_EEEENSA_INSB_IlSD_SE_SE_EEEEZNS1_13binary_searchIS3_S5_NSA_INS8_10device_ptrIaEEEESG_SI_NS1_21upper_bound_search_opENS9_16wrapped_functionINS8_7greaterIaEEbEEEE10hipError_tPvRmT1_T2_T3_mmT4_T5_P12ihipStream_tbEUlRKaE_EESS_SW_SX_mSY_S11_bEUlT_E_NS1_11comp_targetILNS1_3genE5ELNS1_11target_archE942ELNS1_3gpuE9ELNS1_3repE0EEENS1_30default_config_static_selectorELNS0_4arch9wavefront6targetE0EEEvSV_ ; -- Begin function _ZN7rocprim17ROCPRIM_400000_NS6detail17trampoline_kernelINS0_14default_configENS1_27upper_bound_config_selectorIalEEZNS1_14transform_implILb0ES3_S5_N6thrust23THRUST_200600_302600_NS6detail15normal_iteratorINS8_7pointerIaNS8_11hip_rocprim3tagENS8_11use_defaultESE_EEEENSA_INSB_IlSD_SE_SE_EEEEZNS1_13binary_searchIS3_S5_NSA_INS8_10device_ptrIaEEEESG_SI_NS1_21upper_bound_search_opENS9_16wrapped_functionINS8_7greaterIaEEbEEEE10hipError_tPvRmT1_T2_T3_mmT4_T5_P12ihipStream_tbEUlRKaE_EESS_SW_SX_mSY_S11_bEUlT_E_NS1_11comp_targetILNS1_3genE5ELNS1_11target_archE942ELNS1_3gpuE9ELNS1_3repE0EEENS1_30default_config_static_selectorELNS0_4arch9wavefront6targetE0EEEvSV_
	.globl	_ZN7rocprim17ROCPRIM_400000_NS6detail17trampoline_kernelINS0_14default_configENS1_27upper_bound_config_selectorIalEEZNS1_14transform_implILb0ES3_S5_N6thrust23THRUST_200600_302600_NS6detail15normal_iteratorINS8_7pointerIaNS8_11hip_rocprim3tagENS8_11use_defaultESE_EEEENSA_INSB_IlSD_SE_SE_EEEEZNS1_13binary_searchIS3_S5_NSA_INS8_10device_ptrIaEEEESG_SI_NS1_21upper_bound_search_opENS9_16wrapped_functionINS8_7greaterIaEEbEEEE10hipError_tPvRmT1_T2_T3_mmT4_T5_P12ihipStream_tbEUlRKaE_EESS_SW_SX_mSY_S11_bEUlT_E_NS1_11comp_targetILNS1_3genE5ELNS1_11target_archE942ELNS1_3gpuE9ELNS1_3repE0EEENS1_30default_config_static_selectorELNS0_4arch9wavefront6targetE0EEEvSV_
	.p2align	8
	.type	_ZN7rocprim17ROCPRIM_400000_NS6detail17trampoline_kernelINS0_14default_configENS1_27upper_bound_config_selectorIalEEZNS1_14transform_implILb0ES3_S5_N6thrust23THRUST_200600_302600_NS6detail15normal_iteratorINS8_7pointerIaNS8_11hip_rocprim3tagENS8_11use_defaultESE_EEEENSA_INSB_IlSD_SE_SE_EEEEZNS1_13binary_searchIS3_S5_NSA_INS8_10device_ptrIaEEEESG_SI_NS1_21upper_bound_search_opENS9_16wrapped_functionINS8_7greaterIaEEbEEEE10hipError_tPvRmT1_T2_T3_mmT4_T5_P12ihipStream_tbEUlRKaE_EESS_SW_SX_mSY_S11_bEUlT_E_NS1_11comp_targetILNS1_3genE5ELNS1_11target_archE942ELNS1_3gpuE9ELNS1_3repE0EEENS1_30default_config_static_selectorELNS0_4arch9wavefront6targetE0EEEvSV_,@function
_ZN7rocprim17ROCPRIM_400000_NS6detail17trampoline_kernelINS0_14default_configENS1_27upper_bound_config_selectorIalEEZNS1_14transform_implILb0ES3_S5_N6thrust23THRUST_200600_302600_NS6detail15normal_iteratorINS8_7pointerIaNS8_11hip_rocprim3tagENS8_11use_defaultESE_EEEENSA_INSB_IlSD_SE_SE_EEEEZNS1_13binary_searchIS3_S5_NSA_INS8_10device_ptrIaEEEESG_SI_NS1_21upper_bound_search_opENS9_16wrapped_functionINS8_7greaterIaEEbEEEE10hipError_tPvRmT1_T2_T3_mmT4_T5_P12ihipStream_tbEUlRKaE_EESS_SW_SX_mSY_S11_bEUlT_E_NS1_11comp_targetILNS1_3genE5ELNS1_11target_archE942ELNS1_3gpuE9ELNS1_3repE0EEENS1_30default_config_static_selectorELNS0_4arch9wavefront6targetE0EEEvSV_: ; @_ZN7rocprim17ROCPRIM_400000_NS6detail17trampoline_kernelINS0_14default_configENS1_27upper_bound_config_selectorIalEEZNS1_14transform_implILb0ES3_S5_N6thrust23THRUST_200600_302600_NS6detail15normal_iteratorINS8_7pointerIaNS8_11hip_rocprim3tagENS8_11use_defaultESE_EEEENSA_INSB_IlSD_SE_SE_EEEEZNS1_13binary_searchIS3_S5_NSA_INS8_10device_ptrIaEEEESG_SI_NS1_21upper_bound_search_opENS9_16wrapped_functionINS8_7greaterIaEEbEEEE10hipError_tPvRmT1_T2_T3_mmT4_T5_P12ihipStream_tbEUlRKaE_EESS_SW_SX_mSY_S11_bEUlT_E_NS1_11comp_targetILNS1_3genE5ELNS1_11target_archE942ELNS1_3gpuE9ELNS1_3repE0EEENS1_30default_config_static_selectorELNS0_4arch9wavefront6targetE0EEEvSV_
; %bb.0:
	.section	.rodata,"a",@progbits
	.p2align	6, 0x0
	.amdhsa_kernel _ZN7rocprim17ROCPRIM_400000_NS6detail17trampoline_kernelINS0_14default_configENS1_27upper_bound_config_selectorIalEEZNS1_14transform_implILb0ES3_S5_N6thrust23THRUST_200600_302600_NS6detail15normal_iteratorINS8_7pointerIaNS8_11hip_rocprim3tagENS8_11use_defaultESE_EEEENSA_INSB_IlSD_SE_SE_EEEEZNS1_13binary_searchIS3_S5_NSA_INS8_10device_ptrIaEEEESG_SI_NS1_21upper_bound_search_opENS9_16wrapped_functionINS8_7greaterIaEEbEEEE10hipError_tPvRmT1_T2_T3_mmT4_T5_P12ihipStream_tbEUlRKaE_EESS_SW_SX_mSY_S11_bEUlT_E_NS1_11comp_targetILNS1_3genE5ELNS1_11target_archE942ELNS1_3gpuE9ELNS1_3repE0EEENS1_30default_config_static_selectorELNS0_4arch9wavefront6targetE0EEEvSV_
		.amdhsa_group_segment_fixed_size 0
		.amdhsa_private_segment_fixed_size 0
		.amdhsa_kernarg_size 56
		.amdhsa_user_sgpr_count 2
		.amdhsa_user_sgpr_dispatch_ptr 0
		.amdhsa_user_sgpr_queue_ptr 0
		.amdhsa_user_sgpr_kernarg_segment_ptr 1
		.amdhsa_user_sgpr_dispatch_id 0
		.amdhsa_user_sgpr_kernarg_preload_length 0
		.amdhsa_user_sgpr_kernarg_preload_offset 0
		.amdhsa_user_sgpr_private_segment_size 0
		.amdhsa_wavefront_size32 1
		.amdhsa_uses_dynamic_stack 0
		.amdhsa_enable_private_segment 0
		.amdhsa_system_sgpr_workgroup_id_x 1
		.amdhsa_system_sgpr_workgroup_id_y 0
		.amdhsa_system_sgpr_workgroup_id_z 0
		.amdhsa_system_sgpr_workgroup_info 0
		.amdhsa_system_vgpr_workitem_id 0
		.amdhsa_next_free_vgpr 1
		.amdhsa_next_free_sgpr 1
		.amdhsa_named_barrier_count 0
		.amdhsa_reserve_vcc 0
		.amdhsa_float_round_mode_32 0
		.amdhsa_float_round_mode_16_64 0
		.amdhsa_float_denorm_mode_32 3
		.amdhsa_float_denorm_mode_16_64 3
		.amdhsa_fp16_overflow 0
		.amdhsa_memory_ordered 1
		.amdhsa_forward_progress 1
		.amdhsa_inst_pref_size 0
		.amdhsa_round_robin_scheduling 0
		.amdhsa_exception_fp_ieee_invalid_op 0
		.amdhsa_exception_fp_denorm_src 0
		.amdhsa_exception_fp_ieee_div_zero 0
		.amdhsa_exception_fp_ieee_overflow 0
		.amdhsa_exception_fp_ieee_underflow 0
		.amdhsa_exception_fp_ieee_inexact 0
		.amdhsa_exception_int_div_zero 0
	.end_amdhsa_kernel
	.section	.text._ZN7rocprim17ROCPRIM_400000_NS6detail17trampoline_kernelINS0_14default_configENS1_27upper_bound_config_selectorIalEEZNS1_14transform_implILb0ES3_S5_N6thrust23THRUST_200600_302600_NS6detail15normal_iteratorINS8_7pointerIaNS8_11hip_rocprim3tagENS8_11use_defaultESE_EEEENSA_INSB_IlSD_SE_SE_EEEEZNS1_13binary_searchIS3_S5_NSA_INS8_10device_ptrIaEEEESG_SI_NS1_21upper_bound_search_opENS9_16wrapped_functionINS8_7greaterIaEEbEEEE10hipError_tPvRmT1_T2_T3_mmT4_T5_P12ihipStream_tbEUlRKaE_EESS_SW_SX_mSY_S11_bEUlT_E_NS1_11comp_targetILNS1_3genE5ELNS1_11target_archE942ELNS1_3gpuE9ELNS1_3repE0EEENS1_30default_config_static_selectorELNS0_4arch9wavefront6targetE0EEEvSV_,"axG",@progbits,_ZN7rocprim17ROCPRIM_400000_NS6detail17trampoline_kernelINS0_14default_configENS1_27upper_bound_config_selectorIalEEZNS1_14transform_implILb0ES3_S5_N6thrust23THRUST_200600_302600_NS6detail15normal_iteratorINS8_7pointerIaNS8_11hip_rocprim3tagENS8_11use_defaultESE_EEEENSA_INSB_IlSD_SE_SE_EEEEZNS1_13binary_searchIS3_S5_NSA_INS8_10device_ptrIaEEEESG_SI_NS1_21upper_bound_search_opENS9_16wrapped_functionINS8_7greaterIaEEbEEEE10hipError_tPvRmT1_T2_T3_mmT4_T5_P12ihipStream_tbEUlRKaE_EESS_SW_SX_mSY_S11_bEUlT_E_NS1_11comp_targetILNS1_3genE5ELNS1_11target_archE942ELNS1_3gpuE9ELNS1_3repE0EEENS1_30default_config_static_selectorELNS0_4arch9wavefront6targetE0EEEvSV_,comdat
.Lfunc_end78:
	.size	_ZN7rocprim17ROCPRIM_400000_NS6detail17trampoline_kernelINS0_14default_configENS1_27upper_bound_config_selectorIalEEZNS1_14transform_implILb0ES3_S5_N6thrust23THRUST_200600_302600_NS6detail15normal_iteratorINS8_7pointerIaNS8_11hip_rocprim3tagENS8_11use_defaultESE_EEEENSA_INSB_IlSD_SE_SE_EEEEZNS1_13binary_searchIS3_S5_NSA_INS8_10device_ptrIaEEEESG_SI_NS1_21upper_bound_search_opENS9_16wrapped_functionINS8_7greaterIaEEbEEEE10hipError_tPvRmT1_T2_T3_mmT4_T5_P12ihipStream_tbEUlRKaE_EESS_SW_SX_mSY_S11_bEUlT_E_NS1_11comp_targetILNS1_3genE5ELNS1_11target_archE942ELNS1_3gpuE9ELNS1_3repE0EEENS1_30default_config_static_selectorELNS0_4arch9wavefront6targetE0EEEvSV_, .Lfunc_end78-_ZN7rocprim17ROCPRIM_400000_NS6detail17trampoline_kernelINS0_14default_configENS1_27upper_bound_config_selectorIalEEZNS1_14transform_implILb0ES3_S5_N6thrust23THRUST_200600_302600_NS6detail15normal_iteratorINS8_7pointerIaNS8_11hip_rocprim3tagENS8_11use_defaultESE_EEEENSA_INSB_IlSD_SE_SE_EEEEZNS1_13binary_searchIS3_S5_NSA_INS8_10device_ptrIaEEEESG_SI_NS1_21upper_bound_search_opENS9_16wrapped_functionINS8_7greaterIaEEbEEEE10hipError_tPvRmT1_T2_T3_mmT4_T5_P12ihipStream_tbEUlRKaE_EESS_SW_SX_mSY_S11_bEUlT_E_NS1_11comp_targetILNS1_3genE5ELNS1_11target_archE942ELNS1_3gpuE9ELNS1_3repE0EEENS1_30default_config_static_selectorELNS0_4arch9wavefront6targetE0EEEvSV_
                                        ; -- End function
	.set _ZN7rocprim17ROCPRIM_400000_NS6detail17trampoline_kernelINS0_14default_configENS1_27upper_bound_config_selectorIalEEZNS1_14transform_implILb0ES3_S5_N6thrust23THRUST_200600_302600_NS6detail15normal_iteratorINS8_7pointerIaNS8_11hip_rocprim3tagENS8_11use_defaultESE_EEEENSA_INSB_IlSD_SE_SE_EEEEZNS1_13binary_searchIS3_S5_NSA_INS8_10device_ptrIaEEEESG_SI_NS1_21upper_bound_search_opENS9_16wrapped_functionINS8_7greaterIaEEbEEEE10hipError_tPvRmT1_T2_T3_mmT4_T5_P12ihipStream_tbEUlRKaE_EESS_SW_SX_mSY_S11_bEUlT_E_NS1_11comp_targetILNS1_3genE5ELNS1_11target_archE942ELNS1_3gpuE9ELNS1_3repE0EEENS1_30default_config_static_selectorELNS0_4arch9wavefront6targetE0EEEvSV_.num_vgpr, 0
	.set _ZN7rocprim17ROCPRIM_400000_NS6detail17trampoline_kernelINS0_14default_configENS1_27upper_bound_config_selectorIalEEZNS1_14transform_implILb0ES3_S5_N6thrust23THRUST_200600_302600_NS6detail15normal_iteratorINS8_7pointerIaNS8_11hip_rocprim3tagENS8_11use_defaultESE_EEEENSA_INSB_IlSD_SE_SE_EEEEZNS1_13binary_searchIS3_S5_NSA_INS8_10device_ptrIaEEEESG_SI_NS1_21upper_bound_search_opENS9_16wrapped_functionINS8_7greaterIaEEbEEEE10hipError_tPvRmT1_T2_T3_mmT4_T5_P12ihipStream_tbEUlRKaE_EESS_SW_SX_mSY_S11_bEUlT_E_NS1_11comp_targetILNS1_3genE5ELNS1_11target_archE942ELNS1_3gpuE9ELNS1_3repE0EEENS1_30default_config_static_selectorELNS0_4arch9wavefront6targetE0EEEvSV_.num_agpr, 0
	.set _ZN7rocprim17ROCPRIM_400000_NS6detail17trampoline_kernelINS0_14default_configENS1_27upper_bound_config_selectorIalEEZNS1_14transform_implILb0ES3_S5_N6thrust23THRUST_200600_302600_NS6detail15normal_iteratorINS8_7pointerIaNS8_11hip_rocprim3tagENS8_11use_defaultESE_EEEENSA_INSB_IlSD_SE_SE_EEEEZNS1_13binary_searchIS3_S5_NSA_INS8_10device_ptrIaEEEESG_SI_NS1_21upper_bound_search_opENS9_16wrapped_functionINS8_7greaterIaEEbEEEE10hipError_tPvRmT1_T2_T3_mmT4_T5_P12ihipStream_tbEUlRKaE_EESS_SW_SX_mSY_S11_bEUlT_E_NS1_11comp_targetILNS1_3genE5ELNS1_11target_archE942ELNS1_3gpuE9ELNS1_3repE0EEENS1_30default_config_static_selectorELNS0_4arch9wavefront6targetE0EEEvSV_.numbered_sgpr, 0
	.set _ZN7rocprim17ROCPRIM_400000_NS6detail17trampoline_kernelINS0_14default_configENS1_27upper_bound_config_selectorIalEEZNS1_14transform_implILb0ES3_S5_N6thrust23THRUST_200600_302600_NS6detail15normal_iteratorINS8_7pointerIaNS8_11hip_rocprim3tagENS8_11use_defaultESE_EEEENSA_INSB_IlSD_SE_SE_EEEEZNS1_13binary_searchIS3_S5_NSA_INS8_10device_ptrIaEEEESG_SI_NS1_21upper_bound_search_opENS9_16wrapped_functionINS8_7greaterIaEEbEEEE10hipError_tPvRmT1_T2_T3_mmT4_T5_P12ihipStream_tbEUlRKaE_EESS_SW_SX_mSY_S11_bEUlT_E_NS1_11comp_targetILNS1_3genE5ELNS1_11target_archE942ELNS1_3gpuE9ELNS1_3repE0EEENS1_30default_config_static_selectorELNS0_4arch9wavefront6targetE0EEEvSV_.num_named_barrier, 0
	.set _ZN7rocprim17ROCPRIM_400000_NS6detail17trampoline_kernelINS0_14default_configENS1_27upper_bound_config_selectorIalEEZNS1_14transform_implILb0ES3_S5_N6thrust23THRUST_200600_302600_NS6detail15normal_iteratorINS8_7pointerIaNS8_11hip_rocprim3tagENS8_11use_defaultESE_EEEENSA_INSB_IlSD_SE_SE_EEEEZNS1_13binary_searchIS3_S5_NSA_INS8_10device_ptrIaEEEESG_SI_NS1_21upper_bound_search_opENS9_16wrapped_functionINS8_7greaterIaEEbEEEE10hipError_tPvRmT1_T2_T3_mmT4_T5_P12ihipStream_tbEUlRKaE_EESS_SW_SX_mSY_S11_bEUlT_E_NS1_11comp_targetILNS1_3genE5ELNS1_11target_archE942ELNS1_3gpuE9ELNS1_3repE0EEENS1_30default_config_static_selectorELNS0_4arch9wavefront6targetE0EEEvSV_.private_seg_size, 0
	.set _ZN7rocprim17ROCPRIM_400000_NS6detail17trampoline_kernelINS0_14default_configENS1_27upper_bound_config_selectorIalEEZNS1_14transform_implILb0ES3_S5_N6thrust23THRUST_200600_302600_NS6detail15normal_iteratorINS8_7pointerIaNS8_11hip_rocprim3tagENS8_11use_defaultESE_EEEENSA_INSB_IlSD_SE_SE_EEEEZNS1_13binary_searchIS3_S5_NSA_INS8_10device_ptrIaEEEESG_SI_NS1_21upper_bound_search_opENS9_16wrapped_functionINS8_7greaterIaEEbEEEE10hipError_tPvRmT1_T2_T3_mmT4_T5_P12ihipStream_tbEUlRKaE_EESS_SW_SX_mSY_S11_bEUlT_E_NS1_11comp_targetILNS1_3genE5ELNS1_11target_archE942ELNS1_3gpuE9ELNS1_3repE0EEENS1_30default_config_static_selectorELNS0_4arch9wavefront6targetE0EEEvSV_.uses_vcc, 0
	.set _ZN7rocprim17ROCPRIM_400000_NS6detail17trampoline_kernelINS0_14default_configENS1_27upper_bound_config_selectorIalEEZNS1_14transform_implILb0ES3_S5_N6thrust23THRUST_200600_302600_NS6detail15normal_iteratorINS8_7pointerIaNS8_11hip_rocprim3tagENS8_11use_defaultESE_EEEENSA_INSB_IlSD_SE_SE_EEEEZNS1_13binary_searchIS3_S5_NSA_INS8_10device_ptrIaEEEESG_SI_NS1_21upper_bound_search_opENS9_16wrapped_functionINS8_7greaterIaEEbEEEE10hipError_tPvRmT1_T2_T3_mmT4_T5_P12ihipStream_tbEUlRKaE_EESS_SW_SX_mSY_S11_bEUlT_E_NS1_11comp_targetILNS1_3genE5ELNS1_11target_archE942ELNS1_3gpuE9ELNS1_3repE0EEENS1_30default_config_static_selectorELNS0_4arch9wavefront6targetE0EEEvSV_.uses_flat_scratch, 0
	.set _ZN7rocprim17ROCPRIM_400000_NS6detail17trampoline_kernelINS0_14default_configENS1_27upper_bound_config_selectorIalEEZNS1_14transform_implILb0ES3_S5_N6thrust23THRUST_200600_302600_NS6detail15normal_iteratorINS8_7pointerIaNS8_11hip_rocprim3tagENS8_11use_defaultESE_EEEENSA_INSB_IlSD_SE_SE_EEEEZNS1_13binary_searchIS3_S5_NSA_INS8_10device_ptrIaEEEESG_SI_NS1_21upper_bound_search_opENS9_16wrapped_functionINS8_7greaterIaEEbEEEE10hipError_tPvRmT1_T2_T3_mmT4_T5_P12ihipStream_tbEUlRKaE_EESS_SW_SX_mSY_S11_bEUlT_E_NS1_11comp_targetILNS1_3genE5ELNS1_11target_archE942ELNS1_3gpuE9ELNS1_3repE0EEENS1_30default_config_static_selectorELNS0_4arch9wavefront6targetE0EEEvSV_.has_dyn_sized_stack, 0
	.set _ZN7rocprim17ROCPRIM_400000_NS6detail17trampoline_kernelINS0_14default_configENS1_27upper_bound_config_selectorIalEEZNS1_14transform_implILb0ES3_S5_N6thrust23THRUST_200600_302600_NS6detail15normal_iteratorINS8_7pointerIaNS8_11hip_rocprim3tagENS8_11use_defaultESE_EEEENSA_INSB_IlSD_SE_SE_EEEEZNS1_13binary_searchIS3_S5_NSA_INS8_10device_ptrIaEEEESG_SI_NS1_21upper_bound_search_opENS9_16wrapped_functionINS8_7greaterIaEEbEEEE10hipError_tPvRmT1_T2_T3_mmT4_T5_P12ihipStream_tbEUlRKaE_EESS_SW_SX_mSY_S11_bEUlT_E_NS1_11comp_targetILNS1_3genE5ELNS1_11target_archE942ELNS1_3gpuE9ELNS1_3repE0EEENS1_30default_config_static_selectorELNS0_4arch9wavefront6targetE0EEEvSV_.has_recursion, 0
	.set _ZN7rocprim17ROCPRIM_400000_NS6detail17trampoline_kernelINS0_14default_configENS1_27upper_bound_config_selectorIalEEZNS1_14transform_implILb0ES3_S5_N6thrust23THRUST_200600_302600_NS6detail15normal_iteratorINS8_7pointerIaNS8_11hip_rocprim3tagENS8_11use_defaultESE_EEEENSA_INSB_IlSD_SE_SE_EEEEZNS1_13binary_searchIS3_S5_NSA_INS8_10device_ptrIaEEEESG_SI_NS1_21upper_bound_search_opENS9_16wrapped_functionINS8_7greaterIaEEbEEEE10hipError_tPvRmT1_T2_T3_mmT4_T5_P12ihipStream_tbEUlRKaE_EESS_SW_SX_mSY_S11_bEUlT_E_NS1_11comp_targetILNS1_3genE5ELNS1_11target_archE942ELNS1_3gpuE9ELNS1_3repE0EEENS1_30default_config_static_selectorELNS0_4arch9wavefront6targetE0EEEvSV_.has_indirect_call, 0
	.section	.AMDGPU.csdata,"",@progbits
; Kernel info:
; codeLenInByte = 0
; TotalNumSgprs: 0
; NumVgprs: 0
; ScratchSize: 0
; MemoryBound: 0
; FloatMode: 240
; IeeeMode: 1
; LDSByteSize: 0 bytes/workgroup (compile time only)
; SGPRBlocks: 0
; VGPRBlocks: 0
; NumSGPRsForWavesPerEU: 1
; NumVGPRsForWavesPerEU: 1
; NamedBarCnt: 0
; Occupancy: 16
; WaveLimiterHint : 0
; COMPUTE_PGM_RSRC2:SCRATCH_EN: 0
; COMPUTE_PGM_RSRC2:USER_SGPR: 2
; COMPUTE_PGM_RSRC2:TRAP_HANDLER: 0
; COMPUTE_PGM_RSRC2:TGID_X_EN: 1
; COMPUTE_PGM_RSRC2:TGID_Y_EN: 0
; COMPUTE_PGM_RSRC2:TGID_Z_EN: 0
; COMPUTE_PGM_RSRC2:TIDIG_COMP_CNT: 0
	.section	.text._ZN7rocprim17ROCPRIM_400000_NS6detail17trampoline_kernelINS0_14default_configENS1_27upper_bound_config_selectorIalEEZNS1_14transform_implILb0ES3_S5_N6thrust23THRUST_200600_302600_NS6detail15normal_iteratorINS8_7pointerIaNS8_11hip_rocprim3tagENS8_11use_defaultESE_EEEENSA_INSB_IlSD_SE_SE_EEEEZNS1_13binary_searchIS3_S5_NSA_INS8_10device_ptrIaEEEESG_SI_NS1_21upper_bound_search_opENS9_16wrapped_functionINS8_7greaterIaEEbEEEE10hipError_tPvRmT1_T2_T3_mmT4_T5_P12ihipStream_tbEUlRKaE_EESS_SW_SX_mSY_S11_bEUlT_E_NS1_11comp_targetILNS1_3genE4ELNS1_11target_archE910ELNS1_3gpuE8ELNS1_3repE0EEENS1_30default_config_static_selectorELNS0_4arch9wavefront6targetE0EEEvSV_,"axG",@progbits,_ZN7rocprim17ROCPRIM_400000_NS6detail17trampoline_kernelINS0_14default_configENS1_27upper_bound_config_selectorIalEEZNS1_14transform_implILb0ES3_S5_N6thrust23THRUST_200600_302600_NS6detail15normal_iteratorINS8_7pointerIaNS8_11hip_rocprim3tagENS8_11use_defaultESE_EEEENSA_INSB_IlSD_SE_SE_EEEEZNS1_13binary_searchIS3_S5_NSA_INS8_10device_ptrIaEEEESG_SI_NS1_21upper_bound_search_opENS9_16wrapped_functionINS8_7greaterIaEEbEEEE10hipError_tPvRmT1_T2_T3_mmT4_T5_P12ihipStream_tbEUlRKaE_EESS_SW_SX_mSY_S11_bEUlT_E_NS1_11comp_targetILNS1_3genE4ELNS1_11target_archE910ELNS1_3gpuE8ELNS1_3repE0EEENS1_30default_config_static_selectorELNS0_4arch9wavefront6targetE0EEEvSV_,comdat
	.protected	_ZN7rocprim17ROCPRIM_400000_NS6detail17trampoline_kernelINS0_14default_configENS1_27upper_bound_config_selectorIalEEZNS1_14transform_implILb0ES3_S5_N6thrust23THRUST_200600_302600_NS6detail15normal_iteratorINS8_7pointerIaNS8_11hip_rocprim3tagENS8_11use_defaultESE_EEEENSA_INSB_IlSD_SE_SE_EEEEZNS1_13binary_searchIS3_S5_NSA_INS8_10device_ptrIaEEEESG_SI_NS1_21upper_bound_search_opENS9_16wrapped_functionINS8_7greaterIaEEbEEEE10hipError_tPvRmT1_T2_T3_mmT4_T5_P12ihipStream_tbEUlRKaE_EESS_SW_SX_mSY_S11_bEUlT_E_NS1_11comp_targetILNS1_3genE4ELNS1_11target_archE910ELNS1_3gpuE8ELNS1_3repE0EEENS1_30default_config_static_selectorELNS0_4arch9wavefront6targetE0EEEvSV_ ; -- Begin function _ZN7rocprim17ROCPRIM_400000_NS6detail17trampoline_kernelINS0_14default_configENS1_27upper_bound_config_selectorIalEEZNS1_14transform_implILb0ES3_S5_N6thrust23THRUST_200600_302600_NS6detail15normal_iteratorINS8_7pointerIaNS8_11hip_rocprim3tagENS8_11use_defaultESE_EEEENSA_INSB_IlSD_SE_SE_EEEEZNS1_13binary_searchIS3_S5_NSA_INS8_10device_ptrIaEEEESG_SI_NS1_21upper_bound_search_opENS9_16wrapped_functionINS8_7greaterIaEEbEEEE10hipError_tPvRmT1_T2_T3_mmT4_T5_P12ihipStream_tbEUlRKaE_EESS_SW_SX_mSY_S11_bEUlT_E_NS1_11comp_targetILNS1_3genE4ELNS1_11target_archE910ELNS1_3gpuE8ELNS1_3repE0EEENS1_30default_config_static_selectorELNS0_4arch9wavefront6targetE0EEEvSV_
	.globl	_ZN7rocprim17ROCPRIM_400000_NS6detail17trampoline_kernelINS0_14default_configENS1_27upper_bound_config_selectorIalEEZNS1_14transform_implILb0ES3_S5_N6thrust23THRUST_200600_302600_NS6detail15normal_iteratorINS8_7pointerIaNS8_11hip_rocprim3tagENS8_11use_defaultESE_EEEENSA_INSB_IlSD_SE_SE_EEEEZNS1_13binary_searchIS3_S5_NSA_INS8_10device_ptrIaEEEESG_SI_NS1_21upper_bound_search_opENS9_16wrapped_functionINS8_7greaterIaEEbEEEE10hipError_tPvRmT1_T2_T3_mmT4_T5_P12ihipStream_tbEUlRKaE_EESS_SW_SX_mSY_S11_bEUlT_E_NS1_11comp_targetILNS1_3genE4ELNS1_11target_archE910ELNS1_3gpuE8ELNS1_3repE0EEENS1_30default_config_static_selectorELNS0_4arch9wavefront6targetE0EEEvSV_
	.p2align	8
	.type	_ZN7rocprim17ROCPRIM_400000_NS6detail17trampoline_kernelINS0_14default_configENS1_27upper_bound_config_selectorIalEEZNS1_14transform_implILb0ES3_S5_N6thrust23THRUST_200600_302600_NS6detail15normal_iteratorINS8_7pointerIaNS8_11hip_rocprim3tagENS8_11use_defaultESE_EEEENSA_INSB_IlSD_SE_SE_EEEEZNS1_13binary_searchIS3_S5_NSA_INS8_10device_ptrIaEEEESG_SI_NS1_21upper_bound_search_opENS9_16wrapped_functionINS8_7greaterIaEEbEEEE10hipError_tPvRmT1_T2_T3_mmT4_T5_P12ihipStream_tbEUlRKaE_EESS_SW_SX_mSY_S11_bEUlT_E_NS1_11comp_targetILNS1_3genE4ELNS1_11target_archE910ELNS1_3gpuE8ELNS1_3repE0EEENS1_30default_config_static_selectorELNS0_4arch9wavefront6targetE0EEEvSV_,@function
_ZN7rocprim17ROCPRIM_400000_NS6detail17trampoline_kernelINS0_14default_configENS1_27upper_bound_config_selectorIalEEZNS1_14transform_implILb0ES3_S5_N6thrust23THRUST_200600_302600_NS6detail15normal_iteratorINS8_7pointerIaNS8_11hip_rocprim3tagENS8_11use_defaultESE_EEEENSA_INSB_IlSD_SE_SE_EEEEZNS1_13binary_searchIS3_S5_NSA_INS8_10device_ptrIaEEEESG_SI_NS1_21upper_bound_search_opENS9_16wrapped_functionINS8_7greaterIaEEbEEEE10hipError_tPvRmT1_T2_T3_mmT4_T5_P12ihipStream_tbEUlRKaE_EESS_SW_SX_mSY_S11_bEUlT_E_NS1_11comp_targetILNS1_3genE4ELNS1_11target_archE910ELNS1_3gpuE8ELNS1_3repE0EEENS1_30default_config_static_selectorELNS0_4arch9wavefront6targetE0EEEvSV_: ; @_ZN7rocprim17ROCPRIM_400000_NS6detail17trampoline_kernelINS0_14default_configENS1_27upper_bound_config_selectorIalEEZNS1_14transform_implILb0ES3_S5_N6thrust23THRUST_200600_302600_NS6detail15normal_iteratorINS8_7pointerIaNS8_11hip_rocprim3tagENS8_11use_defaultESE_EEEENSA_INSB_IlSD_SE_SE_EEEEZNS1_13binary_searchIS3_S5_NSA_INS8_10device_ptrIaEEEESG_SI_NS1_21upper_bound_search_opENS9_16wrapped_functionINS8_7greaterIaEEbEEEE10hipError_tPvRmT1_T2_T3_mmT4_T5_P12ihipStream_tbEUlRKaE_EESS_SW_SX_mSY_S11_bEUlT_E_NS1_11comp_targetILNS1_3genE4ELNS1_11target_archE910ELNS1_3gpuE8ELNS1_3repE0EEENS1_30default_config_static_selectorELNS0_4arch9wavefront6targetE0EEEvSV_
; %bb.0:
	.section	.rodata,"a",@progbits
	.p2align	6, 0x0
	.amdhsa_kernel _ZN7rocprim17ROCPRIM_400000_NS6detail17trampoline_kernelINS0_14default_configENS1_27upper_bound_config_selectorIalEEZNS1_14transform_implILb0ES3_S5_N6thrust23THRUST_200600_302600_NS6detail15normal_iteratorINS8_7pointerIaNS8_11hip_rocprim3tagENS8_11use_defaultESE_EEEENSA_INSB_IlSD_SE_SE_EEEEZNS1_13binary_searchIS3_S5_NSA_INS8_10device_ptrIaEEEESG_SI_NS1_21upper_bound_search_opENS9_16wrapped_functionINS8_7greaterIaEEbEEEE10hipError_tPvRmT1_T2_T3_mmT4_T5_P12ihipStream_tbEUlRKaE_EESS_SW_SX_mSY_S11_bEUlT_E_NS1_11comp_targetILNS1_3genE4ELNS1_11target_archE910ELNS1_3gpuE8ELNS1_3repE0EEENS1_30default_config_static_selectorELNS0_4arch9wavefront6targetE0EEEvSV_
		.amdhsa_group_segment_fixed_size 0
		.amdhsa_private_segment_fixed_size 0
		.amdhsa_kernarg_size 56
		.amdhsa_user_sgpr_count 2
		.amdhsa_user_sgpr_dispatch_ptr 0
		.amdhsa_user_sgpr_queue_ptr 0
		.amdhsa_user_sgpr_kernarg_segment_ptr 1
		.amdhsa_user_sgpr_dispatch_id 0
		.amdhsa_user_sgpr_kernarg_preload_length 0
		.amdhsa_user_sgpr_kernarg_preload_offset 0
		.amdhsa_user_sgpr_private_segment_size 0
		.amdhsa_wavefront_size32 1
		.amdhsa_uses_dynamic_stack 0
		.amdhsa_enable_private_segment 0
		.amdhsa_system_sgpr_workgroup_id_x 1
		.amdhsa_system_sgpr_workgroup_id_y 0
		.amdhsa_system_sgpr_workgroup_id_z 0
		.amdhsa_system_sgpr_workgroup_info 0
		.amdhsa_system_vgpr_workitem_id 0
		.amdhsa_next_free_vgpr 1
		.amdhsa_next_free_sgpr 1
		.amdhsa_named_barrier_count 0
		.amdhsa_reserve_vcc 0
		.amdhsa_float_round_mode_32 0
		.amdhsa_float_round_mode_16_64 0
		.amdhsa_float_denorm_mode_32 3
		.amdhsa_float_denorm_mode_16_64 3
		.amdhsa_fp16_overflow 0
		.amdhsa_memory_ordered 1
		.amdhsa_forward_progress 1
		.amdhsa_inst_pref_size 0
		.amdhsa_round_robin_scheduling 0
		.amdhsa_exception_fp_ieee_invalid_op 0
		.amdhsa_exception_fp_denorm_src 0
		.amdhsa_exception_fp_ieee_div_zero 0
		.amdhsa_exception_fp_ieee_overflow 0
		.amdhsa_exception_fp_ieee_underflow 0
		.amdhsa_exception_fp_ieee_inexact 0
		.amdhsa_exception_int_div_zero 0
	.end_amdhsa_kernel
	.section	.text._ZN7rocprim17ROCPRIM_400000_NS6detail17trampoline_kernelINS0_14default_configENS1_27upper_bound_config_selectorIalEEZNS1_14transform_implILb0ES3_S5_N6thrust23THRUST_200600_302600_NS6detail15normal_iteratorINS8_7pointerIaNS8_11hip_rocprim3tagENS8_11use_defaultESE_EEEENSA_INSB_IlSD_SE_SE_EEEEZNS1_13binary_searchIS3_S5_NSA_INS8_10device_ptrIaEEEESG_SI_NS1_21upper_bound_search_opENS9_16wrapped_functionINS8_7greaterIaEEbEEEE10hipError_tPvRmT1_T2_T3_mmT4_T5_P12ihipStream_tbEUlRKaE_EESS_SW_SX_mSY_S11_bEUlT_E_NS1_11comp_targetILNS1_3genE4ELNS1_11target_archE910ELNS1_3gpuE8ELNS1_3repE0EEENS1_30default_config_static_selectorELNS0_4arch9wavefront6targetE0EEEvSV_,"axG",@progbits,_ZN7rocprim17ROCPRIM_400000_NS6detail17trampoline_kernelINS0_14default_configENS1_27upper_bound_config_selectorIalEEZNS1_14transform_implILb0ES3_S5_N6thrust23THRUST_200600_302600_NS6detail15normal_iteratorINS8_7pointerIaNS8_11hip_rocprim3tagENS8_11use_defaultESE_EEEENSA_INSB_IlSD_SE_SE_EEEEZNS1_13binary_searchIS3_S5_NSA_INS8_10device_ptrIaEEEESG_SI_NS1_21upper_bound_search_opENS9_16wrapped_functionINS8_7greaterIaEEbEEEE10hipError_tPvRmT1_T2_T3_mmT4_T5_P12ihipStream_tbEUlRKaE_EESS_SW_SX_mSY_S11_bEUlT_E_NS1_11comp_targetILNS1_3genE4ELNS1_11target_archE910ELNS1_3gpuE8ELNS1_3repE0EEENS1_30default_config_static_selectorELNS0_4arch9wavefront6targetE0EEEvSV_,comdat
.Lfunc_end79:
	.size	_ZN7rocprim17ROCPRIM_400000_NS6detail17trampoline_kernelINS0_14default_configENS1_27upper_bound_config_selectorIalEEZNS1_14transform_implILb0ES3_S5_N6thrust23THRUST_200600_302600_NS6detail15normal_iteratorINS8_7pointerIaNS8_11hip_rocprim3tagENS8_11use_defaultESE_EEEENSA_INSB_IlSD_SE_SE_EEEEZNS1_13binary_searchIS3_S5_NSA_INS8_10device_ptrIaEEEESG_SI_NS1_21upper_bound_search_opENS9_16wrapped_functionINS8_7greaterIaEEbEEEE10hipError_tPvRmT1_T2_T3_mmT4_T5_P12ihipStream_tbEUlRKaE_EESS_SW_SX_mSY_S11_bEUlT_E_NS1_11comp_targetILNS1_3genE4ELNS1_11target_archE910ELNS1_3gpuE8ELNS1_3repE0EEENS1_30default_config_static_selectorELNS0_4arch9wavefront6targetE0EEEvSV_, .Lfunc_end79-_ZN7rocprim17ROCPRIM_400000_NS6detail17trampoline_kernelINS0_14default_configENS1_27upper_bound_config_selectorIalEEZNS1_14transform_implILb0ES3_S5_N6thrust23THRUST_200600_302600_NS6detail15normal_iteratorINS8_7pointerIaNS8_11hip_rocprim3tagENS8_11use_defaultESE_EEEENSA_INSB_IlSD_SE_SE_EEEEZNS1_13binary_searchIS3_S5_NSA_INS8_10device_ptrIaEEEESG_SI_NS1_21upper_bound_search_opENS9_16wrapped_functionINS8_7greaterIaEEbEEEE10hipError_tPvRmT1_T2_T3_mmT4_T5_P12ihipStream_tbEUlRKaE_EESS_SW_SX_mSY_S11_bEUlT_E_NS1_11comp_targetILNS1_3genE4ELNS1_11target_archE910ELNS1_3gpuE8ELNS1_3repE0EEENS1_30default_config_static_selectorELNS0_4arch9wavefront6targetE0EEEvSV_
                                        ; -- End function
	.set _ZN7rocprim17ROCPRIM_400000_NS6detail17trampoline_kernelINS0_14default_configENS1_27upper_bound_config_selectorIalEEZNS1_14transform_implILb0ES3_S5_N6thrust23THRUST_200600_302600_NS6detail15normal_iteratorINS8_7pointerIaNS8_11hip_rocprim3tagENS8_11use_defaultESE_EEEENSA_INSB_IlSD_SE_SE_EEEEZNS1_13binary_searchIS3_S5_NSA_INS8_10device_ptrIaEEEESG_SI_NS1_21upper_bound_search_opENS9_16wrapped_functionINS8_7greaterIaEEbEEEE10hipError_tPvRmT1_T2_T3_mmT4_T5_P12ihipStream_tbEUlRKaE_EESS_SW_SX_mSY_S11_bEUlT_E_NS1_11comp_targetILNS1_3genE4ELNS1_11target_archE910ELNS1_3gpuE8ELNS1_3repE0EEENS1_30default_config_static_selectorELNS0_4arch9wavefront6targetE0EEEvSV_.num_vgpr, 0
	.set _ZN7rocprim17ROCPRIM_400000_NS6detail17trampoline_kernelINS0_14default_configENS1_27upper_bound_config_selectorIalEEZNS1_14transform_implILb0ES3_S5_N6thrust23THRUST_200600_302600_NS6detail15normal_iteratorINS8_7pointerIaNS8_11hip_rocprim3tagENS8_11use_defaultESE_EEEENSA_INSB_IlSD_SE_SE_EEEEZNS1_13binary_searchIS3_S5_NSA_INS8_10device_ptrIaEEEESG_SI_NS1_21upper_bound_search_opENS9_16wrapped_functionINS8_7greaterIaEEbEEEE10hipError_tPvRmT1_T2_T3_mmT4_T5_P12ihipStream_tbEUlRKaE_EESS_SW_SX_mSY_S11_bEUlT_E_NS1_11comp_targetILNS1_3genE4ELNS1_11target_archE910ELNS1_3gpuE8ELNS1_3repE0EEENS1_30default_config_static_selectorELNS0_4arch9wavefront6targetE0EEEvSV_.num_agpr, 0
	.set _ZN7rocprim17ROCPRIM_400000_NS6detail17trampoline_kernelINS0_14default_configENS1_27upper_bound_config_selectorIalEEZNS1_14transform_implILb0ES3_S5_N6thrust23THRUST_200600_302600_NS6detail15normal_iteratorINS8_7pointerIaNS8_11hip_rocprim3tagENS8_11use_defaultESE_EEEENSA_INSB_IlSD_SE_SE_EEEEZNS1_13binary_searchIS3_S5_NSA_INS8_10device_ptrIaEEEESG_SI_NS1_21upper_bound_search_opENS9_16wrapped_functionINS8_7greaterIaEEbEEEE10hipError_tPvRmT1_T2_T3_mmT4_T5_P12ihipStream_tbEUlRKaE_EESS_SW_SX_mSY_S11_bEUlT_E_NS1_11comp_targetILNS1_3genE4ELNS1_11target_archE910ELNS1_3gpuE8ELNS1_3repE0EEENS1_30default_config_static_selectorELNS0_4arch9wavefront6targetE0EEEvSV_.numbered_sgpr, 0
	.set _ZN7rocprim17ROCPRIM_400000_NS6detail17trampoline_kernelINS0_14default_configENS1_27upper_bound_config_selectorIalEEZNS1_14transform_implILb0ES3_S5_N6thrust23THRUST_200600_302600_NS6detail15normal_iteratorINS8_7pointerIaNS8_11hip_rocprim3tagENS8_11use_defaultESE_EEEENSA_INSB_IlSD_SE_SE_EEEEZNS1_13binary_searchIS3_S5_NSA_INS8_10device_ptrIaEEEESG_SI_NS1_21upper_bound_search_opENS9_16wrapped_functionINS8_7greaterIaEEbEEEE10hipError_tPvRmT1_T2_T3_mmT4_T5_P12ihipStream_tbEUlRKaE_EESS_SW_SX_mSY_S11_bEUlT_E_NS1_11comp_targetILNS1_3genE4ELNS1_11target_archE910ELNS1_3gpuE8ELNS1_3repE0EEENS1_30default_config_static_selectorELNS0_4arch9wavefront6targetE0EEEvSV_.num_named_barrier, 0
	.set _ZN7rocprim17ROCPRIM_400000_NS6detail17trampoline_kernelINS0_14default_configENS1_27upper_bound_config_selectorIalEEZNS1_14transform_implILb0ES3_S5_N6thrust23THRUST_200600_302600_NS6detail15normal_iteratorINS8_7pointerIaNS8_11hip_rocprim3tagENS8_11use_defaultESE_EEEENSA_INSB_IlSD_SE_SE_EEEEZNS1_13binary_searchIS3_S5_NSA_INS8_10device_ptrIaEEEESG_SI_NS1_21upper_bound_search_opENS9_16wrapped_functionINS8_7greaterIaEEbEEEE10hipError_tPvRmT1_T2_T3_mmT4_T5_P12ihipStream_tbEUlRKaE_EESS_SW_SX_mSY_S11_bEUlT_E_NS1_11comp_targetILNS1_3genE4ELNS1_11target_archE910ELNS1_3gpuE8ELNS1_3repE0EEENS1_30default_config_static_selectorELNS0_4arch9wavefront6targetE0EEEvSV_.private_seg_size, 0
	.set _ZN7rocprim17ROCPRIM_400000_NS6detail17trampoline_kernelINS0_14default_configENS1_27upper_bound_config_selectorIalEEZNS1_14transform_implILb0ES3_S5_N6thrust23THRUST_200600_302600_NS6detail15normal_iteratorINS8_7pointerIaNS8_11hip_rocprim3tagENS8_11use_defaultESE_EEEENSA_INSB_IlSD_SE_SE_EEEEZNS1_13binary_searchIS3_S5_NSA_INS8_10device_ptrIaEEEESG_SI_NS1_21upper_bound_search_opENS9_16wrapped_functionINS8_7greaterIaEEbEEEE10hipError_tPvRmT1_T2_T3_mmT4_T5_P12ihipStream_tbEUlRKaE_EESS_SW_SX_mSY_S11_bEUlT_E_NS1_11comp_targetILNS1_3genE4ELNS1_11target_archE910ELNS1_3gpuE8ELNS1_3repE0EEENS1_30default_config_static_selectorELNS0_4arch9wavefront6targetE0EEEvSV_.uses_vcc, 0
	.set _ZN7rocprim17ROCPRIM_400000_NS6detail17trampoline_kernelINS0_14default_configENS1_27upper_bound_config_selectorIalEEZNS1_14transform_implILb0ES3_S5_N6thrust23THRUST_200600_302600_NS6detail15normal_iteratorINS8_7pointerIaNS8_11hip_rocprim3tagENS8_11use_defaultESE_EEEENSA_INSB_IlSD_SE_SE_EEEEZNS1_13binary_searchIS3_S5_NSA_INS8_10device_ptrIaEEEESG_SI_NS1_21upper_bound_search_opENS9_16wrapped_functionINS8_7greaterIaEEbEEEE10hipError_tPvRmT1_T2_T3_mmT4_T5_P12ihipStream_tbEUlRKaE_EESS_SW_SX_mSY_S11_bEUlT_E_NS1_11comp_targetILNS1_3genE4ELNS1_11target_archE910ELNS1_3gpuE8ELNS1_3repE0EEENS1_30default_config_static_selectorELNS0_4arch9wavefront6targetE0EEEvSV_.uses_flat_scratch, 0
	.set _ZN7rocprim17ROCPRIM_400000_NS6detail17trampoline_kernelINS0_14default_configENS1_27upper_bound_config_selectorIalEEZNS1_14transform_implILb0ES3_S5_N6thrust23THRUST_200600_302600_NS6detail15normal_iteratorINS8_7pointerIaNS8_11hip_rocprim3tagENS8_11use_defaultESE_EEEENSA_INSB_IlSD_SE_SE_EEEEZNS1_13binary_searchIS3_S5_NSA_INS8_10device_ptrIaEEEESG_SI_NS1_21upper_bound_search_opENS9_16wrapped_functionINS8_7greaterIaEEbEEEE10hipError_tPvRmT1_T2_T3_mmT4_T5_P12ihipStream_tbEUlRKaE_EESS_SW_SX_mSY_S11_bEUlT_E_NS1_11comp_targetILNS1_3genE4ELNS1_11target_archE910ELNS1_3gpuE8ELNS1_3repE0EEENS1_30default_config_static_selectorELNS0_4arch9wavefront6targetE0EEEvSV_.has_dyn_sized_stack, 0
	.set _ZN7rocprim17ROCPRIM_400000_NS6detail17trampoline_kernelINS0_14default_configENS1_27upper_bound_config_selectorIalEEZNS1_14transform_implILb0ES3_S5_N6thrust23THRUST_200600_302600_NS6detail15normal_iteratorINS8_7pointerIaNS8_11hip_rocprim3tagENS8_11use_defaultESE_EEEENSA_INSB_IlSD_SE_SE_EEEEZNS1_13binary_searchIS3_S5_NSA_INS8_10device_ptrIaEEEESG_SI_NS1_21upper_bound_search_opENS9_16wrapped_functionINS8_7greaterIaEEbEEEE10hipError_tPvRmT1_T2_T3_mmT4_T5_P12ihipStream_tbEUlRKaE_EESS_SW_SX_mSY_S11_bEUlT_E_NS1_11comp_targetILNS1_3genE4ELNS1_11target_archE910ELNS1_3gpuE8ELNS1_3repE0EEENS1_30default_config_static_selectorELNS0_4arch9wavefront6targetE0EEEvSV_.has_recursion, 0
	.set _ZN7rocprim17ROCPRIM_400000_NS6detail17trampoline_kernelINS0_14default_configENS1_27upper_bound_config_selectorIalEEZNS1_14transform_implILb0ES3_S5_N6thrust23THRUST_200600_302600_NS6detail15normal_iteratorINS8_7pointerIaNS8_11hip_rocprim3tagENS8_11use_defaultESE_EEEENSA_INSB_IlSD_SE_SE_EEEEZNS1_13binary_searchIS3_S5_NSA_INS8_10device_ptrIaEEEESG_SI_NS1_21upper_bound_search_opENS9_16wrapped_functionINS8_7greaterIaEEbEEEE10hipError_tPvRmT1_T2_T3_mmT4_T5_P12ihipStream_tbEUlRKaE_EESS_SW_SX_mSY_S11_bEUlT_E_NS1_11comp_targetILNS1_3genE4ELNS1_11target_archE910ELNS1_3gpuE8ELNS1_3repE0EEENS1_30default_config_static_selectorELNS0_4arch9wavefront6targetE0EEEvSV_.has_indirect_call, 0
	.section	.AMDGPU.csdata,"",@progbits
; Kernel info:
; codeLenInByte = 0
; TotalNumSgprs: 0
; NumVgprs: 0
; ScratchSize: 0
; MemoryBound: 0
; FloatMode: 240
; IeeeMode: 1
; LDSByteSize: 0 bytes/workgroup (compile time only)
; SGPRBlocks: 0
; VGPRBlocks: 0
; NumSGPRsForWavesPerEU: 1
; NumVGPRsForWavesPerEU: 1
; NamedBarCnt: 0
; Occupancy: 16
; WaveLimiterHint : 0
; COMPUTE_PGM_RSRC2:SCRATCH_EN: 0
; COMPUTE_PGM_RSRC2:USER_SGPR: 2
; COMPUTE_PGM_RSRC2:TRAP_HANDLER: 0
; COMPUTE_PGM_RSRC2:TGID_X_EN: 1
; COMPUTE_PGM_RSRC2:TGID_Y_EN: 0
; COMPUTE_PGM_RSRC2:TGID_Z_EN: 0
; COMPUTE_PGM_RSRC2:TIDIG_COMP_CNT: 0
	.section	.text._ZN7rocprim17ROCPRIM_400000_NS6detail17trampoline_kernelINS0_14default_configENS1_27upper_bound_config_selectorIalEEZNS1_14transform_implILb0ES3_S5_N6thrust23THRUST_200600_302600_NS6detail15normal_iteratorINS8_7pointerIaNS8_11hip_rocprim3tagENS8_11use_defaultESE_EEEENSA_INSB_IlSD_SE_SE_EEEEZNS1_13binary_searchIS3_S5_NSA_INS8_10device_ptrIaEEEESG_SI_NS1_21upper_bound_search_opENS9_16wrapped_functionINS8_7greaterIaEEbEEEE10hipError_tPvRmT1_T2_T3_mmT4_T5_P12ihipStream_tbEUlRKaE_EESS_SW_SX_mSY_S11_bEUlT_E_NS1_11comp_targetILNS1_3genE3ELNS1_11target_archE908ELNS1_3gpuE7ELNS1_3repE0EEENS1_30default_config_static_selectorELNS0_4arch9wavefront6targetE0EEEvSV_,"axG",@progbits,_ZN7rocprim17ROCPRIM_400000_NS6detail17trampoline_kernelINS0_14default_configENS1_27upper_bound_config_selectorIalEEZNS1_14transform_implILb0ES3_S5_N6thrust23THRUST_200600_302600_NS6detail15normal_iteratorINS8_7pointerIaNS8_11hip_rocprim3tagENS8_11use_defaultESE_EEEENSA_INSB_IlSD_SE_SE_EEEEZNS1_13binary_searchIS3_S5_NSA_INS8_10device_ptrIaEEEESG_SI_NS1_21upper_bound_search_opENS9_16wrapped_functionINS8_7greaterIaEEbEEEE10hipError_tPvRmT1_T2_T3_mmT4_T5_P12ihipStream_tbEUlRKaE_EESS_SW_SX_mSY_S11_bEUlT_E_NS1_11comp_targetILNS1_3genE3ELNS1_11target_archE908ELNS1_3gpuE7ELNS1_3repE0EEENS1_30default_config_static_selectorELNS0_4arch9wavefront6targetE0EEEvSV_,comdat
	.protected	_ZN7rocprim17ROCPRIM_400000_NS6detail17trampoline_kernelINS0_14default_configENS1_27upper_bound_config_selectorIalEEZNS1_14transform_implILb0ES3_S5_N6thrust23THRUST_200600_302600_NS6detail15normal_iteratorINS8_7pointerIaNS8_11hip_rocprim3tagENS8_11use_defaultESE_EEEENSA_INSB_IlSD_SE_SE_EEEEZNS1_13binary_searchIS3_S5_NSA_INS8_10device_ptrIaEEEESG_SI_NS1_21upper_bound_search_opENS9_16wrapped_functionINS8_7greaterIaEEbEEEE10hipError_tPvRmT1_T2_T3_mmT4_T5_P12ihipStream_tbEUlRKaE_EESS_SW_SX_mSY_S11_bEUlT_E_NS1_11comp_targetILNS1_3genE3ELNS1_11target_archE908ELNS1_3gpuE7ELNS1_3repE0EEENS1_30default_config_static_selectorELNS0_4arch9wavefront6targetE0EEEvSV_ ; -- Begin function _ZN7rocprim17ROCPRIM_400000_NS6detail17trampoline_kernelINS0_14default_configENS1_27upper_bound_config_selectorIalEEZNS1_14transform_implILb0ES3_S5_N6thrust23THRUST_200600_302600_NS6detail15normal_iteratorINS8_7pointerIaNS8_11hip_rocprim3tagENS8_11use_defaultESE_EEEENSA_INSB_IlSD_SE_SE_EEEEZNS1_13binary_searchIS3_S5_NSA_INS8_10device_ptrIaEEEESG_SI_NS1_21upper_bound_search_opENS9_16wrapped_functionINS8_7greaterIaEEbEEEE10hipError_tPvRmT1_T2_T3_mmT4_T5_P12ihipStream_tbEUlRKaE_EESS_SW_SX_mSY_S11_bEUlT_E_NS1_11comp_targetILNS1_3genE3ELNS1_11target_archE908ELNS1_3gpuE7ELNS1_3repE0EEENS1_30default_config_static_selectorELNS0_4arch9wavefront6targetE0EEEvSV_
	.globl	_ZN7rocprim17ROCPRIM_400000_NS6detail17trampoline_kernelINS0_14default_configENS1_27upper_bound_config_selectorIalEEZNS1_14transform_implILb0ES3_S5_N6thrust23THRUST_200600_302600_NS6detail15normal_iteratorINS8_7pointerIaNS8_11hip_rocprim3tagENS8_11use_defaultESE_EEEENSA_INSB_IlSD_SE_SE_EEEEZNS1_13binary_searchIS3_S5_NSA_INS8_10device_ptrIaEEEESG_SI_NS1_21upper_bound_search_opENS9_16wrapped_functionINS8_7greaterIaEEbEEEE10hipError_tPvRmT1_T2_T3_mmT4_T5_P12ihipStream_tbEUlRKaE_EESS_SW_SX_mSY_S11_bEUlT_E_NS1_11comp_targetILNS1_3genE3ELNS1_11target_archE908ELNS1_3gpuE7ELNS1_3repE0EEENS1_30default_config_static_selectorELNS0_4arch9wavefront6targetE0EEEvSV_
	.p2align	8
	.type	_ZN7rocprim17ROCPRIM_400000_NS6detail17trampoline_kernelINS0_14default_configENS1_27upper_bound_config_selectorIalEEZNS1_14transform_implILb0ES3_S5_N6thrust23THRUST_200600_302600_NS6detail15normal_iteratorINS8_7pointerIaNS8_11hip_rocprim3tagENS8_11use_defaultESE_EEEENSA_INSB_IlSD_SE_SE_EEEEZNS1_13binary_searchIS3_S5_NSA_INS8_10device_ptrIaEEEESG_SI_NS1_21upper_bound_search_opENS9_16wrapped_functionINS8_7greaterIaEEbEEEE10hipError_tPvRmT1_T2_T3_mmT4_T5_P12ihipStream_tbEUlRKaE_EESS_SW_SX_mSY_S11_bEUlT_E_NS1_11comp_targetILNS1_3genE3ELNS1_11target_archE908ELNS1_3gpuE7ELNS1_3repE0EEENS1_30default_config_static_selectorELNS0_4arch9wavefront6targetE0EEEvSV_,@function
_ZN7rocprim17ROCPRIM_400000_NS6detail17trampoline_kernelINS0_14default_configENS1_27upper_bound_config_selectorIalEEZNS1_14transform_implILb0ES3_S5_N6thrust23THRUST_200600_302600_NS6detail15normal_iteratorINS8_7pointerIaNS8_11hip_rocprim3tagENS8_11use_defaultESE_EEEENSA_INSB_IlSD_SE_SE_EEEEZNS1_13binary_searchIS3_S5_NSA_INS8_10device_ptrIaEEEESG_SI_NS1_21upper_bound_search_opENS9_16wrapped_functionINS8_7greaterIaEEbEEEE10hipError_tPvRmT1_T2_T3_mmT4_T5_P12ihipStream_tbEUlRKaE_EESS_SW_SX_mSY_S11_bEUlT_E_NS1_11comp_targetILNS1_3genE3ELNS1_11target_archE908ELNS1_3gpuE7ELNS1_3repE0EEENS1_30default_config_static_selectorELNS0_4arch9wavefront6targetE0EEEvSV_: ; @_ZN7rocprim17ROCPRIM_400000_NS6detail17trampoline_kernelINS0_14default_configENS1_27upper_bound_config_selectorIalEEZNS1_14transform_implILb0ES3_S5_N6thrust23THRUST_200600_302600_NS6detail15normal_iteratorINS8_7pointerIaNS8_11hip_rocprim3tagENS8_11use_defaultESE_EEEENSA_INSB_IlSD_SE_SE_EEEEZNS1_13binary_searchIS3_S5_NSA_INS8_10device_ptrIaEEEESG_SI_NS1_21upper_bound_search_opENS9_16wrapped_functionINS8_7greaterIaEEbEEEE10hipError_tPvRmT1_T2_T3_mmT4_T5_P12ihipStream_tbEUlRKaE_EESS_SW_SX_mSY_S11_bEUlT_E_NS1_11comp_targetILNS1_3genE3ELNS1_11target_archE908ELNS1_3gpuE7ELNS1_3repE0EEENS1_30default_config_static_selectorELNS0_4arch9wavefront6targetE0EEEvSV_
; %bb.0:
	.section	.rodata,"a",@progbits
	.p2align	6, 0x0
	.amdhsa_kernel _ZN7rocprim17ROCPRIM_400000_NS6detail17trampoline_kernelINS0_14default_configENS1_27upper_bound_config_selectorIalEEZNS1_14transform_implILb0ES3_S5_N6thrust23THRUST_200600_302600_NS6detail15normal_iteratorINS8_7pointerIaNS8_11hip_rocprim3tagENS8_11use_defaultESE_EEEENSA_INSB_IlSD_SE_SE_EEEEZNS1_13binary_searchIS3_S5_NSA_INS8_10device_ptrIaEEEESG_SI_NS1_21upper_bound_search_opENS9_16wrapped_functionINS8_7greaterIaEEbEEEE10hipError_tPvRmT1_T2_T3_mmT4_T5_P12ihipStream_tbEUlRKaE_EESS_SW_SX_mSY_S11_bEUlT_E_NS1_11comp_targetILNS1_3genE3ELNS1_11target_archE908ELNS1_3gpuE7ELNS1_3repE0EEENS1_30default_config_static_selectorELNS0_4arch9wavefront6targetE0EEEvSV_
		.amdhsa_group_segment_fixed_size 0
		.amdhsa_private_segment_fixed_size 0
		.amdhsa_kernarg_size 56
		.amdhsa_user_sgpr_count 2
		.amdhsa_user_sgpr_dispatch_ptr 0
		.amdhsa_user_sgpr_queue_ptr 0
		.amdhsa_user_sgpr_kernarg_segment_ptr 1
		.amdhsa_user_sgpr_dispatch_id 0
		.amdhsa_user_sgpr_kernarg_preload_length 0
		.amdhsa_user_sgpr_kernarg_preload_offset 0
		.amdhsa_user_sgpr_private_segment_size 0
		.amdhsa_wavefront_size32 1
		.amdhsa_uses_dynamic_stack 0
		.amdhsa_enable_private_segment 0
		.amdhsa_system_sgpr_workgroup_id_x 1
		.amdhsa_system_sgpr_workgroup_id_y 0
		.amdhsa_system_sgpr_workgroup_id_z 0
		.amdhsa_system_sgpr_workgroup_info 0
		.amdhsa_system_vgpr_workitem_id 0
		.amdhsa_next_free_vgpr 1
		.amdhsa_next_free_sgpr 1
		.amdhsa_named_barrier_count 0
		.amdhsa_reserve_vcc 0
		.amdhsa_float_round_mode_32 0
		.amdhsa_float_round_mode_16_64 0
		.amdhsa_float_denorm_mode_32 3
		.amdhsa_float_denorm_mode_16_64 3
		.amdhsa_fp16_overflow 0
		.amdhsa_memory_ordered 1
		.amdhsa_forward_progress 1
		.amdhsa_inst_pref_size 0
		.amdhsa_round_robin_scheduling 0
		.amdhsa_exception_fp_ieee_invalid_op 0
		.amdhsa_exception_fp_denorm_src 0
		.amdhsa_exception_fp_ieee_div_zero 0
		.amdhsa_exception_fp_ieee_overflow 0
		.amdhsa_exception_fp_ieee_underflow 0
		.amdhsa_exception_fp_ieee_inexact 0
		.amdhsa_exception_int_div_zero 0
	.end_amdhsa_kernel
	.section	.text._ZN7rocprim17ROCPRIM_400000_NS6detail17trampoline_kernelINS0_14default_configENS1_27upper_bound_config_selectorIalEEZNS1_14transform_implILb0ES3_S5_N6thrust23THRUST_200600_302600_NS6detail15normal_iteratorINS8_7pointerIaNS8_11hip_rocprim3tagENS8_11use_defaultESE_EEEENSA_INSB_IlSD_SE_SE_EEEEZNS1_13binary_searchIS3_S5_NSA_INS8_10device_ptrIaEEEESG_SI_NS1_21upper_bound_search_opENS9_16wrapped_functionINS8_7greaterIaEEbEEEE10hipError_tPvRmT1_T2_T3_mmT4_T5_P12ihipStream_tbEUlRKaE_EESS_SW_SX_mSY_S11_bEUlT_E_NS1_11comp_targetILNS1_3genE3ELNS1_11target_archE908ELNS1_3gpuE7ELNS1_3repE0EEENS1_30default_config_static_selectorELNS0_4arch9wavefront6targetE0EEEvSV_,"axG",@progbits,_ZN7rocprim17ROCPRIM_400000_NS6detail17trampoline_kernelINS0_14default_configENS1_27upper_bound_config_selectorIalEEZNS1_14transform_implILb0ES3_S5_N6thrust23THRUST_200600_302600_NS6detail15normal_iteratorINS8_7pointerIaNS8_11hip_rocprim3tagENS8_11use_defaultESE_EEEENSA_INSB_IlSD_SE_SE_EEEEZNS1_13binary_searchIS3_S5_NSA_INS8_10device_ptrIaEEEESG_SI_NS1_21upper_bound_search_opENS9_16wrapped_functionINS8_7greaterIaEEbEEEE10hipError_tPvRmT1_T2_T3_mmT4_T5_P12ihipStream_tbEUlRKaE_EESS_SW_SX_mSY_S11_bEUlT_E_NS1_11comp_targetILNS1_3genE3ELNS1_11target_archE908ELNS1_3gpuE7ELNS1_3repE0EEENS1_30default_config_static_selectorELNS0_4arch9wavefront6targetE0EEEvSV_,comdat
.Lfunc_end80:
	.size	_ZN7rocprim17ROCPRIM_400000_NS6detail17trampoline_kernelINS0_14default_configENS1_27upper_bound_config_selectorIalEEZNS1_14transform_implILb0ES3_S5_N6thrust23THRUST_200600_302600_NS6detail15normal_iteratorINS8_7pointerIaNS8_11hip_rocprim3tagENS8_11use_defaultESE_EEEENSA_INSB_IlSD_SE_SE_EEEEZNS1_13binary_searchIS3_S5_NSA_INS8_10device_ptrIaEEEESG_SI_NS1_21upper_bound_search_opENS9_16wrapped_functionINS8_7greaterIaEEbEEEE10hipError_tPvRmT1_T2_T3_mmT4_T5_P12ihipStream_tbEUlRKaE_EESS_SW_SX_mSY_S11_bEUlT_E_NS1_11comp_targetILNS1_3genE3ELNS1_11target_archE908ELNS1_3gpuE7ELNS1_3repE0EEENS1_30default_config_static_selectorELNS0_4arch9wavefront6targetE0EEEvSV_, .Lfunc_end80-_ZN7rocprim17ROCPRIM_400000_NS6detail17trampoline_kernelINS0_14default_configENS1_27upper_bound_config_selectorIalEEZNS1_14transform_implILb0ES3_S5_N6thrust23THRUST_200600_302600_NS6detail15normal_iteratorINS8_7pointerIaNS8_11hip_rocprim3tagENS8_11use_defaultESE_EEEENSA_INSB_IlSD_SE_SE_EEEEZNS1_13binary_searchIS3_S5_NSA_INS8_10device_ptrIaEEEESG_SI_NS1_21upper_bound_search_opENS9_16wrapped_functionINS8_7greaterIaEEbEEEE10hipError_tPvRmT1_T2_T3_mmT4_T5_P12ihipStream_tbEUlRKaE_EESS_SW_SX_mSY_S11_bEUlT_E_NS1_11comp_targetILNS1_3genE3ELNS1_11target_archE908ELNS1_3gpuE7ELNS1_3repE0EEENS1_30default_config_static_selectorELNS0_4arch9wavefront6targetE0EEEvSV_
                                        ; -- End function
	.set _ZN7rocprim17ROCPRIM_400000_NS6detail17trampoline_kernelINS0_14default_configENS1_27upper_bound_config_selectorIalEEZNS1_14transform_implILb0ES3_S5_N6thrust23THRUST_200600_302600_NS6detail15normal_iteratorINS8_7pointerIaNS8_11hip_rocprim3tagENS8_11use_defaultESE_EEEENSA_INSB_IlSD_SE_SE_EEEEZNS1_13binary_searchIS3_S5_NSA_INS8_10device_ptrIaEEEESG_SI_NS1_21upper_bound_search_opENS9_16wrapped_functionINS8_7greaterIaEEbEEEE10hipError_tPvRmT1_T2_T3_mmT4_T5_P12ihipStream_tbEUlRKaE_EESS_SW_SX_mSY_S11_bEUlT_E_NS1_11comp_targetILNS1_3genE3ELNS1_11target_archE908ELNS1_3gpuE7ELNS1_3repE0EEENS1_30default_config_static_selectorELNS0_4arch9wavefront6targetE0EEEvSV_.num_vgpr, 0
	.set _ZN7rocprim17ROCPRIM_400000_NS6detail17trampoline_kernelINS0_14default_configENS1_27upper_bound_config_selectorIalEEZNS1_14transform_implILb0ES3_S5_N6thrust23THRUST_200600_302600_NS6detail15normal_iteratorINS8_7pointerIaNS8_11hip_rocprim3tagENS8_11use_defaultESE_EEEENSA_INSB_IlSD_SE_SE_EEEEZNS1_13binary_searchIS3_S5_NSA_INS8_10device_ptrIaEEEESG_SI_NS1_21upper_bound_search_opENS9_16wrapped_functionINS8_7greaterIaEEbEEEE10hipError_tPvRmT1_T2_T3_mmT4_T5_P12ihipStream_tbEUlRKaE_EESS_SW_SX_mSY_S11_bEUlT_E_NS1_11comp_targetILNS1_3genE3ELNS1_11target_archE908ELNS1_3gpuE7ELNS1_3repE0EEENS1_30default_config_static_selectorELNS0_4arch9wavefront6targetE0EEEvSV_.num_agpr, 0
	.set _ZN7rocprim17ROCPRIM_400000_NS6detail17trampoline_kernelINS0_14default_configENS1_27upper_bound_config_selectorIalEEZNS1_14transform_implILb0ES3_S5_N6thrust23THRUST_200600_302600_NS6detail15normal_iteratorINS8_7pointerIaNS8_11hip_rocprim3tagENS8_11use_defaultESE_EEEENSA_INSB_IlSD_SE_SE_EEEEZNS1_13binary_searchIS3_S5_NSA_INS8_10device_ptrIaEEEESG_SI_NS1_21upper_bound_search_opENS9_16wrapped_functionINS8_7greaterIaEEbEEEE10hipError_tPvRmT1_T2_T3_mmT4_T5_P12ihipStream_tbEUlRKaE_EESS_SW_SX_mSY_S11_bEUlT_E_NS1_11comp_targetILNS1_3genE3ELNS1_11target_archE908ELNS1_3gpuE7ELNS1_3repE0EEENS1_30default_config_static_selectorELNS0_4arch9wavefront6targetE0EEEvSV_.numbered_sgpr, 0
	.set _ZN7rocprim17ROCPRIM_400000_NS6detail17trampoline_kernelINS0_14default_configENS1_27upper_bound_config_selectorIalEEZNS1_14transform_implILb0ES3_S5_N6thrust23THRUST_200600_302600_NS6detail15normal_iteratorINS8_7pointerIaNS8_11hip_rocprim3tagENS8_11use_defaultESE_EEEENSA_INSB_IlSD_SE_SE_EEEEZNS1_13binary_searchIS3_S5_NSA_INS8_10device_ptrIaEEEESG_SI_NS1_21upper_bound_search_opENS9_16wrapped_functionINS8_7greaterIaEEbEEEE10hipError_tPvRmT1_T2_T3_mmT4_T5_P12ihipStream_tbEUlRKaE_EESS_SW_SX_mSY_S11_bEUlT_E_NS1_11comp_targetILNS1_3genE3ELNS1_11target_archE908ELNS1_3gpuE7ELNS1_3repE0EEENS1_30default_config_static_selectorELNS0_4arch9wavefront6targetE0EEEvSV_.num_named_barrier, 0
	.set _ZN7rocprim17ROCPRIM_400000_NS6detail17trampoline_kernelINS0_14default_configENS1_27upper_bound_config_selectorIalEEZNS1_14transform_implILb0ES3_S5_N6thrust23THRUST_200600_302600_NS6detail15normal_iteratorINS8_7pointerIaNS8_11hip_rocprim3tagENS8_11use_defaultESE_EEEENSA_INSB_IlSD_SE_SE_EEEEZNS1_13binary_searchIS3_S5_NSA_INS8_10device_ptrIaEEEESG_SI_NS1_21upper_bound_search_opENS9_16wrapped_functionINS8_7greaterIaEEbEEEE10hipError_tPvRmT1_T2_T3_mmT4_T5_P12ihipStream_tbEUlRKaE_EESS_SW_SX_mSY_S11_bEUlT_E_NS1_11comp_targetILNS1_3genE3ELNS1_11target_archE908ELNS1_3gpuE7ELNS1_3repE0EEENS1_30default_config_static_selectorELNS0_4arch9wavefront6targetE0EEEvSV_.private_seg_size, 0
	.set _ZN7rocprim17ROCPRIM_400000_NS6detail17trampoline_kernelINS0_14default_configENS1_27upper_bound_config_selectorIalEEZNS1_14transform_implILb0ES3_S5_N6thrust23THRUST_200600_302600_NS6detail15normal_iteratorINS8_7pointerIaNS8_11hip_rocprim3tagENS8_11use_defaultESE_EEEENSA_INSB_IlSD_SE_SE_EEEEZNS1_13binary_searchIS3_S5_NSA_INS8_10device_ptrIaEEEESG_SI_NS1_21upper_bound_search_opENS9_16wrapped_functionINS8_7greaterIaEEbEEEE10hipError_tPvRmT1_T2_T3_mmT4_T5_P12ihipStream_tbEUlRKaE_EESS_SW_SX_mSY_S11_bEUlT_E_NS1_11comp_targetILNS1_3genE3ELNS1_11target_archE908ELNS1_3gpuE7ELNS1_3repE0EEENS1_30default_config_static_selectorELNS0_4arch9wavefront6targetE0EEEvSV_.uses_vcc, 0
	.set _ZN7rocprim17ROCPRIM_400000_NS6detail17trampoline_kernelINS0_14default_configENS1_27upper_bound_config_selectorIalEEZNS1_14transform_implILb0ES3_S5_N6thrust23THRUST_200600_302600_NS6detail15normal_iteratorINS8_7pointerIaNS8_11hip_rocprim3tagENS8_11use_defaultESE_EEEENSA_INSB_IlSD_SE_SE_EEEEZNS1_13binary_searchIS3_S5_NSA_INS8_10device_ptrIaEEEESG_SI_NS1_21upper_bound_search_opENS9_16wrapped_functionINS8_7greaterIaEEbEEEE10hipError_tPvRmT1_T2_T3_mmT4_T5_P12ihipStream_tbEUlRKaE_EESS_SW_SX_mSY_S11_bEUlT_E_NS1_11comp_targetILNS1_3genE3ELNS1_11target_archE908ELNS1_3gpuE7ELNS1_3repE0EEENS1_30default_config_static_selectorELNS0_4arch9wavefront6targetE0EEEvSV_.uses_flat_scratch, 0
	.set _ZN7rocprim17ROCPRIM_400000_NS6detail17trampoline_kernelINS0_14default_configENS1_27upper_bound_config_selectorIalEEZNS1_14transform_implILb0ES3_S5_N6thrust23THRUST_200600_302600_NS6detail15normal_iteratorINS8_7pointerIaNS8_11hip_rocprim3tagENS8_11use_defaultESE_EEEENSA_INSB_IlSD_SE_SE_EEEEZNS1_13binary_searchIS3_S5_NSA_INS8_10device_ptrIaEEEESG_SI_NS1_21upper_bound_search_opENS9_16wrapped_functionINS8_7greaterIaEEbEEEE10hipError_tPvRmT1_T2_T3_mmT4_T5_P12ihipStream_tbEUlRKaE_EESS_SW_SX_mSY_S11_bEUlT_E_NS1_11comp_targetILNS1_3genE3ELNS1_11target_archE908ELNS1_3gpuE7ELNS1_3repE0EEENS1_30default_config_static_selectorELNS0_4arch9wavefront6targetE0EEEvSV_.has_dyn_sized_stack, 0
	.set _ZN7rocprim17ROCPRIM_400000_NS6detail17trampoline_kernelINS0_14default_configENS1_27upper_bound_config_selectorIalEEZNS1_14transform_implILb0ES3_S5_N6thrust23THRUST_200600_302600_NS6detail15normal_iteratorINS8_7pointerIaNS8_11hip_rocprim3tagENS8_11use_defaultESE_EEEENSA_INSB_IlSD_SE_SE_EEEEZNS1_13binary_searchIS3_S5_NSA_INS8_10device_ptrIaEEEESG_SI_NS1_21upper_bound_search_opENS9_16wrapped_functionINS8_7greaterIaEEbEEEE10hipError_tPvRmT1_T2_T3_mmT4_T5_P12ihipStream_tbEUlRKaE_EESS_SW_SX_mSY_S11_bEUlT_E_NS1_11comp_targetILNS1_3genE3ELNS1_11target_archE908ELNS1_3gpuE7ELNS1_3repE0EEENS1_30default_config_static_selectorELNS0_4arch9wavefront6targetE0EEEvSV_.has_recursion, 0
	.set _ZN7rocprim17ROCPRIM_400000_NS6detail17trampoline_kernelINS0_14default_configENS1_27upper_bound_config_selectorIalEEZNS1_14transform_implILb0ES3_S5_N6thrust23THRUST_200600_302600_NS6detail15normal_iteratorINS8_7pointerIaNS8_11hip_rocprim3tagENS8_11use_defaultESE_EEEENSA_INSB_IlSD_SE_SE_EEEEZNS1_13binary_searchIS3_S5_NSA_INS8_10device_ptrIaEEEESG_SI_NS1_21upper_bound_search_opENS9_16wrapped_functionINS8_7greaterIaEEbEEEE10hipError_tPvRmT1_T2_T3_mmT4_T5_P12ihipStream_tbEUlRKaE_EESS_SW_SX_mSY_S11_bEUlT_E_NS1_11comp_targetILNS1_3genE3ELNS1_11target_archE908ELNS1_3gpuE7ELNS1_3repE0EEENS1_30default_config_static_selectorELNS0_4arch9wavefront6targetE0EEEvSV_.has_indirect_call, 0
	.section	.AMDGPU.csdata,"",@progbits
; Kernel info:
; codeLenInByte = 0
; TotalNumSgprs: 0
; NumVgprs: 0
; ScratchSize: 0
; MemoryBound: 0
; FloatMode: 240
; IeeeMode: 1
; LDSByteSize: 0 bytes/workgroup (compile time only)
; SGPRBlocks: 0
; VGPRBlocks: 0
; NumSGPRsForWavesPerEU: 1
; NumVGPRsForWavesPerEU: 1
; NamedBarCnt: 0
; Occupancy: 16
; WaveLimiterHint : 0
; COMPUTE_PGM_RSRC2:SCRATCH_EN: 0
; COMPUTE_PGM_RSRC2:USER_SGPR: 2
; COMPUTE_PGM_RSRC2:TRAP_HANDLER: 0
; COMPUTE_PGM_RSRC2:TGID_X_EN: 1
; COMPUTE_PGM_RSRC2:TGID_Y_EN: 0
; COMPUTE_PGM_RSRC2:TGID_Z_EN: 0
; COMPUTE_PGM_RSRC2:TIDIG_COMP_CNT: 0
	.section	.text._ZN7rocprim17ROCPRIM_400000_NS6detail17trampoline_kernelINS0_14default_configENS1_27upper_bound_config_selectorIalEEZNS1_14transform_implILb0ES3_S5_N6thrust23THRUST_200600_302600_NS6detail15normal_iteratorINS8_7pointerIaNS8_11hip_rocprim3tagENS8_11use_defaultESE_EEEENSA_INSB_IlSD_SE_SE_EEEEZNS1_13binary_searchIS3_S5_NSA_INS8_10device_ptrIaEEEESG_SI_NS1_21upper_bound_search_opENS9_16wrapped_functionINS8_7greaterIaEEbEEEE10hipError_tPvRmT1_T2_T3_mmT4_T5_P12ihipStream_tbEUlRKaE_EESS_SW_SX_mSY_S11_bEUlT_E_NS1_11comp_targetILNS1_3genE2ELNS1_11target_archE906ELNS1_3gpuE6ELNS1_3repE0EEENS1_30default_config_static_selectorELNS0_4arch9wavefront6targetE0EEEvSV_,"axG",@progbits,_ZN7rocprim17ROCPRIM_400000_NS6detail17trampoline_kernelINS0_14default_configENS1_27upper_bound_config_selectorIalEEZNS1_14transform_implILb0ES3_S5_N6thrust23THRUST_200600_302600_NS6detail15normal_iteratorINS8_7pointerIaNS8_11hip_rocprim3tagENS8_11use_defaultESE_EEEENSA_INSB_IlSD_SE_SE_EEEEZNS1_13binary_searchIS3_S5_NSA_INS8_10device_ptrIaEEEESG_SI_NS1_21upper_bound_search_opENS9_16wrapped_functionINS8_7greaterIaEEbEEEE10hipError_tPvRmT1_T2_T3_mmT4_T5_P12ihipStream_tbEUlRKaE_EESS_SW_SX_mSY_S11_bEUlT_E_NS1_11comp_targetILNS1_3genE2ELNS1_11target_archE906ELNS1_3gpuE6ELNS1_3repE0EEENS1_30default_config_static_selectorELNS0_4arch9wavefront6targetE0EEEvSV_,comdat
	.protected	_ZN7rocprim17ROCPRIM_400000_NS6detail17trampoline_kernelINS0_14default_configENS1_27upper_bound_config_selectorIalEEZNS1_14transform_implILb0ES3_S5_N6thrust23THRUST_200600_302600_NS6detail15normal_iteratorINS8_7pointerIaNS8_11hip_rocprim3tagENS8_11use_defaultESE_EEEENSA_INSB_IlSD_SE_SE_EEEEZNS1_13binary_searchIS3_S5_NSA_INS8_10device_ptrIaEEEESG_SI_NS1_21upper_bound_search_opENS9_16wrapped_functionINS8_7greaterIaEEbEEEE10hipError_tPvRmT1_T2_T3_mmT4_T5_P12ihipStream_tbEUlRKaE_EESS_SW_SX_mSY_S11_bEUlT_E_NS1_11comp_targetILNS1_3genE2ELNS1_11target_archE906ELNS1_3gpuE6ELNS1_3repE0EEENS1_30default_config_static_selectorELNS0_4arch9wavefront6targetE0EEEvSV_ ; -- Begin function _ZN7rocprim17ROCPRIM_400000_NS6detail17trampoline_kernelINS0_14default_configENS1_27upper_bound_config_selectorIalEEZNS1_14transform_implILb0ES3_S5_N6thrust23THRUST_200600_302600_NS6detail15normal_iteratorINS8_7pointerIaNS8_11hip_rocprim3tagENS8_11use_defaultESE_EEEENSA_INSB_IlSD_SE_SE_EEEEZNS1_13binary_searchIS3_S5_NSA_INS8_10device_ptrIaEEEESG_SI_NS1_21upper_bound_search_opENS9_16wrapped_functionINS8_7greaterIaEEbEEEE10hipError_tPvRmT1_T2_T3_mmT4_T5_P12ihipStream_tbEUlRKaE_EESS_SW_SX_mSY_S11_bEUlT_E_NS1_11comp_targetILNS1_3genE2ELNS1_11target_archE906ELNS1_3gpuE6ELNS1_3repE0EEENS1_30default_config_static_selectorELNS0_4arch9wavefront6targetE0EEEvSV_
	.globl	_ZN7rocprim17ROCPRIM_400000_NS6detail17trampoline_kernelINS0_14default_configENS1_27upper_bound_config_selectorIalEEZNS1_14transform_implILb0ES3_S5_N6thrust23THRUST_200600_302600_NS6detail15normal_iteratorINS8_7pointerIaNS8_11hip_rocprim3tagENS8_11use_defaultESE_EEEENSA_INSB_IlSD_SE_SE_EEEEZNS1_13binary_searchIS3_S5_NSA_INS8_10device_ptrIaEEEESG_SI_NS1_21upper_bound_search_opENS9_16wrapped_functionINS8_7greaterIaEEbEEEE10hipError_tPvRmT1_T2_T3_mmT4_T5_P12ihipStream_tbEUlRKaE_EESS_SW_SX_mSY_S11_bEUlT_E_NS1_11comp_targetILNS1_3genE2ELNS1_11target_archE906ELNS1_3gpuE6ELNS1_3repE0EEENS1_30default_config_static_selectorELNS0_4arch9wavefront6targetE0EEEvSV_
	.p2align	8
	.type	_ZN7rocprim17ROCPRIM_400000_NS6detail17trampoline_kernelINS0_14default_configENS1_27upper_bound_config_selectorIalEEZNS1_14transform_implILb0ES3_S5_N6thrust23THRUST_200600_302600_NS6detail15normal_iteratorINS8_7pointerIaNS8_11hip_rocprim3tagENS8_11use_defaultESE_EEEENSA_INSB_IlSD_SE_SE_EEEEZNS1_13binary_searchIS3_S5_NSA_INS8_10device_ptrIaEEEESG_SI_NS1_21upper_bound_search_opENS9_16wrapped_functionINS8_7greaterIaEEbEEEE10hipError_tPvRmT1_T2_T3_mmT4_T5_P12ihipStream_tbEUlRKaE_EESS_SW_SX_mSY_S11_bEUlT_E_NS1_11comp_targetILNS1_3genE2ELNS1_11target_archE906ELNS1_3gpuE6ELNS1_3repE0EEENS1_30default_config_static_selectorELNS0_4arch9wavefront6targetE0EEEvSV_,@function
_ZN7rocprim17ROCPRIM_400000_NS6detail17trampoline_kernelINS0_14default_configENS1_27upper_bound_config_selectorIalEEZNS1_14transform_implILb0ES3_S5_N6thrust23THRUST_200600_302600_NS6detail15normal_iteratorINS8_7pointerIaNS8_11hip_rocprim3tagENS8_11use_defaultESE_EEEENSA_INSB_IlSD_SE_SE_EEEEZNS1_13binary_searchIS3_S5_NSA_INS8_10device_ptrIaEEEESG_SI_NS1_21upper_bound_search_opENS9_16wrapped_functionINS8_7greaterIaEEbEEEE10hipError_tPvRmT1_T2_T3_mmT4_T5_P12ihipStream_tbEUlRKaE_EESS_SW_SX_mSY_S11_bEUlT_E_NS1_11comp_targetILNS1_3genE2ELNS1_11target_archE906ELNS1_3gpuE6ELNS1_3repE0EEENS1_30default_config_static_selectorELNS0_4arch9wavefront6targetE0EEEvSV_: ; @_ZN7rocprim17ROCPRIM_400000_NS6detail17trampoline_kernelINS0_14default_configENS1_27upper_bound_config_selectorIalEEZNS1_14transform_implILb0ES3_S5_N6thrust23THRUST_200600_302600_NS6detail15normal_iteratorINS8_7pointerIaNS8_11hip_rocprim3tagENS8_11use_defaultESE_EEEENSA_INSB_IlSD_SE_SE_EEEEZNS1_13binary_searchIS3_S5_NSA_INS8_10device_ptrIaEEEESG_SI_NS1_21upper_bound_search_opENS9_16wrapped_functionINS8_7greaterIaEEbEEEE10hipError_tPvRmT1_T2_T3_mmT4_T5_P12ihipStream_tbEUlRKaE_EESS_SW_SX_mSY_S11_bEUlT_E_NS1_11comp_targetILNS1_3genE2ELNS1_11target_archE906ELNS1_3gpuE6ELNS1_3repE0EEENS1_30default_config_static_selectorELNS0_4arch9wavefront6targetE0EEEvSV_
; %bb.0:
	.section	.rodata,"a",@progbits
	.p2align	6, 0x0
	.amdhsa_kernel _ZN7rocprim17ROCPRIM_400000_NS6detail17trampoline_kernelINS0_14default_configENS1_27upper_bound_config_selectorIalEEZNS1_14transform_implILb0ES3_S5_N6thrust23THRUST_200600_302600_NS6detail15normal_iteratorINS8_7pointerIaNS8_11hip_rocprim3tagENS8_11use_defaultESE_EEEENSA_INSB_IlSD_SE_SE_EEEEZNS1_13binary_searchIS3_S5_NSA_INS8_10device_ptrIaEEEESG_SI_NS1_21upper_bound_search_opENS9_16wrapped_functionINS8_7greaterIaEEbEEEE10hipError_tPvRmT1_T2_T3_mmT4_T5_P12ihipStream_tbEUlRKaE_EESS_SW_SX_mSY_S11_bEUlT_E_NS1_11comp_targetILNS1_3genE2ELNS1_11target_archE906ELNS1_3gpuE6ELNS1_3repE0EEENS1_30default_config_static_selectorELNS0_4arch9wavefront6targetE0EEEvSV_
		.amdhsa_group_segment_fixed_size 0
		.amdhsa_private_segment_fixed_size 0
		.amdhsa_kernarg_size 56
		.amdhsa_user_sgpr_count 2
		.amdhsa_user_sgpr_dispatch_ptr 0
		.amdhsa_user_sgpr_queue_ptr 0
		.amdhsa_user_sgpr_kernarg_segment_ptr 1
		.amdhsa_user_sgpr_dispatch_id 0
		.amdhsa_user_sgpr_kernarg_preload_length 0
		.amdhsa_user_sgpr_kernarg_preload_offset 0
		.amdhsa_user_sgpr_private_segment_size 0
		.amdhsa_wavefront_size32 1
		.amdhsa_uses_dynamic_stack 0
		.amdhsa_enable_private_segment 0
		.amdhsa_system_sgpr_workgroup_id_x 1
		.amdhsa_system_sgpr_workgroup_id_y 0
		.amdhsa_system_sgpr_workgroup_id_z 0
		.amdhsa_system_sgpr_workgroup_info 0
		.amdhsa_system_vgpr_workitem_id 0
		.amdhsa_next_free_vgpr 1
		.amdhsa_next_free_sgpr 1
		.amdhsa_named_barrier_count 0
		.amdhsa_reserve_vcc 0
		.amdhsa_float_round_mode_32 0
		.amdhsa_float_round_mode_16_64 0
		.amdhsa_float_denorm_mode_32 3
		.amdhsa_float_denorm_mode_16_64 3
		.amdhsa_fp16_overflow 0
		.amdhsa_memory_ordered 1
		.amdhsa_forward_progress 1
		.amdhsa_inst_pref_size 0
		.amdhsa_round_robin_scheduling 0
		.amdhsa_exception_fp_ieee_invalid_op 0
		.amdhsa_exception_fp_denorm_src 0
		.amdhsa_exception_fp_ieee_div_zero 0
		.amdhsa_exception_fp_ieee_overflow 0
		.amdhsa_exception_fp_ieee_underflow 0
		.amdhsa_exception_fp_ieee_inexact 0
		.amdhsa_exception_int_div_zero 0
	.end_amdhsa_kernel
	.section	.text._ZN7rocprim17ROCPRIM_400000_NS6detail17trampoline_kernelINS0_14default_configENS1_27upper_bound_config_selectorIalEEZNS1_14transform_implILb0ES3_S5_N6thrust23THRUST_200600_302600_NS6detail15normal_iteratorINS8_7pointerIaNS8_11hip_rocprim3tagENS8_11use_defaultESE_EEEENSA_INSB_IlSD_SE_SE_EEEEZNS1_13binary_searchIS3_S5_NSA_INS8_10device_ptrIaEEEESG_SI_NS1_21upper_bound_search_opENS9_16wrapped_functionINS8_7greaterIaEEbEEEE10hipError_tPvRmT1_T2_T3_mmT4_T5_P12ihipStream_tbEUlRKaE_EESS_SW_SX_mSY_S11_bEUlT_E_NS1_11comp_targetILNS1_3genE2ELNS1_11target_archE906ELNS1_3gpuE6ELNS1_3repE0EEENS1_30default_config_static_selectorELNS0_4arch9wavefront6targetE0EEEvSV_,"axG",@progbits,_ZN7rocprim17ROCPRIM_400000_NS6detail17trampoline_kernelINS0_14default_configENS1_27upper_bound_config_selectorIalEEZNS1_14transform_implILb0ES3_S5_N6thrust23THRUST_200600_302600_NS6detail15normal_iteratorINS8_7pointerIaNS8_11hip_rocprim3tagENS8_11use_defaultESE_EEEENSA_INSB_IlSD_SE_SE_EEEEZNS1_13binary_searchIS3_S5_NSA_INS8_10device_ptrIaEEEESG_SI_NS1_21upper_bound_search_opENS9_16wrapped_functionINS8_7greaterIaEEbEEEE10hipError_tPvRmT1_T2_T3_mmT4_T5_P12ihipStream_tbEUlRKaE_EESS_SW_SX_mSY_S11_bEUlT_E_NS1_11comp_targetILNS1_3genE2ELNS1_11target_archE906ELNS1_3gpuE6ELNS1_3repE0EEENS1_30default_config_static_selectorELNS0_4arch9wavefront6targetE0EEEvSV_,comdat
.Lfunc_end81:
	.size	_ZN7rocprim17ROCPRIM_400000_NS6detail17trampoline_kernelINS0_14default_configENS1_27upper_bound_config_selectorIalEEZNS1_14transform_implILb0ES3_S5_N6thrust23THRUST_200600_302600_NS6detail15normal_iteratorINS8_7pointerIaNS8_11hip_rocprim3tagENS8_11use_defaultESE_EEEENSA_INSB_IlSD_SE_SE_EEEEZNS1_13binary_searchIS3_S5_NSA_INS8_10device_ptrIaEEEESG_SI_NS1_21upper_bound_search_opENS9_16wrapped_functionINS8_7greaterIaEEbEEEE10hipError_tPvRmT1_T2_T3_mmT4_T5_P12ihipStream_tbEUlRKaE_EESS_SW_SX_mSY_S11_bEUlT_E_NS1_11comp_targetILNS1_3genE2ELNS1_11target_archE906ELNS1_3gpuE6ELNS1_3repE0EEENS1_30default_config_static_selectorELNS0_4arch9wavefront6targetE0EEEvSV_, .Lfunc_end81-_ZN7rocprim17ROCPRIM_400000_NS6detail17trampoline_kernelINS0_14default_configENS1_27upper_bound_config_selectorIalEEZNS1_14transform_implILb0ES3_S5_N6thrust23THRUST_200600_302600_NS6detail15normal_iteratorINS8_7pointerIaNS8_11hip_rocprim3tagENS8_11use_defaultESE_EEEENSA_INSB_IlSD_SE_SE_EEEEZNS1_13binary_searchIS3_S5_NSA_INS8_10device_ptrIaEEEESG_SI_NS1_21upper_bound_search_opENS9_16wrapped_functionINS8_7greaterIaEEbEEEE10hipError_tPvRmT1_T2_T3_mmT4_T5_P12ihipStream_tbEUlRKaE_EESS_SW_SX_mSY_S11_bEUlT_E_NS1_11comp_targetILNS1_3genE2ELNS1_11target_archE906ELNS1_3gpuE6ELNS1_3repE0EEENS1_30default_config_static_selectorELNS0_4arch9wavefront6targetE0EEEvSV_
                                        ; -- End function
	.set _ZN7rocprim17ROCPRIM_400000_NS6detail17trampoline_kernelINS0_14default_configENS1_27upper_bound_config_selectorIalEEZNS1_14transform_implILb0ES3_S5_N6thrust23THRUST_200600_302600_NS6detail15normal_iteratorINS8_7pointerIaNS8_11hip_rocprim3tagENS8_11use_defaultESE_EEEENSA_INSB_IlSD_SE_SE_EEEEZNS1_13binary_searchIS3_S5_NSA_INS8_10device_ptrIaEEEESG_SI_NS1_21upper_bound_search_opENS9_16wrapped_functionINS8_7greaterIaEEbEEEE10hipError_tPvRmT1_T2_T3_mmT4_T5_P12ihipStream_tbEUlRKaE_EESS_SW_SX_mSY_S11_bEUlT_E_NS1_11comp_targetILNS1_3genE2ELNS1_11target_archE906ELNS1_3gpuE6ELNS1_3repE0EEENS1_30default_config_static_selectorELNS0_4arch9wavefront6targetE0EEEvSV_.num_vgpr, 0
	.set _ZN7rocprim17ROCPRIM_400000_NS6detail17trampoline_kernelINS0_14default_configENS1_27upper_bound_config_selectorIalEEZNS1_14transform_implILb0ES3_S5_N6thrust23THRUST_200600_302600_NS6detail15normal_iteratorINS8_7pointerIaNS8_11hip_rocprim3tagENS8_11use_defaultESE_EEEENSA_INSB_IlSD_SE_SE_EEEEZNS1_13binary_searchIS3_S5_NSA_INS8_10device_ptrIaEEEESG_SI_NS1_21upper_bound_search_opENS9_16wrapped_functionINS8_7greaterIaEEbEEEE10hipError_tPvRmT1_T2_T3_mmT4_T5_P12ihipStream_tbEUlRKaE_EESS_SW_SX_mSY_S11_bEUlT_E_NS1_11comp_targetILNS1_3genE2ELNS1_11target_archE906ELNS1_3gpuE6ELNS1_3repE0EEENS1_30default_config_static_selectorELNS0_4arch9wavefront6targetE0EEEvSV_.num_agpr, 0
	.set _ZN7rocprim17ROCPRIM_400000_NS6detail17trampoline_kernelINS0_14default_configENS1_27upper_bound_config_selectorIalEEZNS1_14transform_implILb0ES3_S5_N6thrust23THRUST_200600_302600_NS6detail15normal_iteratorINS8_7pointerIaNS8_11hip_rocprim3tagENS8_11use_defaultESE_EEEENSA_INSB_IlSD_SE_SE_EEEEZNS1_13binary_searchIS3_S5_NSA_INS8_10device_ptrIaEEEESG_SI_NS1_21upper_bound_search_opENS9_16wrapped_functionINS8_7greaterIaEEbEEEE10hipError_tPvRmT1_T2_T3_mmT4_T5_P12ihipStream_tbEUlRKaE_EESS_SW_SX_mSY_S11_bEUlT_E_NS1_11comp_targetILNS1_3genE2ELNS1_11target_archE906ELNS1_3gpuE6ELNS1_3repE0EEENS1_30default_config_static_selectorELNS0_4arch9wavefront6targetE0EEEvSV_.numbered_sgpr, 0
	.set _ZN7rocprim17ROCPRIM_400000_NS6detail17trampoline_kernelINS0_14default_configENS1_27upper_bound_config_selectorIalEEZNS1_14transform_implILb0ES3_S5_N6thrust23THRUST_200600_302600_NS6detail15normal_iteratorINS8_7pointerIaNS8_11hip_rocprim3tagENS8_11use_defaultESE_EEEENSA_INSB_IlSD_SE_SE_EEEEZNS1_13binary_searchIS3_S5_NSA_INS8_10device_ptrIaEEEESG_SI_NS1_21upper_bound_search_opENS9_16wrapped_functionINS8_7greaterIaEEbEEEE10hipError_tPvRmT1_T2_T3_mmT4_T5_P12ihipStream_tbEUlRKaE_EESS_SW_SX_mSY_S11_bEUlT_E_NS1_11comp_targetILNS1_3genE2ELNS1_11target_archE906ELNS1_3gpuE6ELNS1_3repE0EEENS1_30default_config_static_selectorELNS0_4arch9wavefront6targetE0EEEvSV_.num_named_barrier, 0
	.set _ZN7rocprim17ROCPRIM_400000_NS6detail17trampoline_kernelINS0_14default_configENS1_27upper_bound_config_selectorIalEEZNS1_14transform_implILb0ES3_S5_N6thrust23THRUST_200600_302600_NS6detail15normal_iteratorINS8_7pointerIaNS8_11hip_rocprim3tagENS8_11use_defaultESE_EEEENSA_INSB_IlSD_SE_SE_EEEEZNS1_13binary_searchIS3_S5_NSA_INS8_10device_ptrIaEEEESG_SI_NS1_21upper_bound_search_opENS9_16wrapped_functionINS8_7greaterIaEEbEEEE10hipError_tPvRmT1_T2_T3_mmT4_T5_P12ihipStream_tbEUlRKaE_EESS_SW_SX_mSY_S11_bEUlT_E_NS1_11comp_targetILNS1_3genE2ELNS1_11target_archE906ELNS1_3gpuE6ELNS1_3repE0EEENS1_30default_config_static_selectorELNS0_4arch9wavefront6targetE0EEEvSV_.private_seg_size, 0
	.set _ZN7rocprim17ROCPRIM_400000_NS6detail17trampoline_kernelINS0_14default_configENS1_27upper_bound_config_selectorIalEEZNS1_14transform_implILb0ES3_S5_N6thrust23THRUST_200600_302600_NS6detail15normal_iteratorINS8_7pointerIaNS8_11hip_rocprim3tagENS8_11use_defaultESE_EEEENSA_INSB_IlSD_SE_SE_EEEEZNS1_13binary_searchIS3_S5_NSA_INS8_10device_ptrIaEEEESG_SI_NS1_21upper_bound_search_opENS9_16wrapped_functionINS8_7greaterIaEEbEEEE10hipError_tPvRmT1_T2_T3_mmT4_T5_P12ihipStream_tbEUlRKaE_EESS_SW_SX_mSY_S11_bEUlT_E_NS1_11comp_targetILNS1_3genE2ELNS1_11target_archE906ELNS1_3gpuE6ELNS1_3repE0EEENS1_30default_config_static_selectorELNS0_4arch9wavefront6targetE0EEEvSV_.uses_vcc, 0
	.set _ZN7rocprim17ROCPRIM_400000_NS6detail17trampoline_kernelINS0_14default_configENS1_27upper_bound_config_selectorIalEEZNS1_14transform_implILb0ES3_S5_N6thrust23THRUST_200600_302600_NS6detail15normal_iteratorINS8_7pointerIaNS8_11hip_rocprim3tagENS8_11use_defaultESE_EEEENSA_INSB_IlSD_SE_SE_EEEEZNS1_13binary_searchIS3_S5_NSA_INS8_10device_ptrIaEEEESG_SI_NS1_21upper_bound_search_opENS9_16wrapped_functionINS8_7greaterIaEEbEEEE10hipError_tPvRmT1_T2_T3_mmT4_T5_P12ihipStream_tbEUlRKaE_EESS_SW_SX_mSY_S11_bEUlT_E_NS1_11comp_targetILNS1_3genE2ELNS1_11target_archE906ELNS1_3gpuE6ELNS1_3repE0EEENS1_30default_config_static_selectorELNS0_4arch9wavefront6targetE0EEEvSV_.uses_flat_scratch, 0
	.set _ZN7rocprim17ROCPRIM_400000_NS6detail17trampoline_kernelINS0_14default_configENS1_27upper_bound_config_selectorIalEEZNS1_14transform_implILb0ES3_S5_N6thrust23THRUST_200600_302600_NS6detail15normal_iteratorINS8_7pointerIaNS8_11hip_rocprim3tagENS8_11use_defaultESE_EEEENSA_INSB_IlSD_SE_SE_EEEEZNS1_13binary_searchIS3_S5_NSA_INS8_10device_ptrIaEEEESG_SI_NS1_21upper_bound_search_opENS9_16wrapped_functionINS8_7greaterIaEEbEEEE10hipError_tPvRmT1_T2_T3_mmT4_T5_P12ihipStream_tbEUlRKaE_EESS_SW_SX_mSY_S11_bEUlT_E_NS1_11comp_targetILNS1_3genE2ELNS1_11target_archE906ELNS1_3gpuE6ELNS1_3repE0EEENS1_30default_config_static_selectorELNS0_4arch9wavefront6targetE0EEEvSV_.has_dyn_sized_stack, 0
	.set _ZN7rocprim17ROCPRIM_400000_NS6detail17trampoline_kernelINS0_14default_configENS1_27upper_bound_config_selectorIalEEZNS1_14transform_implILb0ES3_S5_N6thrust23THRUST_200600_302600_NS6detail15normal_iteratorINS8_7pointerIaNS8_11hip_rocprim3tagENS8_11use_defaultESE_EEEENSA_INSB_IlSD_SE_SE_EEEEZNS1_13binary_searchIS3_S5_NSA_INS8_10device_ptrIaEEEESG_SI_NS1_21upper_bound_search_opENS9_16wrapped_functionINS8_7greaterIaEEbEEEE10hipError_tPvRmT1_T2_T3_mmT4_T5_P12ihipStream_tbEUlRKaE_EESS_SW_SX_mSY_S11_bEUlT_E_NS1_11comp_targetILNS1_3genE2ELNS1_11target_archE906ELNS1_3gpuE6ELNS1_3repE0EEENS1_30default_config_static_selectorELNS0_4arch9wavefront6targetE0EEEvSV_.has_recursion, 0
	.set _ZN7rocprim17ROCPRIM_400000_NS6detail17trampoline_kernelINS0_14default_configENS1_27upper_bound_config_selectorIalEEZNS1_14transform_implILb0ES3_S5_N6thrust23THRUST_200600_302600_NS6detail15normal_iteratorINS8_7pointerIaNS8_11hip_rocprim3tagENS8_11use_defaultESE_EEEENSA_INSB_IlSD_SE_SE_EEEEZNS1_13binary_searchIS3_S5_NSA_INS8_10device_ptrIaEEEESG_SI_NS1_21upper_bound_search_opENS9_16wrapped_functionINS8_7greaterIaEEbEEEE10hipError_tPvRmT1_T2_T3_mmT4_T5_P12ihipStream_tbEUlRKaE_EESS_SW_SX_mSY_S11_bEUlT_E_NS1_11comp_targetILNS1_3genE2ELNS1_11target_archE906ELNS1_3gpuE6ELNS1_3repE0EEENS1_30default_config_static_selectorELNS0_4arch9wavefront6targetE0EEEvSV_.has_indirect_call, 0
	.section	.AMDGPU.csdata,"",@progbits
; Kernel info:
; codeLenInByte = 0
; TotalNumSgprs: 0
; NumVgprs: 0
; ScratchSize: 0
; MemoryBound: 0
; FloatMode: 240
; IeeeMode: 1
; LDSByteSize: 0 bytes/workgroup (compile time only)
; SGPRBlocks: 0
; VGPRBlocks: 0
; NumSGPRsForWavesPerEU: 1
; NumVGPRsForWavesPerEU: 1
; NamedBarCnt: 0
; Occupancy: 16
; WaveLimiterHint : 0
; COMPUTE_PGM_RSRC2:SCRATCH_EN: 0
; COMPUTE_PGM_RSRC2:USER_SGPR: 2
; COMPUTE_PGM_RSRC2:TRAP_HANDLER: 0
; COMPUTE_PGM_RSRC2:TGID_X_EN: 1
; COMPUTE_PGM_RSRC2:TGID_Y_EN: 0
; COMPUTE_PGM_RSRC2:TGID_Z_EN: 0
; COMPUTE_PGM_RSRC2:TIDIG_COMP_CNT: 0
	.section	.text._ZN7rocprim17ROCPRIM_400000_NS6detail17trampoline_kernelINS0_14default_configENS1_27upper_bound_config_selectorIalEEZNS1_14transform_implILb0ES3_S5_N6thrust23THRUST_200600_302600_NS6detail15normal_iteratorINS8_7pointerIaNS8_11hip_rocprim3tagENS8_11use_defaultESE_EEEENSA_INSB_IlSD_SE_SE_EEEEZNS1_13binary_searchIS3_S5_NSA_INS8_10device_ptrIaEEEESG_SI_NS1_21upper_bound_search_opENS9_16wrapped_functionINS8_7greaterIaEEbEEEE10hipError_tPvRmT1_T2_T3_mmT4_T5_P12ihipStream_tbEUlRKaE_EESS_SW_SX_mSY_S11_bEUlT_E_NS1_11comp_targetILNS1_3genE10ELNS1_11target_archE1201ELNS1_3gpuE5ELNS1_3repE0EEENS1_30default_config_static_selectorELNS0_4arch9wavefront6targetE0EEEvSV_,"axG",@progbits,_ZN7rocprim17ROCPRIM_400000_NS6detail17trampoline_kernelINS0_14default_configENS1_27upper_bound_config_selectorIalEEZNS1_14transform_implILb0ES3_S5_N6thrust23THRUST_200600_302600_NS6detail15normal_iteratorINS8_7pointerIaNS8_11hip_rocprim3tagENS8_11use_defaultESE_EEEENSA_INSB_IlSD_SE_SE_EEEEZNS1_13binary_searchIS3_S5_NSA_INS8_10device_ptrIaEEEESG_SI_NS1_21upper_bound_search_opENS9_16wrapped_functionINS8_7greaterIaEEbEEEE10hipError_tPvRmT1_T2_T3_mmT4_T5_P12ihipStream_tbEUlRKaE_EESS_SW_SX_mSY_S11_bEUlT_E_NS1_11comp_targetILNS1_3genE10ELNS1_11target_archE1201ELNS1_3gpuE5ELNS1_3repE0EEENS1_30default_config_static_selectorELNS0_4arch9wavefront6targetE0EEEvSV_,comdat
	.protected	_ZN7rocprim17ROCPRIM_400000_NS6detail17trampoline_kernelINS0_14default_configENS1_27upper_bound_config_selectorIalEEZNS1_14transform_implILb0ES3_S5_N6thrust23THRUST_200600_302600_NS6detail15normal_iteratorINS8_7pointerIaNS8_11hip_rocprim3tagENS8_11use_defaultESE_EEEENSA_INSB_IlSD_SE_SE_EEEEZNS1_13binary_searchIS3_S5_NSA_INS8_10device_ptrIaEEEESG_SI_NS1_21upper_bound_search_opENS9_16wrapped_functionINS8_7greaterIaEEbEEEE10hipError_tPvRmT1_T2_T3_mmT4_T5_P12ihipStream_tbEUlRKaE_EESS_SW_SX_mSY_S11_bEUlT_E_NS1_11comp_targetILNS1_3genE10ELNS1_11target_archE1201ELNS1_3gpuE5ELNS1_3repE0EEENS1_30default_config_static_selectorELNS0_4arch9wavefront6targetE0EEEvSV_ ; -- Begin function _ZN7rocprim17ROCPRIM_400000_NS6detail17trampoline_kernelINS0_14default_configENS1_27upper_bound_config_selectorIalEEZNS1_14transform_implILb0ES3_S5_N6thrust23THRUST_200600_302600_NS6detail15normal_iteratorINS8_7pointerIaNS8_11hip_rocprim3tagENS8_11use_defaultESE_EEEENSA_INSB_IlSD_SE_SE_EEEEZNS1_13binary_searchIS3_S5_NSA_INS8_10device_ptrIaEEEESG_SI_NS1_21upper_bound_search_opENS9_16wrapped_functionINS8_7greaterIaEEbEEEE10hipError_tPvRmT1_T2_T3_mmT4_T5_P12ihipStream_tbEUlRKaE_EESS_SW_SX_mSY_S11_bEUlT_E_NS1_11comp_targetILNS1_3genE10ELNS1_11target_archE1201ELNS1_3gpuE5ELNS1_3repE0EEENS1_30default_config_static_selectorELNS0_4arch9wavefront6targetE0EEEvSV_
	.globl	_ZN7rocprim17ROCPRIM_400000_NS6detail17trampoline_kernelINS0_14default_configENS1_27upper_bound_config_selectorIalEEZNS1_14transform_implILb0ES3_S5_N6thrust23THRUST_200600_302600_NS6detail15normal_iteratorINS8_7pointerIaNS8_11hip_rocprim3tagENS8_11use_defaultESE_EEEENSA_INSB_IlSD_SE_SE_EEEEZNS1_13binary_searchIS3_S5_NSA_INS8_10device_ptrIaEEEESG_SI_NS1_21upper_bound_search_opENS9_16wrapped_functionINS8_7greaterIaEEbEEEE10hipError_tPvRmT1_T2_T3_mmT4_T5_P12ihipStream_tbEUlRKaE_EESS_SW_SX_mSY_S11_bEUlT_E_NS1_11comp_targetILNS1_3genE10ELNS1_11target_archE1201ELNS1_3gpuE5ELNS1_3repE0EEENS1_30default_config_static_selectorELNS0_4arch9wavefront6targetE0EEEvSV_
	.p2align	8
	.type	_ZN7rocprim17ROCPRIM_400000_NS6detail17trampoline_kernelINS0_14default_configENS1_27upper_bound_config_selectorIalEEZNS1_14transform_implILb0ES3_S5_N6thrust23THRUST_200600_302600_NS6detail15normal_iteratorINS8_7pointerIaNS8_11hip_rocprim3tagENS8_11use_defaultESE_EEEENSA_INSB_IlSD_SE_SE_EEEEZNS1_13binary_searchIS3_S5_NSA_INS8_10device_ptrIaEEEESG_SI_NS1_21upper_bound_search_opENS9_16wrapped_functionINS8_7greaterIaEEbEEEE10hipError_tPvRmT1_T2_T3_mmT4_T5_P12ihipStream_tbEUlRKaE_EESS_SW_SX_mSY_S11_bEUlT_E_NS1_11comp_targetILNS1_3genE10ELNS1_11target_archE1201ELNS1_3gpuE5ELNS1_3repE0EEENS1_30default_config_static_selectorELNS0_4arch9wavefront6targetE0EEEvSV_,@function
_ZN7rocprim17ROCPRIM_400000_NS6detail17trampoline_kernelINS0_14default_configENS1_27upper_bound_config_selectorIalEEZNS1_14transform_implILb0ES3_S5_N6thrust23THRUST_200600_302600_NS6detail15normal_iteratorINS8_7pointerIaNS8_11hip_rocprim3tagENS8_11use_defaultESE_EEEENSA_INSB_IlSD_SE_SE_EEEEZNS1_13binary_searchIS3_S5_NSA_INS8_10device_ptrIaEEEESG_SI_NS1_21upper_bound_search_opENS9_16wrapped_functionINS8_7greaterIaEEbEEEE10hipError_tPvRmT1_T2_T3_mmT4_T5_P12ihipStream_tbEUlRKaE_EESS_SW_SX_mSY_S11_bEUlT_E_NS1_11comp_targetILNS1_3genE10ELNS1_11target_archE1201ELNS1_3gpuE5ELNS1_3repE0EEENS1_30default_config_static_selectorELNS0_4arch9wavefront6targetE0EEEvSV_: ; @_ZN7rocprim17ROCPRIM_400000_NS6detail17trampoline_kernelINS0_14default_configENS1_27upper_bound_config_selectorIalEEZNS1_14transform_implILb0ES3_S5_N6thrust23THRUST_200600_302600_NS6detail15normal_iteratorINS8_7pointerIaNS8_11hip_rocprim3tagENS8_11use_defaultESE_EEEENSA_INSB_IlSD_SE_SE_EEEEZNS1_13binary_searchIS3_S5_NSA_INS8_10device_ptrIaEEEESG_SI_NS1_21upper_bound_search_opENS9_16wrapped_functionINS8_7greaterIaEEbEEEE10hipError_tPvRmT1_T2_T3_mmT4_T5_P12ihipStream_tbEUlRKaE_EESS_SW_SX_mSY_S11_bEUlT_E_NS1_11comp_targetILNS1_3genE10ELNS1_11target_archE1201ELNS1_3gpuE5ELNS1_3repE0EEENS1_30default_config_static_selectorELNS0_4arch9wavefront6targetE0EEEvSV_
; %bb.0:
	.section	.rodata,"a",@progbits
	.p2align	6, 0x0
	.amdhsa_kernel _ZN7rocprim17ROCPRIM_400000_NS6detail17trampoline_kernelINS0_14default_configENS1_27upper_bound_config_selectorIalEEZNS1_14transform_implILb0ES3_S5_N6thrust23THRUST_200600_302600_NS6detail15normal_iteratorINS8_7pointerIaNS8_11hip_rocprim3tagENS8_11use_defaultESE_EEEENSA_INSB_IlSD_SE_SE_EEEEZNS1_13binary_searchIS3_S5_NSA_INS8_10device_ptrIaEEEESG_SI_NS1_21upper_bound_search_opENS9_16wrapped_functionINS8_7greaterIaEEbEEEE10hipError_tPvRmT1_T2_T3_mmT4_T5_P12ihipStream_tbEUlRKaE_EESS_SW_SX_mSY_S11_bEUlT_E_NS1_11comp_targetILNS1_3genE10ELNS1_11target_archE1201ELNS1_3gpuE5ELNS1_3repE0EEENS1_30default_config_static_selectorELNS0_4arch9wavefront6targetE0EEEvSV_
		.amdhsa_group_segment_fixed_size 0
		.amdhsa_private_segment_fixed_size 0
		.amdhsa_kernarg_size 56
		.amdhsa_user_sgpr_count 2
		.amdhsa_user_sgpr_dispatch_ptr 0
		.amdhsa_user_sgpr_queue_ptr 0
		.amdhsa_user_sgpr_kernarg_segment_ptr 1
		.amdhsa_user_sgpr_dispatch_id 0
		.amdhsa_user_sgpr_kernarg_preload_length 0
		.amdhsa_user_sgpr_kernarg_preload_offset 0
		.amdhsa_user_sgpr_private_segment_size 0
		.amdhsa_wavefront_size32 1
		.amdhsa_uses_dynamic_stack 0
		.amdhsa_enable_private_segment 0
		.amdhsa_system_sgpr_workgroup_id_x 1
		.amdhsa_system_sgpr_workgroup_id_y 0
		.amdhsa_system_sgpr_workgroup_id_z 0
		.amdhsa_system_sgpr_workgroup_info 0
		.amdhsa_system_vgpr_workitem_id 0
		.amdhsa_next_free_vgpr 1
		.amdhsa_next_free_sgpr 1
		.amdhsa_named_barrier_count 0
		.amdhsa_reserve_vcc 0
		.amdhsa_float_round_mode_32 0
		.amdhsa_float_round_mode_16_64 0
		.amdhsa_float_denorm_mode_32 3
		.amdhsa_float_denorm_mode_16_64 3
		.amdhsa_fp16_overflow 0
		.amdhsa_memory_ordered 1
		.amdhsa_forward_progress 1
		.amdhsa_inst_pref_size 0
		.amdhsa_round_robin_scheduling 0
		.amdhsa_exception_fp_ieee_invalid_op 0
		.amdhsa_exception_fp_denorm_src 0
		.amdhsa_exception_fp_ieee_div_zero 0
		.amdhsa_exception_fp_ieee_overflow 0
		.amdhsa_exception_fp_ieee_underflow 0
		.amdhsa_exception_fp_ieee_inexact 0
		.amdhsa_exception_int_div_zero 0
	.end_amdhsa_kernel
	.section	.text._ZN7rocprim17ROCPRIM_400000_NS6detail17trampoline_kernelINS0_14default_configENS1_27upper_bound_config_selectorIalEEZNS1_14transform_implILb0ES3_S5_N6thrust23THRUST_200600_302600_NS6detail15normal_iteratorINS8_7pointerIaNS8_11hip_rocprim3tagENS8_11use_defaultESE_EEEENSA_INSB_IlSD_SE_SE_EEEEZNS1_13binary_searchIS3_S5_NSA_INS8_10device_ptrIaEEEESG_SI_NS1_21upper_bound_search_opENS9_16wrapped_functionINS8_7greaterIaEEbEEEE10hipError_tPvRmT1_T2_T3_mmT4_T5_P12ihipStream_tbEUlRKaE_EESS_SW_SX_mSY_S11_bEUlT_E_NS1_11comp_targetILNS1_3genE10ELNS1_11target_archE1201ELNS1_3gpuE5ELNS1_3repE0EEENS1_30default_config_static_selectorELNS0_4arch9wavefront6targetE0EEEvSV_,"axG",@progbits,_ZN7rocprim17ROCPRIM_400000_NS6detail17trampoline_kernelINS0_14default_configENS1_27upper_bound_config_selectorIalEEZNS1_14transform_implILb0ES3_S5_N6thrust23THRUST_200600_302600_NS6detail15normal_iteratorINS8_7pointerIaNS8_11hip_rocprim3tagENS8_11use_defaultESE_EEEENSA_INSB_IlSD_SE_SE_EEEEZNS1_13binary_searchIS3_S5_NSA_INS8_10device_ptrIaEEEESG_SI_NS1_21upper_bound_search_opENS9_16wrapped_functionINS8_7greaterIaEEbEEEE10hipError_tPvRmT1_T2_T3_mmT4_T5_P12ihipStream_tbEUlRKaE_EESS_SW_SX_mSY_S11_bEUlT_E_NS1_11comp_targetILNS1_3genE10ELNS1_11target_archE1201ELNS1_3gpuE5ELNS1_3repE0EEENS1_30default_config_static_selectorELNS0_4arch9wavefront6targetE0EEEvSV_,comdat
.Lfunc_end82:
	.size	_ZN7rocprim17ROCPRIM_400000_NS6detail17trampoline_kernelINS0_14default_configENS1_27upper_bound_config_selectorIalEEZNS1_14transform_implILb0ES3_S5_N6thrust23THRUST_200600_302600_NS6detail15normal_iteratorINS8_7pointerIaNS8_11hip_rocprim3tagENS8_11use_defaultESE_EEEENSA_INSB_IlSD_SE_SE_EEEEZNS1_13binary_searchIS3_S5_NSA_INS8_10device_ptrIaEEEESG_SI_NS1_21upper_bound_search_opENS9_16wrapped_functionINS8_7greaterIaEEbEEEE10hipError_tPvRmT1_T2_T3_mmT4_T5_P12ihipStream_tbEUlRKaE_EESS_SW_SX_mSY_S11_bEUlT_E_NS1_11comp_targetILNS1_3genE10ELNS1_11target_archE1201ELNS1_3gpuE5ELNS1_3repE0EEENS1_30default_config_static_selectorELNS0_4arch9wavefront6targetE0EEEvSV_, .Lfunc_end82-_ZN7rocprim17ROCPRIM_400000_NS6detail17trampoline_kernelINS0_14default_configENS1_27upper_bound_config_selectorIalEEZNS1_14transform_implILb0ES3_S5_N6thrust23THRUST_200600_302600_NS6detail15normal_iteratorINS8_7pointerIaNS8_11hip_rocprim3tagENS8_11use_defaultESE_EEEENSA_INSB_IlSD_SE_SE_EEEEZNS1_13binary_searchIS3_S5_NSA_INS8_10device_ptrIaEEEESG_SI_NS1_21upper_bound_search_opENS9_16wrapped_functionINS8_7greaterIaEEbEEEE10hipError_tPvRmT1_T2_T3_mmT4_T5_P12ihipStream_tbEUlRKaE_EESS_SW_SX_mSY_S11_bEUlT_E_NS1_11comp_targetILNS1_3genE10ELNS1_11target_archE1201ELNS1_3gpuE5ELNS1_3repE0EEENS1_30default_config_static_selectorELNS0_4arch9wavefront6targetE0EEEvSV_
                                        ; -- End function
	.set _ZN7rocprim17ROCPRIM_400000_NS6detail17trampoline_kernelINS0_14default_configENS1_27upper_bound_config_selectorIalEEZNS1_14transform_implILb0ES3_S5_N6thrust23THRUST_200600_302600_NS6detail15normal_iteratorINS8_7pointerIaNS8_11hip_rocprim3tagENS8_11use_defaultESE_EEEENSA_INSB_IlSD_SE_SE_EEEEZNS1_13binary_searchIS3_S5_NSA_INS8_10device_ptrIaEEEESG_SI_NS1_21upper_bound_search_opENS9_16wrapped_functionINS8_7greaterIaEEbEEEE10hipError_tPvRmT1_T2_T3_mmT4_T5_P12ihipStream_tbEUlRKaE_EESS_SW_SX_mSY_S11_bEUlT_E_NS1_11comp_targetILNS1_3genE10ELNS1_11target_archE1201ELNS1_3gpuE5ELNS1_3repE0EEENS1_30default_config_static_selectorELNS0_4arch9wavefront6targetE0EEEvSV_.num_vgpr, 0
	.set _ZN7rocprim17ROCPRIM_400000_NS6detail17trampoline_kernelINS0_14default_configENS1_27upper_bound_config_selectorIalEEZNS1_14transform_implILb0ES3_S5_N6thrust23THRUST_200600_302600_NS6detail15normal_iteratorINS8_7pointerIaNS8_11hip_rocprim3tagENS8_11use_defaultESE_EEEENSA_INSB_IlSD_SE_SE_EEEEZNS1_13binary_searchIS3_S5_NSA_INS8_10device_ptrIaEEEESG_SI_NS1_21upper_bound_search_opENS9_16wrapped_functionINS8_7greaterIaEEbEEEE10hipError_tPvRmT1_T2_T3_mmT4_T5_P12ihipStream_tbEUlRKaE_EESS_SW_SX_mSY_S11_bEUlT_E_NS1_11comp_targetILNS1_3genE10ELNS1_11target_archE1201ELNS1_3gpuE5ELNS1_3repE0EEENS1_30default_config_static_selectorELNS0_4arch9wavefront6targetE0EEEvSV_.num_agpr, 0
	.set _ZN7rocprim17ROCPRIM_400000_NS6detail17trampoline_kernelINS0_14default_configENS1_27upper_bound_config_selectorIalEEZNS1_14transform_implILb0ES3_S5_N6thrust23THRUST_200600_302600_NS6detail15normal_iteratorINS8_7pointerIaNS8_11hip_rocprim3tagENS8_11use_defaultESE_EEEENSA_INSB_IlSD_SE_SE_EEEEZNS1_13binary_searchIS3_S5_NSA_INS8_10device_ptrIaEEEESG_SI_NS1_21upper_bound_search_opENS9_16wrapped_functionINS8_7greaterIaEEbEEEE10hipError_tPvRmT1_T2_T3_mmT4_T5_P12ihipStream_tbEUlRKaE_EESS_SW_SX_mSY_S11_bEUlT_E_NS1_11comp_targetILNS1_3genE10ELNS1_11target_archE1201ELNS1_3gpuE5ELNS1_3repE0EEENS1_30default_config_static_selectorELNS0_4arch9wavefront6targetE0EEEvSV_.numbered_sgpr, 0
	.set _ZN7rocprim17ROCPRIM_400000_NS6detail17trampoline_kernelINS0_14default_configENS1_27upper_bound_config_selectorIalEEZNS1_14transform_implILb0ES3_S5_N6thrust23THRUST_200600_302600_NS6detail15normal_iteratorINS8_7pointerIaNS8_11hip_rocprim3tagENS8_11use_defaultESE_EEEENSA_INSB_IlSD_SE_SE_EEEEZNS1_13binary_searchIS3_S5_NSA_INS8_10device_ptrIaEEEESG_SI_NS1_21upper_bound_search_opENS9_16wrapped_functionINS8_7greaterIaEEbEEEE10hipError_tPvRmT1_T2_T3_mmT4_T5_P12ihipStream_tbEUlRKaE_EESS_SW_SX_mSY_S11_bEUlT_E_NS1_11comp_targetILNS1_3genE10ELNS1_11target_archE1201ELNS1_3gpuE5ELNS1_3repE0EEENS1_30default_config_static_selectorELNS0_4arch9wavefront6targetE0EEEvSV_.num_named_barrier, 0
	.set _ZN7rocprim17ROCPRIM_400000_NS6detail17trampoline_kernelINS0_14default_configENS1_27upper_bound_config_selectorIalEEZNS1_14transform_implILb0ES3_S5_N6thrust23THRUST_200600_302600_NS6detail15normal_iteratorINS8_7pointerIaNS8_11hip_rocprim3tagENS8_11use_defaultESE_EEEENSA_INSB_IlSD_SE_SE_EEEEZNS1_13binary_searchIS3_S5_NSA_INS8_10device_ptrIaEEEESG_SI_NS1_21upper_bound_search_opENS9_16wrapped_functionINS8_7greaterIaEEbEEEE10hipError_tPvRmT1_T2_T3_mmT4_T5_P12ihipStream_tbEUlRKaE_EESS_SW_SX_mSY_S11_bEUlT_E_NS1_11comp_targetILNS1_3genE10ELNS1_11target_archE1201ELNS1_3gpuE5ELNS1_3repE0EEENS1_30default_config_static_selectorELNS0_4arch9wavefront6targetE0EEEvSV_.private_seg_size, 0
	.set _ZN7rocprim17ROCPRIM_400000_NS6detail17trampoline_kernelINS0_14default_configENS1_27upper_bound_config_selectorIalEEZNS1_14transform_implILb0ES3_S5_N6thrust23THRUST_200600_302600_NS6detail15normal_iteratorINS8_7pointerIaNS8_11hip_rocprim3tagENS8_11use_defaultESE_EEEENSA_INSB_IlSD_SE_SE_EEEEZNS1_13binary_searchIS3_S5_NSA_INS8_10device_ptrIaEEEESG_SI_NS1_21upper_bound_search_opENS9_16wrapped_functionINS8_7greaterIaEEbEEEE10hipError_tPvRmT1_T2_T3_mmT4_T5_P12ihipStream_tbEUlRKaE_EESS_SW_SX_mSY_S11_bEUlT_E_NS1_11comp_targetILNS1_3genE10ELNS1_11target_archE1201ELNS1_3gpuE5ELNS1_3repE0EEENS1_30default_config_static_selectorELNS0_4arch9wavefront6targetE0EEEvSV_.uses_vcc, 0
	.set _ZN7rocprim17ROCPRIM_400000_NS6detail17trampoline_kernelINS0_14default_configENS1_27upper_bound_config_selectorIalEEZNS1_14transform_implILb0ES3_S5_N6thrust23THRUST_200600_302600_NS6detail15normal_iteratorINS8_7pointerIaNS8_11hip_rocprim3tagENS8_11use_defaultESE_EEEENSA_INSB_IlSD_SE_SE_EEEEZNS1_13binary_searchIS3_S5_NSA_INS8_10device_ptrIaEEEESG_SI_NS1_21upper_bound_search_opENS9_16wrapped_functionINS8_7greaterIaEEbEEEE10hipError_tPvRmT1_T2_T3_mmT4_T5_P12ihipStream_tbEUlRKaE_EESS_SW_SX_mSY_S11_bEUlT_E_NS1_11comp_targetILNS1_3genE10ELNS1_11target_archE1201ELNS1_3gpuE5ELNS1_3repE0EEENS1_30default_config_static_selectorELNS0_4arch9wavefront6targetE0EEEvSV_.uses_flat_scratch, 0
	.set _ZN7rocprim17ROCPRIM_400000_NS6detail17trampoline_kernelINS0_14default_configENS1_27upper_bound_config_selectorIalEEZNS1_14transform_implILb0ES3_S5_N6thrust23THRUST_200600_302600_NS6detail15normal_iteratorINS8_7pointerIaNS8_11hip_rocprim3tagENS8_11use_defaultESE_EEEENSA_INSB_IlSD_SE_SE_EEEEZNS1_13binary_searchIS3_S5_NSA_INS8_10device_ptrIaEEEESG_SI_NS1_21upper_bound_search_opENS9_16wrapped_functionINS8_7greaterIaEEbEEEE10hipError_tPvRmT1_T2_T3_mmT4_T5_P12ihipStream_tbEUlRKaE_EESS_SW_SX_mSY_S11_bEUlT_E_NS1_11comp_targetILNS1_3genE10ELNS1_11target_archE1201ELNS1_3gpuE5ELNS1_3repE0EEENS1_30default_config_static_selectorELNS0_4arch9wavefront6targetE0EEEvSV_.has_dyn_sized_stack, 0
	.set _ZN7rocprim17ROCPRIM_400000_NS6detail17trampoline_kernelINS0_14default_configENS1_27upper_bound_config_selectorIalEEZNS1_14transform_implILb0ES3_S5_N6thrust23THRUST_200600_302600_NS6detail15normal_iteratorINS8_7pointerIaNS8_11hip_rocprim3tagENS8_11use_defaultESE_EEEENSA_INSB_IlSD_SE_SE_EEEEZNS1_13binary_searchIS3_S5_NSA_INS8_10device_ptrIaEEEESG_SI_NS1_21upper_bound_search_opENS9_16wrapped_functionINS8_7greaterIaEEbEEEE10hipError_tPvRmT1_T2_T3_mmT4_T5_P12ihipStream_tbEUlRKaE_EESS_SW_SX_mSY_S11_bEUlT_E_NS1_11comp_targetILNS1_3genE10ELNS1_11target_archE1201ELNS1_3gpuE5ELNS1_3repE0EEENS1_30default_config_static_selectorELNS0_4arch9wavefront6targetE0EEEvSV_.has_recursion, 0
	.set _ZN7rocprim17ROCPRIM_400000_NS6detail17trampoline_kernelINS0_14default_configENS1_27upper_bound_config_selectorIalEEZNS1_14transform_implILb0ES3_S5_N6thrust23THRUST_200600_302600_NS6detail15normal_iteratorINS8_7pointerIaNS8_11hip_rocprim3tagENS8_11use_defaultESE_EEEENSA_INSB_IlSD_SE_SE_EEEEZNS1_13binary_searchIS3_S5_NSA_INS8_10device_ptrIaEEEESG_SI_NS1_21upper_bound_search_opENS9_16wrapped_functionINS8_7greaterIaEEbEEEE10hipError_tPvRmT1_T2_T3_mmT4_T5_P12ihipStream_tbEUlRKaE_EESS_SW_SX_mSY_S11_bEUlT_E_NS1_11comp_targetILNS1_3genE10ELNS1_11target_archE1201ELNS1_3gpuE5ELNS1_3repE0EEENS1_30default_config_static_selectorELNS0_4arch9wavefront6targetE0EEEvSV_.has_indirect_call, 0
	.section	.AMDGPU.csdata,"",@progbits
; Kernel info:
; codeLenInByte = 0
; TotalNumSgprs: 0
; NumVgprs: 0
; ScratchSize: 0
; MemoryBound: 0
; FloatMode: 240
; IeeeMode: 1
; LDSByteSize: 0 bytes/workgroup (compile time only)
; SGPRBlocks: 0
; VGPRBlocks: 0
; NumSGPRsForWavesPerEU: 1
; NumVGPRsForWavesPerEU: 1
; NamedBarCnt: 0
; Occupancy: 16
; WaveLimiterHint : 0
; COMPUTE_PGM_RSRC2:SCRATCH_EN: 0
; COMPUTE_PGM_RSRC2:USER_SGPR: 2
; COMPUTE_PGM_RSRC2:TRAP_HANDLER: 0
; COMPUTE_PGM_RSRC2:TGID_X_EN: 1
; COMPUTE_PGM_RSRC2:TGID_Y_EN: 0
; COMPUTE_PGM_RSRC2:TGID_Z_EN: 0
; COMPUTE_PGM_RSRC2:TIDIG_COMP_CNT: 0
	.section	.text._ZN7rocprim17ROCPRIM_400000_NS6detail17trampoline_kernelINS0_14default_configENS1_27upper_bound_config_selectorIalEEZNS1_14transform_implILb0ES3_S5_N6thrust23THRUST_200600_302600_NS6detail15normal_iteratorINS8_7pointerIaNS8_11hip_rocprim3tagENS8_11use_defaultESE_EEEENSA_INSB_IlSD_SE_SE_EEEEZNS1_13binary_searchIS3_S5_NSA_INS8_10device_ptrIaEEEESG_SI_NS1_21upper_bound_search_opENS9_16wrapped_functionINS8_7greaterIaEEbEEEE10hipError_tPvRmT1_T2_T3_mmT4_T5_P12ihipStream_tbEUlRKaE_EESS_SW_SX_mSY_S11_bEUlT_E_NS1_11comp_targetILNS1_3genE10ELNS1_11target_archE1200ELNS1_3gpuE4ELNS1_3repE0EEENS1_30default_config_static_selectorELNS0_4arch9wavefront6targetE0EEEvSV_,"axG",@progbits,_ZN7rocprim17ROCPRIM_400000_NS6detail17trampoline_kernelINS0_14default_configENS1_27upper_bound_config_selectorIalEEZNS1_14transform_implILb0ES3_S5_N6thrust23THRUST_200600_302600_NS6detail15normal_iteratorINS8_7pointerIaNS8_11hip_rocprim3tagENS8_11use_defaultESE_EEEENSA_INSB_IlSD_SE_SE_EEEEZNS1_13binary_searchIS3_S5_NSA_INS8_10device_ptrIaEEEESG_SI_NS1_21upper_bound_search_opENS9_16wrapped_functionINS8_7greaterIaEEbEEEE10hipError_tPvRmT1_T2_T3_mmT4_T5_P12ihipStream_tbEUlRKaE_EESS_SW_SX_mSY_S11_bEUlT_E_NS1_11comp_targetILNS1_3genE10ELNS1_11target_archE1200ELNS1_3gpuE4ELNS1_3repE0EEENS1_30default_config_static_selectorELNS0_4arch9wavefront6targetE0EEEvSV_,comdat
	.protected	_ZN7rocprim17ROCPRIM_400000_NS6detail17trampoline_kernelINS0_14default_configENS1_27upper_bound_config_selectorIalEEZNS1_14transform_implILb0ES3_S5_N6thrust23THRUST_200600_302600_NS6detail15normal_iteratorINS8_7pointerIaNS8_11hip_rocprim3tagENS8_11use_defaultESE_EEEENSA_INSB_IlSD_SE_SE_EEEEZNS1_13binary_searchIS3_S5_NSA_INS8_10device_ptrIaEEEESG_SI_NS1_21upper_bound_search_opENS9_16wrapped_functionINS8_7greaterIaEEbEEEE10hipError_tPvRmT1_T2_T3_mmT4_T5_P12ihipStream_tbEUlRKaE_EESS_SW_SX_mSY_S11_bEUlT_E_NS1_11comp_targetILNS1_3genE10ELNS1_11target_archE1200ELNS1_3gpuE4ELNS1_3repE0EEENS1_30default_config_static_selectorELNS0_4arch9wavefront6targetE0EEEvSV_ ; -- Begin function _ZN7rocprim17ROCPRIM_400000_NS6detail17trampoline_kernelINS0_14default_configENS1_27upper_bound_config_selectorIalEEZNS1_14transform_implILb0ES3_S5_N6thrust23THRUST_200600_302600_NS6detail15normal_iteratorINS8_7pointerIaNS8_11hip_rocprim3tagENS8_11use_defaultESE_EEEENSA_INSB_IlSD_SE_SE_EEEEZNS1_13binary_searchIS3_S5_NSA_INS8_10device_ptrIaEEEESG_SI_NS1_21upper_bound_search_opENS9_16wrapped_functionINS8_7greaterIaEEbEEEE10hipError_tPvRmT1_T2_T3_mmT4_T5_P12ihipStream_tbEUlRKaE_EESS_SW_SX_mSY_S11_bEUlT_E_NS1_11comp_targetILNS1_3genE10ELNS1_11target_archE1200ELNS1_3gpuE4ELNS1_3repE0EEENS1_30default_config_static_selectorELNS0_4arch9wavefront6targetE0EEEvSV_
	.globl	_ZN7rocprim17ROCPRIM_400000_NS6detail17trampoline_kernelINS0_14default_configENS1_27upper_bound_config_selectorIalEEZNS1_14transform_implILb0ES3_S5_N6thrust23THRUST_200600_302600_NS6detail15normal_iteratorINS8_7pointerIaNS8_11hip_rocprim3tagENS8_11use_defaultESE_EEEENSA_INSB_IlSD_SE_SE_EEEEZNS1_13binary_searchIS3_S5_NSA_INS8_10device_ptrIaEEEESG_SI_NS1_21upper_bound_search_opENS9_16wrapped_functionINS8_7greaterIaEEbEEEE10hipError_tPvRmT1_T2_T3_mmT4_T5_P12ihipStream_tbEUlRKaE_EESS_SW_SX_mSY_S11_bEUlT_E_NS1_11comp_targetILNS1_3genE10ELNS1_11target_archE1200ELNS1_3gpuE4ELNS1_3repE0EEENS1_30default_config_static_selectorELNS0_4arch9wavefront6targetE0EEEvSV_
	.p2align	8
	.type	_ZN7rocprim17ROCPRIM_400000_NS6detail17trampoline_kernelINS0_14default_configENS1_27upper_bound_config_selectorIalEEZNS1_14transform_implILb0ES3_S5_N6thrust23THRUST_200600_302600_NS6detail15normal_iteratorINS8_7pointerIaNS8_11hip_rocprim3tagENS8_11use_defaultESE_EEEENSA_INSB_IlSD_SE_SE_EEEEZNS1_13binary_searchIS3_S5_NSA_INS8_10device_ptrIaEEEESG_SI_NS1_21upper_bound_search_opENS9_16wrapped_functionINS8_7greaterIaEEbEEEE10hipError_tPvRmT1_T2_T3_mmT4_T5_P12ihipStream_tbEUlRKaE_EESS_SW_SX_mSY_S11_bEUlT_E_NS1_11comp_targetILNS1_3genE10ELNS1_11target_archE1200ELNS1_3gpuE4ELNS1_3repE0EEENS1_30default_config_static_selectorELNS0_4arch9wavefront6targetE0EEEvSV_,@function
_ZN7rocprim17ROCPRIM_400000_NS6detail17trampoline_kernelINS0_14default_configENS1_27upper_bound_config_selectorIalEEZNS1_14transform_implILb0ES3_S5_N6thrust23THRUST_200600_302600_NS6detail15normal_iteratorINS8_7pointerIaNS8_11hip_rocprim3tagENS8_11use_defaultESE_EEEENSA_INSB_IlSD_SE_SE_EEEEZNS1_13binary_searchIS3_S5_NSA_INS8_10device_ptrIaEEEESG_SI_NS1_21upper_bound_search_opENS9_16wrapped_functionINS8_7greaterIaEEbEEEE10hipError_tPvRmT1_T2_T3_mmT4_T5_P12ihipStream_tbEUlRKaE_EESS_SW_SX_mSY_S11_bEUlT_E_NS1_11comp_targetILNS1_3genE10ELNS1_11target_archE1200ELNS1_3gpuE4ELNS1_3repE0EEENS1_30default_config_static_selectorELNS0_4arch9wavefront6targetE0EEEvSV_: ; @_ZN7rocprim17ROCPRIM_400000_NS6detail17trampoline_kernelINS0_14default_configENS1_27upper_bound_config_selectorIalEEZNS1_14transform_implILb0ES3_S5_N6thrust23THRUST_200600_302600_NS6detail15normal_iteratorINS8_7pointerIaNS8_11hip_rocprim3tagENS8_11use_defaultESE_EEEENSA_INSB_IlSD_SE_SE_EEEEZNS1_13binary_searchIS3_S5_NSA_INS8_10device_ptrIaEEEESG_SI_NS1_21upper_bound_search_opENS9_16wrapped_functionINS8_7greaterIaEEbEEEE10hipError_tPvRmT1_T2_T3_mmT4_T5_P12ihipStream_tbEUlRKaE_EESS_SW_SX_mSY_S11_bEUlT_E_NS1_11comp_targetILNS1_3genE10ELNS1_11target_archE1200ELNS1_3gpuE4ELNS1_3repE0EEENS1_30default_config_static_selectorELNS0_4arch9wavefront6targetE0EEEvSV_
; %bb.0:
	.section	.rodata,"a",@progbits
	.p2align	6, 0x0
	.amdhsa_kernel _ZN7rocprim17ROCPRIM_400000_NS6detail17trampoline_kernelINS0_14default_configENS1_27upper_bound_config_selectorIalEEZNS1_14transform_implILb0ES3_S5_N6thrust23THRUST_200600_302600_NS6detail15normal_iteratorINS8_7pointerIaNS8_11hip_rocprim3tagENS8_11use_defaultESE_EEEENSA_INSB_IlSD_SE_SE_EEEEZNS1_13binary_searchIS3_S5_NSA_INS8_10device_ptrIaEEEESG_SI_NS1_21upper_bound_search_opENS9_16wrapped_functionINS8_7greaterIaEEbEEEE10hipError_tPvRmT1_T2_T3_mmT4_T5_P12ihipStream_tbEUlRKaE_EESS_SW_SX_mSY_S11_bEUlT_E_NS1_11comp_targetILNS1_3genE10ELNS1_11target_archE1200ELNS1_3gpuE4ELNS1_3repE0EEENS1_30default_config_static_selectorELNS0_4arch9wavefront6targetE0EEEvSV_
		.amdhsa_group_segment_fixed_size 0
		.amdhsa_private_segment_fixed_size 0
		.amdhsa_kernarg_size 56
		.amdhsa_user_sgpr_count 2
		.amdhsa_user_sgpr_dispatch_ptr 0
		.amdhsa_user_sgpr_queue_ptr 0
		.amdhsa_user_sgpr_kernarg_segment_ptr 1
		.amdhsa_user_sgpr_dispatch_id 0
		.amdhsa_user_sgpr_kernarg_preload_length 0
		.amdhsa_user_sgpr_kernarg_preload_offset 0
		.amdhsa_user_sgpr_private_segment_size 0
		.amdhsa_wavefront_size32 1
		.amdhsa_uses_dynamic_stack 0
		.amdhsa_enable_private_segment 0
		.amdhsa_system_sgpr_workgroup_id_x 1
		.amdhsa_system_sgpr_workgroup_id_y 0
		.amdhsa_system_sgpr_workgroup_id_z 0
		.amdhsa_system_sgpr_workgroup_info 0
		.amdhsa_system_vgpr_workitem_id 0
		.amdhsa_next_free_vgpr 1
		.amdhsa_next_free_sgpr 1
		.amdhsa_named_barrier_count 0
		.amdhsa_reserve_vcc 0
		.amdhsa_float_round_mode_32 0
		.amdhsa_float_round_mode_16_64 0
		.amdhsa_float_denorm_mode_32 3
		.amdhsa_float_denorm_mode_16_64 3
		.amdhsa_fp16_overflow 0
		.amdhsa_memory_ordered 1
		.amdhsa_forward_progress 1
		.amdhsa_inst_pref_size 0
		.amdhsa_round_robin_scheduling 0
		.amdhsa_exception_fp_ieee_invalid_op 0
		.amdhsa_exception_fp_denorm_src 0
		.amdhsa_exception_fp_ieee_div_zero 0
		.amdhsa_exception_fp_ieee_overflow 0
		.amdhsa_exception_fp_ieee_underflow 0
		.amdhsa_exception_fp_ieee_inexact 0
		.amdhsa_exception_int_div_zero 0
	.end_amdhsa_kernel
	.section	.text._ZN7rocprim17ROCPRIM_400000_NS6detail17trampoline_kernelINS0_14default_configENS1_27upper_bound_config_selectorIalEEZNS1_14transform_implILb0ES3_S5_N6thrust23THRUST_200600_302600_NS6detail15normal_iteratorINS8_7pointerIaNS8_11hip_rocprim3tagENS8_11use_defaultESE_EEEENSA_INSB_IlSD_SE_SE_EEEEZNS1_13binary_searchIS3_S5_NSA_INS8_10device_ptrIaEEEESG_SI_NS1_21upper_bound_search_opENS9_16wrapped_functionINS8_7greaterIaEEbEEEE10hipError_tPvRmT1_T2_T3_mmT4_T5_P12ihipStream_tbEUlRKaE_EESS_SW_SX_mSY_S11_bEUlT_E_NS1_11comp_targetILNS1_3genE10ELNS1_11target_archE1200ELNS1_3gpuE4ELNS1_3repE0EEENS1_30default_config_static_selectorELNS0_4arch9wavefront6targetE0EEEvSV_,"axG",@progbits,_ZN7rocprim17ROCPRIM_400000_NS6detail17trampoline_kernelINS0_14default_configENS1_27upper_bound_config_selectorIalEEZNS1_14transform_implILb0ES3_S5_N6thrust23THRUST_200600_302600_NS6detail15normal_iteratorINS8_7pointerIaNS8_11hip_rocprim3tagENS8_11use_defaultESE_EEEENSA_INSB_IlSD_SE_SE_EEEEZNS1_13binary_searchIS3_S5_NSA_INS8_10device_ptrIaEEEESG_SI_NS1_21upper_bound_search_opENS9_16wrapped_functionINS8_7greaterIaEEbEEEE10hipError_tPvRmT1_T2_T3_mmT4_T5_P12ihipStream_tbEUlRKaE_EESS_SW_SX_mSY_S11_bEUlT_E_NS1_11comp_targetILNS1_3genE10ELNS1_11target_archE1200ELNS1_3gpuE4ELNS1_3repE0EEENS1_30default_config_static_selectorELNS0_4arch9wavefront6targetE0EEEvSV_,comdat
.Lfunc_end83:
	.size	_ZN7rocprim17ROCPRIM_400000_NS6detail17trampoline_kernelINS0_14default_configENS1_27upper_bound_config_selectorIalEEZNS1_14transform_implILb0ES3_S5_N6thrust23THRUST_200600_302600_NS6detail15normal_iteratorINS8_7pointerIaNS8_11hip_rocprim3tagENS8_11use_defaultESE_EEEENSA_INSB_IlSD_SE_SE_EEEEZNS1_13binary_searchIS3_S5_NSA_INS8_10device_ptrIaEEEESG_SI_NS1_21upper_bound_search_opENS9_16wrapped_functionINS8_7greaterIaEEbEEEE10hipError_tPvRmT1_T2_T3_mmT4_T5_P12ihipStream_tbEUlRKaE_EESS_SW_SX_mSY_S11_bEUlT_E_NS1_11comp_targetILNS1_3genE10ELNS1_11target_archE1200ELNS1_3gpuE4ELNS1_3repE0EEENS1_30default_config_static_selectorELNS0_4arch9wavefront6targetE0EEEvSV_, .Lfunc_end83-_ZN7rocprim17ROCPRIM_400000_NS6detail17trampoline_kernelINS0_14default_configENS1_27upper_bound_config_selectorIalEEZNS1_14transform_implILb0ES3_S5_N6thrust23THRUST_200600_302600_NS6detail15normal_iteratorINS8_7pointerIaNS8_11hip_rocprim3tagENS8_11use_defaultESE_EEEENSA_INSB_IlSD_SE_SE_EEEEZNS1_13binary_searchIS3_S5_NSA_INS8_10device_ptrIaEEEESG_SI_NS1_21upper_bound_search_opENS9_16wrapped_functionINS8_7greaterIaEEbEEEE10hipError_tPvRmT1_T2_T3_mmT4_T5_P12ihipStream_tbEUlRKaE_EESS_SW_SX_mSY_S11_bEUlT_E_NS1_11comp_targetILNS1_3genE10ELNS1_11target_archE1200ELNS1_3gpuE4ELNS1_3repE0EEENS1_30default_config_static_selectorELNS0_4arch9wavefront6targetE0EEEvSV_
                                        ; -- End function
	.set _ZN7rocprim17ROCPRIM_400000_NS6detail17trampoline_kernelINS0_14default_configENS1_27upper_bound_config_selectorIalEEZNS1_14transform_implILb0ES3_S5_N6thrust23THRUST_200600_302600_NS6detail15normal_iteratorINS8_7pointerIaNS8_11hip_rocprim3tagENS8_11use_defaultESE_EEEENSA_INSB_IlSD_SE_SE_EEEEZNS1_13binary_searchIS3_S5_NSA_INS8_10device_ptrIaEEEESG_SI_NS1_21upper_bound_search_opENS9_16wrapped_functionINS8_7greaterIaEEbEEEE10hipError_tPvRmT1_T2_T3_mmT4_T5_P12ihipStream_tbEUlRKaE_EESS_SW_SX_mSY_S11_bEUlT_E_NS1_11comp_targetILNS1_3genE10ELNS1_11target_archE1200ELNS1_3gpuE4ELNS1_3repE0EEENS1_30default_config_static_selectorELNS0_4arch9wavefront6targetE0EEEvSV_.num_vgpr, 0
	.set _ZN7rocprim17ROCPRIM_400000_NS6detail17trampoline_kernelINS0_14default_configENS1_27upper_bound_config_selectorIalEEZNS1_14transform_implILb0ES3_S5_N6thrust23THRUST_200600_302600_NS6detail15normal_iteratorINS8_7pointerIaNS8_11hip_rocprim3tagENS8_11use_defaultESE_EEEENSA_INSB_IlSD_SE_SE_EEEEZNS1_13binary_searchIS3_S5_NSA_INS8_10device_ptrIaEEEESG_SI_NS1_21upper_bound_search_opENS9_16wrapped_functionINS8_7greaterIaEEbEEEE10hipError_tPvRmT1_T2_T3_mmT4_T5_P12ihipStream_tbEUlRKaE_EESS_SW_SX_mSY_S11_bEUlT_E_NS1_11comp_targetILNS1_3genE10ELNS1_11target_archE1200ELNS1_3gpuE4ELNS1_3repE0EEENS1_30default_config_static_selectorELNS0_4arch9wavefront6targetE0EEEvSV_.num_agpr, 0
	.set _ZN7rocprim17ROCPRIM_400000_NS6detail17trampoline_kernelINS0_14default_configENS1_27upper_bound_config_selectorIalEEZNS1_14transform_implILb0ES3_S5_N6thrust23THRUST_200600_302600_NS6detail15normal_iteratorINS8_7pointerIaNS8_11hip_rocprim3tagENS8_11use_defaultESE_EEEENSA_INSB_IlSD_SE_SE_EEEEZNS1_13binary_searchIS3_S5_NSA_INS8_10device_ptrIaEEEESG_SI_NS1_21upper_bound_search_opENS9_16wrapped_functionINS8_7greaterIaEEbEEEE10hipError_tPvRmT1_T2_T3_mmT4_T5_P12ihipStream_tbEUlRKaE_EESS_SW_SX_mSY_S11_bEUlT_E_NS1_11comp_targetILNS1_3genE10ELNS1_11target_archE1200ELNS1_3gpuE4ELNS1_3repE0EEENS1_30default_config_static_selectorELNS0_4arch9wavefront6targetE0EEEvSV_.numbered_sgpr, 0
	.set _ZN7rocprim17ROCPRIM_400000_NS6detail17trampoline_kernelINS0_14default_configENS1_27upper_bound_config_selectorIalEEZNS1_14transform_implILb0ES3_S5_N6thrust23THRUST_200600_302600_NS6detail15normal_iteratorINS8_7pointerIaNS8_11hip_rocprim3tagENS8_11use_defaultESE_EEEENSA_INSB_IlSD_SE_SE_EEEEZNS1_13binary_searchIS3_S5_NSA_INS8_10device_ptrIaEEEESG_SI_NS1_21upper_bound_search_opENS9_16wrapped_functionINS8_7greaterIaEEbEEEE10hipError_tPvRmT1_T2_T3_mmT4_T5_P12ihipStream_tbEUlRKaE_EESS_SW_SX_mSY_S11_bEUlT_E_NS1_11comp_targetILNS1_3genE10ELNS1_11target_archE1200ELNS1_3gpuE4ELNS1_3repE0EEENS1_30default_config_static_selectorELNS0_4arch9wavefront6targetE0EEEvSV_.num_named_barrier, 0
	.set _ZN7rocprim17ROCPRIM_400000_NS6detail17trampoline_kernelINS0_14default_configENS1_27upper_bound_config_selectorIalEEZNS1_14transform_implILb0ES3_S5_N6thrust23THRUST_200600_302600_NS6detail15normal_iteratorINS8_7pointerIaNS8_11hip_rocprim3tagENS8_11use_defaultESE_EEEENSA_INSB_IlSD_SE_SE_EEEEZNS1_13binary_searchIS3_S5_NSA_INS8_10device_ptrIaEEEESG_SI_NS1_21upper_bound_search_opENS9_16wrapped_functionINS8_7greaterIaEEbEEEE10hipError_tPvRmT1_T2_T3_mmT4_T5_P12ihipStream_tbEUlRKaE_EESS_SW_SX_mSY_S11_bEUlT_E_NS1_11comp_targetILNS1_3genE10ELNS1_11target_archE1200ELNS1_3gpuE4ELNS1_3repE0EEENS1_30default_config_static_selectorELNS0_4arch9wavefront6targetE0EEEvSV_.private_seg_size, 0
	.set _ZN7rocprim17ROCPRIM_400000_NS6detail17trampoline_kernelINS0_14default_configENS1_27upper_bound_config_selectorIalEEZNS1_14transform_implILb0ES3_S5_N6thrust23THRUST_200600_302600_NS6detail15normal_iteratorINS8_7pointerIaNS8_11hip_rocprim3tagENS8_11use_defaultESE_EEEENSA_INSB_IlSD_SE_SE_EEEEZNS1_13binary_searchIS3_S5_NSA_INS8_10device_ptrIaEEEESG_SI_NS1_21upper_bound_search_opENS9_16wrapped_functionINS8_7greaterIaEEbEEEE10hipError_tPvRmT1_T2_T3_mmT4_T5_P12ihipStream_tbEUlRKaE_EESS_SW_SX_mSY_S11_bEUlT_E_NS1_11comp_targetILNS1_3genE10ELNS1_11target_archE1200ELNS1_3gpuE4ELNS1_3repE0EEENS1_30default_config_static_selectorELNS0_4arch9wavefront6targetE0EEEvSV_.uses_vcc, 0
	.set _ZN7rocprim17ROCPRIM_400000_NS6detail17trampoline_kernelINS0_14default_configENS1_27upper_bound_config_selectorIalEEZNS1_14transform_implILb0ES3_S5_N6thrust23THRUST_200600_302600_NS6detail15normal_iteratorINS8_7pointerIaNS8_11hip_rocprim3tagENS8_11use_defaultESE_EEEENSA_INSB_IlSD_SE_SE_EEEEZNS1_13binary_searchIS3_S5_NSA_INS8_10device_ptrIaEEEESG_SI_NS1_21upper_bound_search_opENS9_16wrapped_functionINS8_7greaterIaEEbEEEE10hipError_tPvRmT1_T2_T3_mmT4_T5_P12ihipStream_tbEUlRKaE_EESS_SW_SX_mSY_S11_bEUlT_E_NS1_11comp_targetILNS1_3genE10ELNS1_11target_archE1200ELNS1_3gpuE4ELNS1_3repE0EEENS1_30default_config_static_selectorELNS0_4arch9wavefront6targetE0EEEvSV_.uses_flat_scratch, 0
	.set _ZN7rocprim17ROCPRIM_400000_NS6detail17trampoline_kernelINS0_14default_configENS1_27upper_bound_config_selectorIalEEZNS1_14transform_implILb0ES3_S5_N6thrust23THRUST_200600_302600_NS6detail15normal_iteratorINS8_7pointerIaNS8_11hip_rocprim3tagENS8_11use_defaultESE_EEEENSA_INSB_IlSD_SE_SE_EEEEZNS1_13binary_searchIS3_S5_NSA_INS8_10device_ptrIaEEEESG_SI_NS1_21upper_bound_search_opENS9_16wrapped_functionINS8_7greaterIaEEbEEEE10hipError_tPvRmT1_T2_T3_mmT4_T5_P12ihipStream_tbEUlRKaE_EESS_SW_SX_mSY_S11_bEUlT_E_NS1_11comp_targetILNS1_3genE10ELNS1_11target_archE1200ELNS1_3gpuE4ELNS1_3repE0EEENS1_30default_config_static_selectorELNS0_4arch9wavefront6targetE0EEEvSV_.has_dyn_sized_stack, 0
	.set _ZN7rocprim17ROCPRIM_400000_NS6detail17trampoline_kernelINS0_14default_configENS1_27upper_bound_config_selectorIalEEZNS1_14transform_implILb0ES3_S5_N6thrust23THRUST_200600_302600_NS6detail15normal_iteratorINS8_7pointerIaNS8_11hip_rocprim3tagENS8_11use_defaultESE_EEEENSA_INSB_IlSD_SE_SE_EEEEZNS1_13binary_searchIS3_S5_NSA_INS8_10device_ptrIaEEEESG_SI_NS1_21upper_bound_search_opENS9_16wrapped_functionINS8_7greaterIaEEbEEEE10hipError_tPvRmT1_T2_T3_mmT4_T5_P12ihipStream_tbEUlRKaE_EESS_SW_SX_mSY_S11_bEUlT_E_NS1_11comp_targetILNS1_3genE10ELNS1_11target_archE1200ELNS1_3gpuE4ELNS1_3repE0EEENS1_30default_config_static_selectorELNS0_4arch9wavefront6targetE0EEEvSV_.has_recursion, 0
	.set _ZN7rocprim17ROCPRIM_400000_NS6detail17trampoline_kernelINS0_14default_configENS1_27upper_bound_config_selectorIalEEZNS1_14transform_implILb0ES3_S5_N6thrust23THRUST_200600_302600_NS6detail15normal_iteratorINS8_7pointerIaNS8_11hip_rocprim3tagENS8_11use_defaultESE_EEEENSA_INSB_IlSD_SE_SE_EEEEZNS1_13binary_searchIS3_S5_NSA_INS8_10device_ptrIaEEEESG_SI_NS1_21upper_bound_search_opENS9_16wrapped_functionINS8_7greaterIaEEbEEEE10hipError_tPvRmT1_T2_T3_mmT4_T5_P12ihipStream_tbEUlRKaE_EESS_SW_SX_mSY_S11_bEUlT_E_NS1_11comp_targetILNS1_3genE10ELNS1_11target_archE1200ELNS1_3gpuE4ELNS1_3repE0EEENS1_30default_config_static_selectorELNS0_4arch9wavefront6targetE0EEEvSV_.has_indirect_call, 0
	.section	.AMDGPU.csdata,"",@progbits
; Kernel info:
; codeLenInByte = 0
; TotalNumSgprs: 0
; NumVgprs: 0
; ScratchSize: 0
; MemoryBound: 0
; FloatMode: 240
; IeeeMode: 1
; LDSByteSize: 0 bytes/workgroup (compile time only)
; SGPRBlocks: 0
; VGPRBlocks: 0
; NumSGPRsForWavesPerEU: 1
; NumVGPRsForWavesPerEU: 1
; NamedBarCnt: 0
; Occupancy: 16
; WaveLimiterHint : 0
; COMPUTE_PGM_RSRC2:SCRATCH_EN: 0
; COMPUTE_PGM_RSRC2:USER_SGPR: 2
; COMPUTE_PGM_RSRC2:TRAP_HANDLER: 0
; COMPUTE_PGM_RSRC2:TGID_X_EN: 1
; COMPUTE_PGM_RSRC2:TGID_Y_EN: 0
; COMPUTE_PGM_RSRC2:TGID_Z_EN: 0
; COMPUTE_PGM_RSRC2:TIDIG_COMP_CNT: 0
	.section	.text._ZN7rocprim17ROCPRIM_400000_NS6detail17trampoline_kernelINS0_14default_configENS1_27upper_bound_config_selectorIalEEZNS1_14transform_implILb0ES3_S5_N6thrust23THRUST_200600_302600_NS6detail15normal_iteratorINS8_7pointerIaNS8_11hip_rocprim3tagENS8_11use_defaultESE_EEEENSA_INSB_IlSD_SE_SE_EEEEZNS1_13binary_searchIS3_S5_NSA_INS8_10device_ptrIaEEEESG_SI_NS1_21upper_bound_search_opENS9_16wrapped_functionINS8_7greaterIaEEbEEEE10hipError_tPvRmT1_T2_T3_mmT4_T5_P12ihipStream_tbEUlRKaE_EESS_SW_SX_mSY_S11_bEUlT_E_NS1_11comp_targetILNS1_3genE9ELNS1_11target_archE1100ELNS1_3gpuE3ELNS1_3repE0EEENS1_30default_config_static_selectorELNS0_4arch9wavefront6targetE0EEEvSV_,"axG",@progbits,_ZN7rocprim17ROCPRIM_400000_NS6detail17trampoline_kernelINS0_14default_configENS1_27upper_bound_config_selectorIalEEZNS1_14transform_implILb0ES3_S5_N6thrust23THRUST_200600_302600_NS6detail15normal_iteratorINS8_7pointerIaNS8_11hip_rocprim3tagENS8_11use_defaultESE_EEEENSA_INSB_IlSD_SE_SE_EEEEZNS1_13binary_searchIS3_S5_NSA_INS8_10device_ptrIaEEEESG_SI_NS1_21upper_bound_search_opENS9_16wrapped_functionINS8_7greaterIaEEbEEEE10hipError_tPvRmT1_T2_T3_mmT4_T5_P12ihipStream_tbEUlRKaE_EESS_SW_SX_mSY_S11_bEUlT_E_NS1_11comp_targetILNS1_3genE9ELNS1_11target_archE1100ELNS1_3gpuE3ELNS1_3repE0EEENS1_30default_config_static_selectorELNS0_4arch9wavefront6targetE0EEEvSV_,comdat
	.protected	_ZN7rocprim17ROCPRIM_400000_NS6detail17trampoline_kernelINS0_14default_configENS1_27upper_bound_config_selectorIalEEZNS1_14transform_implILb0ES3_S5_N6thrust23THRUST_200600_302600_NS6detail15normal_iteratorINS8_7pointerIaNS8_11hip_rocprim3tagENS8_11use_defaultESE_EEEENSA_INSB_IlSD_SE_SE_EEEEZNS1_13binary_searchIS3_S5_NSA_INS8_10device_ptrIaEEEESG_SI_NS1_21upper_bound_search_opENS9_16wrapped_functionINS8_7greaterIaEEbEEEE10hipError_tPvRmT1_T2_T3_mmT4_T5_P12ihipStream_tbEUlRKaE_EESS_SW_SX_mSY_S11_bEUlT_E_NS1_11comp_targetILNS1_3genE9ELNS1_11target_archE1100ELNS1_3gpuE3ELNS1_3repE0EEENS1_30default_config_static_selectorELNS0_4arch9wavefront6targetE0EEEvSV_ ; -- Begin function _ZN7rocprim17ROCPRIM_400000_NS6detail17trampoline_kernelINS0_14default_configENS1_27upper_bound_config_selectorIalEEZNS1_14transform_implILb0ES3_S5_N6thrust23THRUST_200600_302600_NS6detail15normal_iteratorINS8_7pointerIaNS8_11hip_rocprim3tagENS8_11use_defaultESE_EEEENSA_INSB_IlSD_SE_SE_EEEEZNS1_13binary_searchIS3_S5_NSA_INS8_10device_ptrIaEEEESG_SI_NS1_21upper_bound_search_opENS9_16wrapped_functionINS8_7greaterIaEEbEEEE10hipError_tPvRmT1_T2_T3_mmT4_T5_P12ihipStream_tbEUlRKaE_EESS_SW_SX_mSY_S11_bEUlT_E_NS1_11comp_targetILNS1_3genE9ELNS1_11target_archE1100ELNS1_3gpuE3ELNS1_3repE0EEENS1_30default_config_static_selectorELNS0_4arch9wavefront6targetE0EEEvSV_
	.globl	_ZN7rocprim17ROCPRIM_400000_NS6detail17trampoline_kernelINS0_14default_configENS1_27upper_bound_config_selectorIalEEZNS1_14transform_implILb0ES3_S5_N6thrust23THRUST_200600_302600_NS6detail15normal_iteratorINS8_7pointerIaNS8_11hip_rocprim3tagENS8_11use_defaultESE_EEEENSA_INSB_IlSD_SE_SE_EEEEZNS1_13binary_searchIS3_S5_NSA_INS8_10device_ptrIaEEEESG_SI_NS1_21upper_bound_search_opENS9_16wrapped_functionINS8_7greaterIaEEbEEEE10hipError_tPvRmT1_T2_T3_mmT4_T5_P12ihipStream_tbEUlRKaE_EESS_SW_SX_mSY_S11_bEUlT_E_NS1_11comp_targetILNS1_3genE9ELNS1_11target_archE1100ELNS1_3gpuE3ELNS1_3repE0EEENS1_30default_config_static_selectorELNS0_4arch9wavefront6targetE0EEEvSV_
	.p2align	8
	.type	_ZN7rocprim17ROCPRIM_400000_NS6detail17trampoline_kernelINS0_14default_configENS1_27upper_bound_config_selectorIalEEZNS1_14transform_implILb0ES3_S5_N6thrust23THRUST_200600_302600_NS6detail15normal_iteratorINS8_7pointerIaNS8_11hip_rocprim3tagENS8_11use_defaultESE_EEEENSA_INSB_IlSD_SE_SE_EEEEZNS1_13binary_searchIS3_S5_NSA_INS8_10device_ptrIaEEEESG_SI_NS1_21upper_bound_search_opENS9_16wrapped_functionINS8_7greaterIaEEbEEEE10hipError_tPvRmT1_T2_T3_mmT4_T5_P12ihipStream_tbEUlRKaE_EESS_SW_SX_mSY_S11_bEUlT_E_NS1_11comp_targetILNS1_3genE9ELNS1_11target_archE1100ELNS1_3gpuE3ELNS1_3repE0EEENS1_30default_config_static_selectorELNS0_4arch9wavefront6targetE0EEEvSV_,@function
_ZN7rocprim17ROCPRIM_400000_NS6detail17trampoline_kernelINS0_14default_configENS1_27upper_bound_config_selectorIalEEZNS1_14transform_implILb0ES3_S5_N6thrust23THRUST_200600_302600_NS6detail15normal_iteratorINS8_7pointerIaNS8_11hip_rocprim3tagENS8_11use_defaultESE_EEEENSA_INSB_IlSD_SE_SE_EEEEZNS1_13binary_searchIS3_S5_NSA_INS8_10device_ptrIaEEEESG_SI_NS1_21upper_bound_search_opENS9_16wrapped_functionINS8_7greaterIaEEbEEEE10hipError_tPvRmT1_T2_T3_mmT4_T5_P12ihipStream_tbEUlRKaE_EESS_SW_SX_mSY_S11_bEUlT_E_NS1_11comp_targetILNS1_3genE9ELNS1_11target_archE1100ELNS1_3gpuE3ELNS1_3repE0EEENS1_30default_config_static_selectorELNS0_4arch9wavefront6targetE0EEEvSV_: ; @_ZN7rocprim17ROCPRIM_400000_NS6detail17trampoline_kernelINS0_14default_configENS1_27upper_bound_config_selectorIalEEZNS1_14transform_implILb0ES3_S5_N6thrust23THRUST_200600_302600_NS6detail15normal_iteratorINS8_7pointerIaNS8_11hip_rocprim3tagENS8_11use_defaultESE_EEEENSA_INSB_IlSD_SE_SE_EEEEZNS1_13binary_searchIS3_S5_NSA_INS8_10device_ptrIaEEEESG_SI_NS1_21upper_bound_search_opENS9_16wrapped_functionINS8_7greaterIaEEbEEEE10hipError_tPvRmT1_T2_T3_mmT4_T5_P12ihipStream_tbEUlRKaE_EESS_SW_SX_mSY_S11_bEUlT_E_NS1_11comp_targetILNS1_3genE9ELNS1_11target_archE1100ELNS1_3gpuE3ELNS1_3repE0EEENS1_30default_config_static_selectorELNS0_4arch9wavefront6targetE0EEEvSV_
; %bb.0:
	.section	.rodata,"a",@progbits
	.p2align	6, 0x0
	.amdhsa_kernel _ZN7rocprim17ROCPRIM_400000_NS6detail17trampoline_kernelINS0_14default_configENS1_27upper_bound_config_selectorIalEEZNS1_14transform_implILb0ES3_S5_N6thrust23THRUST_200600_302600_NS6detail15normal_iteratorINS8_7pointerIaNS8_11hip_rocprim3tagENS8_11use_defaultESE_EEEENSA_INSB_IlSD_SE_SE_EEEEZNS1_13binary_searchIS3_S5_NSA_INS8_10device_ptrIaEEEESG_SI_NS1_21upper_bound_search_opENS9_16wrapped_functionINS8_7greaterIaEEbEEEE10hipError_tPvRmT1_T2_T3_mmT4_T5_P12ihipStream_tbEUlRKaE_EESS_SW_SX_mSY_S11_bEUlT_E_NS1_11comp_targetILNS1_3genE9ELNS1_11target_archE1100ELNS1_3gpuE3ELNS1_3repE0EEENS1_30default_config_static_selectorELNS0_4arch9wavefront6targetE0EEEvSV_
		.amdhsa_group_segment_fixed_size 0
		.amdhsa_private_segment_fixed_size 0
		.amdhsa_kernarg_size 56
		.amdhsa_user_sgpr_count 2
		.amdhsa_user_sgpr_dispatch_ptr 0
		.amdhsa_user_sgpr_queue_ptr 0
		.amdhsa_user_sgpr_kernarg_segment_ptr 1
		.amdhsa_user_sgpr_dispatch_id 0
		.amdhsa_user_sgpr_kernarg_preload_length 0
		.amdhsa_user_sgpr_kernarg_preload_offset 0
		.amdhsa_user_sgpr_private_segment_size 0
		.amdhsa_wavefront_size32 1
		.amdhsa_uses_dynamic_stack 0
		.amdhsa_enable_private_segment 0
		.amdhsa_system_sgpr_workgroup_id_x 1
		.amdhsa_system_sgpr_workgroup_id_y 0
		.amdhsa_system_sgpr_workgroup_id_z 0
		.amdhsa_system_sgpr_workgroup_info 0
		.amdhsa_system_vgpr_workitem_id 0
		.amdhsa_next_free_vgpr 1
		.amdhsa_next_free_sgpr 1
		.amdhsa_named_barrier_count 0
		.amdhsa_reserve_vcc 0
		.amdhsa_float_round_mode_32 0
		.amdhsa_float_round_mode_16_64 0
		.amdhsa_float_denorm_mode_32 3
		.amdhsa_float_denorm_mode_16_64 3
		.amdhsa_fp16_overflow 0
		.amdhsa_memory_ordered 1
		.amdhsa_forward_progress 1
		.amdhsa_inst_pref_size 0
		.amdhsa_round_robin_scheduling 0
		.amdhsa_exception_fp_ieee_invalid_op 0
		.amdhsa_exception_fp_denorm_src 0
		.amdhsa_exception_fp_ieee_div_zero 0
		.amdhsa_exception_fp_ieee_overflow 0
		.amdhsa_exception_fp_ieee_underflow 0
		.amdhsa_exception_fp_ieee_inexact 0
		.amdhsa_exception_int_div_zero 0
	.end_amdhsa_kernel
	.section	.text._ZN7rocprim17ROCPRIM_400000_NS6detail17trampoline_kernelINS0_14default_configENS1_27upper_bound_config_selectorIalEEZNS1_14transform_implILb0ES3_S5_N6thrust23THRUST_200600_302600_NS6detail15normal_iteratorINS8_7pointerIaNS8_11hip_rocprim3tagENS8_11use_defaultESE_EEEENSA_INSB_IlSD_SE_SE_EEEEZNS1_13binary_searchIS3_S5_NSA_INS8_10device_ptrIaEEEESG_SI_NS1_21upper_bound_search_opENS9_16wrapped_functionINS8_7greaterIaEEbEEEE10hipError_tPvRmT1_T2_T3_mmT4_T5_P12ihipStream_tbEUlRKaE_EESS_SW_SX_mSY_S11_bEUlT_E_NS1_11comp_targetILNS1_3genE9ELNS1_11target_archE1100ELNS1_3gpuE3ELNS1_3repE0EEENS1_30default_config_static_selectorELNS0_4arch9wavefront6targetE0EEEvSV_,"axG",@progbits,_ZN7rocprim17ROCPRIM_400000_NS6detail17trampoline_kernelINS0_14default_configENS1_27upper_bound_config_selectorIalEEZNS1_14transform_implILb0ES3_S5_N6thrust23THRUST_200600_302600_NS6detail15normal_iteratorINS8_7pointerIaNS8_11hip_rocprim3tagENS8_11use_defaultESE_EEEENSA_INSB_IlSD_SE_SE_EEEEZNS1_13binary_searchIS3_S5_NSA_INS8_10device_ptrIaEEEESG_SI_NS1_21upper_bound_search_opENS9_16wrapped_functionINS8_7greaterIaEEbEEEE10hipError_tPvRmT1_T2_T3_mmT4_T5_P12ihipStream_tbEUlRKaE_EESS_SW_SX_mSY_S11_bEUlT_E_NS1_11comp_targetILNS1_3genE9ELNS1_11target_archE1100ELNS1_3gpuE3ELNS1_3repE0EEENS1_30default_config_static_selectorELNS0_4arch9wavefront6targetE0EEEvSV_,comdat
.Lfunc_end84:
	.size	_ZN7rocprim17ROCPRIM_400000_NS6detail17trampoline_kernelINS0_14default_configENS1_27upper_bound_config_selectorIalEEZNS1_14transform_implILb0ES3_S5_N6thrust23THRUST_200600_302600_NS6detail15normal_iteratorINS8_7pointerIaNS8_11hip_rocprim3tagENS8_11use_defaultESE_EEEENSA_INSB_IlSD_SE_SE_EEEEZNS1_13binary_searchIS3_S5_NSA_INS8_10device_ptrIaEEEESG_SI_NS1_21upper_bound_search_opENS9_16wrapped_functionINS8_7greaterIaEEbEEEE10hipError_tPvRmT1_T2_T3_mmT4_T5_P12ihipStream_tbEUlRKaE_EESS_SW_SX_mSY_S11_bEUlT_E_NS1_11comp_targetILNS1_3genE9ELNS1_11target_archE1100ELNS1_3gpuE3ELNS1_3repE0EEENS1_30default_config_static_selectorELNS0_4arch9wavefront6targetE0EEEvSV_, .Lfunc_end84-_ZN7rocprim17ROCPRIM_400000_NS6detail17trampoline_kernelINS0_14default_configENS1_27upper_bound_config_selectorIalEEZNS1_14transform_implILb0ES3_S5_N6thrust23THRUST_200600_302600_NS6detail15normal_iteratorINS8_7pointerIaNS8_11hip_rocprim3tagENS8_11use_defaultESE_EEEENSA_INSB_IlSD_SE_SE_EEEEZNS1_13binary_searchIS3_S5_NSA_INS8_10device_ptrIaEEEESG_SI_NS1_21upper_bound_search_opENS9_16wrapped_functionINS8_7greaterIaEEbEEEE10hipError_tPvRmT1_T2_T3_mmT4_T5_P12ihipStream_tbEUlRKaE_EESS_SW_SX_mSY_S11_bEUlT_E_NS1_11comp_targetILNS1_3genE9ELNS1_11target_archE1100ELNS1_3gpuE3ELNS1_3repE0EEENS1_30default_config_static_selectorELNS0_4arch9wavefront6targetE0EEEvSV_
                                        ; -- End function
	.set _ZN7rocprim17ROCPRIM_400000_NS6detail17trampoline_kernelINS0_14default_configENS1_27upper_bound_config_selectorIalEEZNS1_14transform_implILb0ES3_S5_N6thrust23THRUST_200600_302600_NS6detail15normal_iteratorINS8_7pointerIaNS8_11hip_rocprim3tagENS8_11use_defaultESE_EEEENSA_INSB_IlSD_SE_SE_EEEEZNS1_13binary_searchIS3_S5_NSA_INS8_10device_ptrIaEEEESG_SI_NS1_21upper_bound_search_opENS9_16wrapped_functionINS8_7greaterIaEEbEEEE10hipError_tPvRmT1_T2_T3_mmT4_T5_P12ihipStream_tbEUlRKaE_EESS_SW_SX_mSY_S11_bEUlT_E_NS1_11comp_targetILNS1_3genE9ELNS1_11target_archE1100ELNS1_3gpuE3ELNS1_3repE0EEENS1_30default_config_static_selectorELNS0_4arch9wavefront6targetE0EEEvSV_.num_vgpr, 0
	.set _ZN7rocprim17ROCPRIM_400000_NS6detail17trampoline_kernelINS0_14default_configENS1_27upper_bound_config_selectorIalEEZNS1_14transform_implILb0ES3_S5_N6thrust23THRUST_200600_302600_NS6detail15normal_iteratorINS8_7pointerIaNS8_11hip_rocprim3tagENS8_11use_defaultESE_EEEENSA_INSB_IlSD_SE_SE_EEEEZNS1_13binary_searchIS3_S5_NSA_INS8_10device_ptrIaEEEESG_SI_NS1_21upper_bound_search_opENS9_16wrapped_functionINS8_7greaterIaEEbEEEE10hipError_tPvRmT1_T2_T3_mmT4_T5_P12ihipStream_tbEUlRKaE_EESS_SW_SX_mSY_S11_bEUlT_E_NS1_11comp_targetILNS1_3genE9ELNS1_11target_archE1100ELNS1_3gpuE3ELNS1_3repE0EEENS1_30default_config_static_selectorELNS0_4arch9wavefront6targetE0EEEvSV_.num_agpr, 0
	.set _ZN7rocprim17ROCPRIM_400000_NS6detail17trampoline_kernelINS0_14default_configENS1_27upper_bound_config_selectorIalEEZNS1_14transform_implILb0ES3_S5_N6thrust23THRUST_200600_302600_NS6detail15normal_iteratorINS8_7pointerIaNS8_11hip_rocprim3tagENS8_11use_defaultESE_EEEENSA_INSB_IlSD_SE_SE_EEEEZNS1_13binary_searchIS3_S5_NSA_INS8_10device_ptrIaEEEESG_SI_NS1_21upper_bound_search_opENS9_16wrapped_functionINS8_7greaterIaEEbEEEE10hipError_tPvRmT1_T2_T3_mmT4_T5_P12ihipStream_tbEUlRKaE_EESS_SW_SX_mSY_S11_bEUlT_E_NS1_11comp_targetILNS1_3genE9ELNS1_11target_archE1100ELNS1_3gpuE3ELNS1_3repE0EEENS1_30default_config_static_selectorELNS0_4arch9wavefront6targetE0EEEvSV_.numbered_sgpr, 0
	.set _ZN7rocprim17ROCPRIM_400000_NS6detail17trampoline_kernelINS0_14default_configENS1_27upper_bound_config_selectorIalEEZNS1_14transform_implILb0ES3_S5_N6thrust23THRUST_200600_302600_NS6detail15normal_iteratorINS8_7pointerIaNS8_11hip_rocprim3tagENS8_11use_defaultESE_EEEENSA_INSB_IlSD_SE_SE_EEEEZNS1_13binary_searchIS3_S5_NSA_INS8_10device_ptrIaEEEESG_SI_NS1_21upper_bound_search_opENS9_16wrapped_functionINS8_7greaterIaEEbEEEE10hipError_tPvRmT1_T2_T3_mmT4_T5_P12ihipStream_tbEUlRKaE_EESS_SW_SX_mSY_S11_bEUlT_E_NS1_11comp_targetILNS1_3genE9ELNS1_11target_archE1100ELNS1_3gpuE3ELNS1_3repE0EEENS1_30default_config_static_selectorELNS0_4arch9wavefront6targetE0EEEvSV_.num_named_barrier, 0
	.set _ZN7rocprim17ROCPRIM_400000_NS6detail17trampoline_kernelINS0_14default_configENS1_27upper_bound_config_selectorIalEEZNS1_14transform_implILb0ES3_S5_N6thrust23THRUST_200600_302600_NS6detail15normal_iteratorINS8_7pointerIaNS8_11hip_rocprim3tagENS8_11use_defaultESE_EEEENSA_INSB_IlSD_SE_SE_EEEEZNS1_13binary_searchIS3_S5_NSA_INS8_10device_ptrIaEEEESG_SI_NS1_21upper_bound_search_opENS9_16wrapped_functionINS8_7greaterIaEEbEEEE10hipError_tPvRmT1_T2_T3_mmT4_T5_P12ihipStream_tbEUlRKaE_EESS_SW_SX_mSY_S11_bEUlT_E_NS1_11comp_targetILNS1_3genE9ELNS1_11target_archE1100ELNS1_3gpuE3ELNS1_3repE0EEENS1_30default_config_static_selectorELNS0_4arch9wavefront6targetE0EEEvSV_.private_seg_size, 0
	.set _ZN7rocprim17ROCPRIM_400000_NS6detail17trampoline_kernelINS0_14default_configENS1_27upper_bound_config_selectorIalEEZNS1_14transform_implILb0ES3_S5_N6thrust23THRUST_200600_302600_NS6detail15normal_iteratorINS8_7pointerIaNS8_11hip_rocprim3tagENS8_11use_defaultESE_EEEENSA_INSB_IlSD_SE_SE_EEEEZNS1_13binary_searchIS3_S5_NSA_INS8_10device_ptrIaEEEESG_SI_NS1_21upper_bound_search_opENS9_16wrapped_functionINS8_7greaterIaEEbEEEE10hipError_tPvRmT1_T2_T3_mmT4_T5_P12ihipStream_tbEUlRKaE_EESS_SW_SX_mSY_S11_bEUlT_E_NS1_11comp_targetILNS1_3genE9ELNS1_11target_archE1100ELNS1_3gpuE3ELNS1_3repE0EEENS1_30default_config_static_selectorELNS0_4arch9wavefront6targetE0EEEvSV_.uses_vcc, 0
	.set _ZN7rocprim17ROCPRIM_400000_NS6detail17trampoline_kernelINS0_14default_configENS1_27upper_bound_config_selectorIalEEZNS1_14transform_implILb0ES3_S5_N6thrust23THRUST_200600_302600_NS6detail15normal_iteratorINS8_7pointerIaNS8_11hip_rocprim3tagENS8_11use_defaultESE_EEEENSA_INSB_IlSD_SE_SE_EEEEZNS1_13binary_searchIS3_S5_NSA_INS8_10device_ptrIaEEEESG_SI_NS1_21upper_bound_search_opENS9_16wrapped_functionINS8_7greaterIaEEbEEEE10hipError_tPvRmT1_T2_T3_mmT4_T5_P12ihipStream_tbEUlRKaE_EESS_SW_SX_mSY_S11_bEUlT_E_NS1_11comp_targetILNS1_3genE9ELNS1_11target_archE1100ELNS1_3gpuE3ELNS1_3repE0EEENS1_30default_config_static_selectorELNS0_4arch9wavefront6targetE0EEEvSV_.uses_flat_scratch, 0
	.set _ZN7rocprim17ROCPRIM_400000_NS6detail17trampoline_kernelINS0_14default_configENS1_27upper_bound_config_selectorIalEEZNS1_14transform_implILb0ES3_S5_N6thrust23THRUST_200600_302600_NS6detail15normal_iteratorINS8_7pointerIaNS8_11hip_rocprim3tagENS8_11use_defaultESE_EEEENSA_INSB_IlSD_SE_SE_EEEEZNS1_13binary_searchIS3_S5_NSA_INS8_10device_ptrIaEEEESG_SI_NS1_21upper_bound_search_opENS9_16wrapped_functionINS8_7greaterIaEEbEEEE10hipError_tPvRmT1_T2_T3_mmT4_T5_P12ihipStream_tbEUlRKaE_EESS_SW_SX_mSY_S11_bEUlT_E_NS1_11comp_targetILNS1_3genE9ELNS1_11target_archE1100ELNS1_3gpuE3ELNS1_3repE0EEENS1_30default_config_static_selectorELNS0_4arch9wavefront6targetE0EEEvSV_.has_dyn_sized_stack, 0
	.set _ZN7rocprim17ROCPRIM_400000_NS6detail17trampoline_kernelINS0_14default_configENS1_27upper_bound_config_selectorIalEEZNS1_14transform_implILb0ES3_S5_N6thrust23THRUST_200600_302600_NS6detail15normal_iteratorINS8_7pointerIaNS8_11hip_rocprim3tagENS8_11use_defaultESE_EEEENSA_INSB_IlSD_SE_SE_EEEEZNS1_13binary_searchIS3_S5_NSA_INS8_10device_ptrIaEEEESG_SI_NS1_21upper_bound_search_opENS9_16wrapped_functionINS8_7greaterIaEEbEEEE10hipError_tPvRmT1_T2_T3_mmT4_T5_P12ihipStream_tbEUlRKaE_EESS_SW_SX_mSY_S11_bEUlT_E_NS1_11comp_targetILNS1_3genE9ELNS1_11target_archE1100ELNS1_3gpuE3ELNS1_3repE0EEENS1_30default_config_static_selectorELNS0_4arch9wavefront6targetE0EEEvSV_.has_recursion, 0
	.set _ZN7rocprim17ROCPRIM_400000_NS6detail17trampoline_kernelINS0_14default_configENS1_27upper_bound_config_selectorIalEEZNS1_14transform_implILb0ES3_S5_N6thrust23THRUST_200600_302600_NS6detail15normal_iteratorINS8_7pointerIaNS8_11hip_rocprim3tagENS8_11use_defaultESE_EEEENSA_INSB_IlSD_SE_SE_EEEEZNS1_13binary_searchIS3_S5_NSA_INS8_10device_ptrIaEEEESG_SI_NS1_21upper_bound_search_opENS9_16wrapped_functionINS8_7greaterIaEEbEEEE10hipError_tPvRmT1_T2_T3_mmT4_T5_P12ihipStream_tbEUlRKaE_EESS_SW_SX_mSY_S11_bEUlT_E_NS1_11comp_targetILNS1_3genE9ELNS1_11target_archE1100ELNS1_3gpuE3ELNS1_3repE0EEENS1_30default_config_static_selectorELNS0_4arch9wavefront6targetE0EEEvSV_.has_indirect_call, 0
	.section	.AMDGPU.csdata,"",@progbits
; Kernel info:
; codeLenInByte = 0
; TotalNumSgprs: 0
; NumVgprs: 0
; ScratchSize: 0
; MemoryBound: 0
; FloatMode: 240
; IeeeMode: 1
; LDSByteSize: 0 bytes/workgroup (compile time only)
; SGPRBlocks: 0
; VGPRBlocks: 0
; NumSGPRsForWavesPerEU: 1
; NumVGPRsForWavesPerEU: 1
; NamedBarCnt: 0
; Occupancy: 16
; WaveLimiterHint : 0
; COMPUTE_PGM_RSRC2:SCRATCH_EN: 0
; COMPUTE_PGM_RSRC2:USER_SGPR: 2
; COMPUTE_PGM_RSRC2:TRAP_HANDLER: 0
; COMPUTE_PGM_RSRC2:TGID_X_EN: 1
; COMPUTE_PGM_RSRC2:TGID_Y_EN: 0
; COMPUTE_PGM_RSRC2:TGID_Z_EN: 0
; COMPUTE_PGM_RSRC2:TIDIG_COMP_CNT: 0
	.section	.text._ZN7rocprim17ROCPRIM_400000_NS6detail17trampoline_kernelINS0_14default_configENS1_27upper_bound_config_selectorIalEEZNS1_14transform_implILb0ES3_S5_N6thrust23THRUST_200600_302600_NS6detail15normal_iteratorINS8_7pointerIaNS8_11hip_rocprim3tagENS8_11use_defaultESE_EEEENSA_INSB_IlSD_SE_SE_EEEEZNS1_13binary_searchIS3_S5_NSA_INS8_10device_ptrIaEEEESG_SI_NS1_21upper_bound_search_opENS9_16wrapped_functionINS8_7greaterIaEEbEEEE10hipError_tPvRmT1_T2_T3_mmT4_T5_P12ihipStream_tbEUlRKaE_EESS_SW_SX_mSY_S11_bEUlT_E_NS1_11comp_targetILNS1_3genE8ELNS1_11target_archE1030ELNS1_3gpuE2ELNS1_3repE0EEENS1_30default_config_static_selectorELNS0_4arch9wavefront6targetE0EEEvSV_,"axG",@progbits,_ZN7rocprim17ROCPRIM_400000_NS6detail17trampoline_kernelINS0_14default_configENS1_27upper_bound_config_selectorIalEEZNS1_14transform_implILb0ES3_S5_N6thrust23THRUST_200600_302600_NS6detail15normal_iteratorINS8_7pointerIaNS8_11hip_rocprim3tagENS8_11use_defaultESE_EEEENSA_INSB_IlSD_SE_SE_EEEEZNS1_13binary_searchIS3_S5_NSA_INS8_10device_ptrIaEEEESG_SI_NS1_21upper_bound_search_opENS9_16wrapped_functionINS8_7greaterIaEEbEEEE10hipError_tPvRmT1_T2_T3_mmT4_T5_P12ihipStream_tbEUlRKaE_EESS_SW_SX_mSY_S11_bEUlT_E_NS1_11comp_targetILNS1_3genE8ELNS1_11target_archE1030ELNS1_3gpuE2ELNS1_3repE0EEENS1_30default_config_static_selectorELNS0_4arch9wavefront6targetE0EEEvSV_,comdat
	.protected	_ZN7rocprim17ROCPRIM_400000_NS6detail17trampoline_kernelINS0_14default_configENS1_27upper_bound_config_selectorIalEEZNS1_14transform_implILb0ES3_S5_N6thrust23THRUST_200600_302600_NS6detail15normal_iteratorINS8_7pointerIaNS8_11hip_rocprim3tagENS8_11use_defaultESE_EEEENSA_INSB_IlSD_SE_SE_EEEEZNS1_13binary_searchIS3_S5_NSA_INS8_10device_ptrIaEEEESG_SI_NS1_21upper_bound_search_opENS9_16wrapped_functionINS8_7greaterIaEEbEEEE10hipError_tPvRmT1_T2_T3_mmT4_T5_P12ihipStream_tbEUlRKaE_EESS_SW_SX_mSY_S11_bEUlT_E_NS1_11comp_targetILNS1_3genE8ELNS1_11target_archE1030ELNS1_3gpuE2ELNS1_3repE0EEENS1_30default_config_static_selectorELNS0_4arch9wavefront6targetE0EEEvSV_ ; -- Begin function _ZN7rocprim17ROCPRIM_400000_NS6detail17trampoline_kernelINS0_14default_configENS1_27upper_bound_config_selectorIalEEZNS1_14transform_implILb0ES3_S5_N6thrust23THRUST_200600_302600_NS6detail15normal_iteratorINS8_7pointerIaNS8_11hip_rocprim3tagENS8_11use_defaultESE_EEEENSA_INSB_IlSD_SE_SE_EEEEZNS1_13binary_searchIS3_S5_NSA_INS8_10device_ptrIaEEEESG_SI_NS1_21upper_bound_search_opENS9_16wrapped_functionINS8_7greaterIaEEbEEEE10hipError_tPvRmT1_T2_T3_mmT4_T5_P12ihipStream_tbEUlRKaE_EESS_SW_SX_mSY_S11_bEUlT_E_NS1_11comp_targetILNS1_3genE8ELNS1_11target_archE1030ELNS1_3gpuE2ELNS1_3repE0EEENS1_30default_config_static_selectorELNS0_4arch9wavefront6targetE0EEEvSV_
	.globl	_ZN7rocprim17ROCPRIM_400000_NS6detail17trampoline_kernelINS0_14default_configENS1_27upper_bound_config_selectorIalEEZNS1_14transform_implILb0ES3_S5_N6thrust23THRUST_200600_302600_NS6detail15normal_iteratorINS8_7pointerIaNS8_11hip_rocprim3tagENS8_11use_defaultESE_EEEENSA_INSB_IlSD_SE_SE_EEEEZNS1_13binary_searchIS3_S5_NSA_INS8_10device_ptrIaEEEESG_SI_NS1_21upper_bound_search_opENS9_16wrapped_functionINS8_7greaterIaEEbEEEE10hipError_tPvRmT1_T2_T3_mmT4_T5_P12ihipStream_tbEUlRKaE_EESS_SW_SX_mSY_S11_bEUlT_E_NS1_11comp_targetILNS1_3genE8ELNS1_11target_archE1030ELNS1_3gpuE2ELNS1_3repE0EEENS1_30default_config_static_selectorELNS0_4arch9wavefront6targetE0EEEvSV_
	.p2align	8
	.type	_ZN7rocprim17ROCPRIM_400000_NS6detail17trampoline_kernelINS0_14default_configENS1_27upper_bound_config_selectorIalEEZNS1_14transform_implILb0ES3_S5_N6thrust23THRUST_200600_302600_NS6detail15normal_iteratorINS8_7pointerIaNS8_11hip_rocprim3tagENS8_11use_defaultESE_EEEENSA_INSB_IlSD_SE_SE_EEEEZNS1_13binary_searchIS3_S5_NSA_INS8_10device_ptrIaEEEESG_SI_NS1_21upper_bound_search_opENS9_16wrapped_functionINS8_7greaterIaEEbEEEE10hipError_tPvRmT1_T2_T3_mmT4_T5_P12ihipStream_tbEUlRKaE_EESS_SW_SX_mSY_S11_bEUlT_E_NS1_11comp_targetILNS1_3genE8ELNS1_11target_archE1030ELNS1_3gpuE2ELNS1_3repE0EEENS1_30default_config_static_selectorELNS0_4arch9wavefront6targetE0EEEvSV_,@function
_ZN7rocprim17ROCPRIM_400000_NS6detail17trampoline_kernelINS0_14default_configENS1_27upper_bound_config_selectorIalEEZNS1_14transform_implILb0ES3_S5_N6thrust23THRUST_200600_302600_NS6detail15normal_iteratorINS8_7pointerIaNS8_11hip_rocprim3tagENS8_11use_defaultESE_EEEENSA_INSB_IlSD_SE_SE_EEEEZNS1_13binary_searchIS3_S5_NSA_INS8_10device_ptrIaEEEESG_SI_NS1_21upper_bound_search_opENS9_16wrapped_functionINS8_7greaterIaEEbEEEE10hipError_tPvRmT1_T2_T3_mmT4_T5_P12ihipStream_tbEUlRKaE_EESS_SW_SX_mSY_S11_bEUlT_E_NS1_11comp_targetILNS1_3genE8ELNS1_11target_archE1030ELNS1_3gpuE2ELNS1_3repE0EEENS1_30default_config_static_selectorELNS0_4arch9wavefront6targetE0EEEvSV_: ; @_ZN7rocprim17ROCPRIM_400000_NS6detail17trampoline_kernelINS0_14default_configENS1_27upper_bound_config_selectorIalEEZNS1_14transform_implILb0ES3_S5_N6thrust23THRUST_200600_302600_NS6detail15normal_iteratorINS8_7pointerIaNS8_11hip_rocprim3tagENS8_11use_defaultESE_EEEENSA_INSB_IlSD_SE_SE_EEEEZNS1_13binary_searchIS3_S5_NSA_INS8_10device_ptrIaEEEESG_SI_NS1_21upper_bound_search_opENS9_16wrapped_functionINS8_7greaterIaEEbEEEE10hipError_tPvRmT1_T2_T3_mmT4_T5_P12ihipStream_tbEUlRKaE_EESS_SW_SX_mSY_S11_bEUlT_E_NS1_11comp_targetILNS1_3genE8ELNS1_11target_archE1030ELNS1_3gpuE2ELNS1_3repE0EEENS1_30default_config_static_selectorELNS0_4arch9wavefront6targetE0EEEvSV_
; %bb.0:
	.section	.rodata,"a",@progbits
	.p2align	6, 0x0
	.amdhsa_kernel _ZN7rocprim17ROCPRIM_400000_NS6detail17trampoline_kernelINS0_14default_configENS1_27upper_bound_config_selectorIalEEZNS1_14transform_implILb0ES3_S5_N6thrust23THRUST_200600_302600_NS6detail15normal_iteratorINS8_7pointerIaNS8_11hip_rocprim3tagENS8_11use_defaultESE_EEEENSA_INSB_IlSD_SE_SE_EEEEZNS1_13binary_searchIS3_S5_NSA_INS8_10device_ptrIaEEEESG_SI_NS1_21upper_bound_search_opENS9_16wrapped_functionINS8_7greaterIaEEbEEEE10hipError_tPvRmT1_T2_T3_mmT4_T5_P12ihipStream_tbEUlRKaE_EESS_SW_SX_mSY_S11_bEUlT_E_NS1_11comp_targetILNS1_3genE8ELNS1_11target_archE1030ELNS1_3gpuE2ELNS1_3repE0EEENS1_30default_config_static_selectorELNS0_4arch9wavefront6targetE0EEEvSV_
		.amdhsa_group_segment_fixed_size 0
		.amdhsa_private_segment_fixed_size 0
		.amdhsa_kernarg_size 56
		.amdhsa_user_sgpr_count 2
		.amdhsa_user_sgpr_dispatch_ptr 0
		.amdhsa_user_sgpr_queue_ptr 0
		.amdhsa_user_sgpr_kernarg_segment_ptr 1
		.amdhsa_user_sgpr_dispatch_id 0
		.amdhsa_user_sgpr_kernarg_preload_length 0
		.amdhsa_user_sgpr_kernarg_preload_offset 0
		.amdhsa_user_sgpr_private_segment_size 0
		.amdhsa_wavefront_size32 1
		.amdhsa_uses_dynamic_stack 0
		.amdhsa_enable_private_segment 0
		.amdhsa_system_sgpr_workgroup_id_x 1
		.amdhsa_system_sgpr_workgroup_id_y 0
		.amdhsa_system_sgpr_workgroup_id_z 0
		.amdhsa_system_sgpr_workgroup_info 0
		.amdhsa_system_vgpr_workitem_id 0
		.amdhsa_next_free_vgpr 1
		.amdhsa_next_free_sgpr 1
		.amdhsa_named_barrier_count 0
		.amdhsa_reserve_vcc 0
		.amdhsa_float_round_mode_32 0
		.amdhsa_float_round_mode_16_64 0
		.amdhsa_float_denorm_mode_32 3
		.amdhsa_float_denorm_mode_16_64 3
		.amdhsa_fp16_overflow 0
		.amdhsa_memory_ordered 1
		.amdhsa_forward_progress 1
		.amdhsa_inst_pref_size 0
		.amdhsa_round_robin_scheduling 0
		.amdhsa_exception_fp_ieee_invalid_op 0
		.amdhsa_exception_fp_denorm_src 0
		.amdhsa_exception_fp_ieee_div_zero 0
		.amdhsa_exception_fp_ieee_overflow 0
		.amdhsa_exception_fp_ieee_underflow 0
		.amdhsa_exception_fp_ieee_inexact 0
		.amdhsa_exception_int_div_zero 0
	.end_amdhsa_kernel
	.section	.text._ZN7rocprim17ROCPRIM_400000_NS6detail17trampoline_kernelINS0_14default_configENS1_27upper_bound_config_selectorIalEEZNS1_14transform_implILb0ES3_S5_N6thrust23THRUST_200600_302600_NS6detail15normal_iteratorINS8_7pointerIaNS8_11hip_rocprim3tagENS8_11use_defaultESE_EEEENSA_INSB_IlSD_SE_SE_EEEEZNS1_13binary_searchIS3_S5_NSA_INS8_10device_ptrIaEEEESG_SI_NS1_21upper_bound_search_opENS9_16wrapped_functionINS8_7greaterIaEEbEEEE10hipError_tPvRmT1_T2_T3_mmT4_T5_P12ihipStream_tbEUlRKaE_EESS_SW_SX_mSY_S11_bEUlT_E_NS1_11comp_targetILNS1_3genE8ELNS1_11target_archE1030ELNS1_3gpuE2ELNS1_3repE0EEENS1_30default_config_static_selectorELNS0_4arch9wavefront6targetE0EEEvSV_,"axG",@progbits,_ZN7rocprim17ROCPRIM_400000_NS6detail17trampoline_kernelINS0_14default_configENS1_27upper_bound_config_selectorIalEEZNS1_14transform_implILb0ES3_S5_N6thrust23THRUST_200600_302600_NS6detail15normal_iteratorINS8_7pointerIaNS8_11hip_rocprim3tagENS8_11use_defaultESE_EEEENSA_INSB_IlSD_SE_SE_EEEEZNS1_13binary_searchIS3_S5_NSA_INS8_10device_ptrIaEEEESG_SI_NS1_21upper_bound_search_opENS9_16wrapped_functionINS8_7greaterIaEEbEEEE10hipError_tPvRmT1_T2_T3_mmT4_T5_P12ihipStream_tbEUlRKaE_EESS_SW_SX_mSY_S11_bEUlT_E_NS1_11comp_targetILNS1_3genE8ELNS1_11target_archE1030ELNS1_3gpuE2ELNS1_3repE0EEENS1_30default_config_static_selectorELNS0_4arch9wavefront6targetE0EEEvSV_,comdat
.Lfunc_end85:
	.size	_ZN7rocprim17ROCPRIM_400000_NS6detail17trampoline_kernelINS0_14default_configENS1_27upper_bound_config_selectorIalEEZNS1_14transform_implILb0ES3_S5_N6thrust23THRUST_200600_302600_NS6detail15normal_iteratorINS8_7pointerIaNS8_11hip_rocprim3tagENS8_11use_defaultESE_EEEENSA_INSB_IlSD_SE_SE_EEEEZNS1_13binary_searchIS3_S5_NSA_INS8_10device_ptrIaEEEESG_SI_NS1_21upper_bound_search_opENS9_16wrapped_functionINS8_7greaterIaEEbEEEE10hipError_tPvRmT1_T2_T3_mmT4_T5_P12ihipStream_tbEUlRKaE_EESS_SW_SX_mSY_S11_bEUlT_E_NS1_11comp_targetILNS1_3genE8ELNS1_11target_archE1030ELNS1_3gpuE2ELNS1_3repE0EEENS1_30default_config_static_selectorELNS0_4arch9wavefront6targetE0EEEvSV_, .Lfunc_end85-_ZN7rocprim17ROCPRIM_400000_NS6detail17trampoline_kernelINS0_14default_configENS1_27upper_bound_config_selectorIalEEZNS1_14transform_implILb0ES3_S5_N6thrust23THRUST_200600_302600_NS6detail15normal_iteratorINS8_7pointerIaNS8_11hip_rocprim3tagENS8_11use_defaultESE_EEEENSA_INSB_IlSD_SE_SE_EEEEZNS1_13binary_searchIS3_S5_NSA_INS8_10device_ptrIaEEEESG_SI_NS1_21upper_bound_search_opENS9_16wrapped_functionINS8_7greaterIaEEbEEEE10hipError_tPvRmT1_T2_T3_mmT4_T5_P12ihipStream_tbEUlRKaE_EESS_SW_SX_mSY_S11_bEUlT_E_NS1_11comp_targetILNS1_3genE8ELNS1_11target_archE1030ELNS1_3gpuE2ELNS1_3repE0EEENS1_30default_config_static_selectorELNS0_4arch9wavefront6targetE0EEEvSV_
                                        ; -- End function
	.set _ZN7rocprim17ROCPRIM_400000_NS6detail17trampoline_kernelINS0_14default_configENS1_27upper_bound_config_selectorIalEEZNS1_14transform_implILb0ES3_S5_N6thrust23THRUST_200600_302600_NS6detail15normal_iteratorINS8_7pointerIaNS8_11hip_rocprim3tagENS8_11use_defaultESE_EEEENSA_INSB_IlSD_SE_SE_EEEEZNS1_13binary_searchIS3_S5_NSA_INS8_10device_ptrIaEEEESG_SI_NS1_21upper_bound_search_opENS9_16wrapped_functionINS8_7greaterIaEEbEEEE10hipError_tPvRmT1_T2_T3_mmT4_T5_P12ihipStream_tbEUlRKaE_EESS_SW_SX_mSY_S11_bEUlT_E_NS1_11comp_targetILNS1_3genE8ELNS1_11target_archE1030ELNS1_3gpuE2ELNS1_3repE0EEENS1_30default_config_static_selectorELNS0_4arch9wavefront6targetE0EEEvSV_.num_vgpr, 0
	.set _ZN7rocprim17ROCPRIM_400000_NS6detail17trampoline_kernelINS0_14default_configENS1_27upper_bound_config_selectorIalEEZNS1_14transform_implILb0ES3_S5_N6thrust23THRUST_200600_302600_NS6detail15normal_iteratorINS8_7pointerIaNS8_11hip_rocprim3tagENS8_11use_defaultESE_EEEENSA_INSB_IlSD_SE_SE_EEEEZNS1_13binary_searchIS3_S5_NSA_INS8_10device_ptrIaEEEESG_SI_NS1_21upper_bound_search_opENS9_16wrapped_functionINS8_7greaterIaEEbEEEE10hipError_tPvRmT1_T2_T3_mmT4_T5_P12ihipStream_tbEUlRKaE_EESS_SW_SX_mSY_S11_bEUlT_E_NS1_11comp_targetILNS1_3genE8ELNS1_11target_archE1030ELNS1_3gpuE2ELNS1_3repE0EEENS1_30default_config_static_selectorELNS0_4arch9wavefront6targetE0EEEvSV_.num_agpr, 0
	.set _ZN7rocprim17ROCPRIM_400000_NS6detail17trampoline_kernelINS0_14default_configENS1_27upper_bound_config_selectorIalEEZNS1_14transform_implILb0ES3_S5_N6thrust23THRUST_200600_302600_NS6detail15normal_iteratorINS8_7pointerIaNS8_11hip_rocprim3tagENS8_11use_defaultESE_EEEENSA_INSB_IlSD_SE_SE_EEEEZNS1_13binary_searchIS3_S5_NSA_INS8_10device_ptrIaEEEESG_SI_NS1_21upper_bound_search_opENS9_16wrapped_functionINS8_7greaterIaEEbEEEE10hipError_tPvRmT1_T2_T3_mmT4_T5_P12ihipStream_tbEUlRKaE_EESS_SW_SX_mSY_S11_bEUlT_E_NS1_11comp_targetILNS1_3genE8ELNS1_11target_archE1030ELNS1_3gpuE2ELNS1_3repE0EEENS1_30default_config_static_selectorELNS0_4arch9wavefront6targetE0EEEvSV_.numbered_sgpr, 0
	.set _ZN7rocprim17ROCPRIM_400000_NS6detail17trampoline_kernelINS0_14default_configENS1_27upper_bound_config_selectorIalEEZNS1_14transform_implILb0ES3_S5_N6thrust23THRUST_200600_302600_NS6detail15normal_iteratorINS8_7pointerIaNS8_11hip_rocprim3tagENS8_11use_defaultESE_EEEENSA_INSB_IlSD_SE_SE_EEEEZNS1_13binary_searchIS3_S5_NSA_INS8_10device_ptrIaEEEESG_SI_NS1_21upper_bound_search_opENS9_16wrapped_functionINS8_7greaterIaEEbEEEE10hipError_tPvRmT1_T2_T3_mmT4_T5_P12ihipStream_tbEUlRKaE_EESS_SW_SX_mSY_S11_bEUlT_E_NS1_11comp_targetILNS1_3genE8ELNS1_11target_archE1030ELNS1_3gpuE2ELNS1_3repE0EEENS1_30default_config_static_selectorELNS0_4arch9wavefront6targetE0EEEvSV_.num_named_barrier, 0
	.set _ZN7rocprim17ROCPRIM_400000_NS6detail17trampoline_kernelINS0_14default_configENS1_27upper_bound_config_selectorIalEEZNS1_14transform_implILb0ES3_S5_N6thrust23THRUST_200600_302600_NS6detail15normal_iteratorINS8_7pointerIaNS8_11hip_rocprim3tagENS8_11use_defaultESE_EEEENSA_INSB_IlSD_SE_SE_EEEEZNS1_13binary_searchIS3_S5_NSA_INS8_10device_ptrIaEEEESG_SI_NS1_21upper_bound_search_opENS9_16wrapped_functionINS8_7greaterIaEEbEEEE10hipError_tPvRmT1_T2_T3_mmT4_T5_P12ihipStream_tbEUlRKaE_EESS_SW_SX_mSY_S11_bEUlT_E_NS1_11comp_targetILNS1_3genE8ELNS1_11target_archE1030ELNS1_3gpuE2ELNS1_3repE0EEENS1_30default_config_static_selectorELNS0_4arch9wavefront6targetE0EEEvSV_.private_seg_size, 0
	.set _ZN7rocprim17ROCPRIM_400000_NS6detail17trampoline_kernelINS0_14default_configENS1_27upper_bound_config_selectorIalEEZNS1_14transform_implILb0ES3_S5_N6thrust23THRUST_200600_302600_NS6detail15normal_iteratorINS8_7pointerIaNS8_11hip_rocprim3tagENS8_11use_defaultESE_EEEENSA_INSB_IlSD_SE_SE_EEEEZNS1_13binary_searchIS3_S5_NSA_INS8_10device_ptrIaEEEESG_SI_NS1_21upper_bound_search_opENS9_16wrapped_functionINS8_7greaterIaEEbEEEE10hipError_tPvRmT1_T2_T3_mmT4_T5_P12ihipStream_tbEUlRKaE_EESS_SW_SX_mSY_S11_bEUlT_E_NS1_11comp_targetILNS1_3genE8ELNS1_11target_archE1030ELNS1_3gpuE2ELNS1_3repE0EEENS1_30default_config_static_selectorELNS0_4arch9wavefront6targetE0EEEvSV_.uses_vcc, 0
	.set _ZN7rocprim17ROCPRIM_400000_NS6detail17trampoline_kernelINS0_14default_configENS1_27upper_bound_config_selectorIalEEZNS1_14transform_implILb0ES3_S5_N6thrust23THRUST_200600_302600_NS6detail15normal_iteratorINS8_7pointerIaNS8_11hip_rocprim3tagENS8_11use_defaultESE_EEEENSA_INSB_IlSD_SE_SE_EEEEZNS1_13binary_searchIS3_S5_NSA_INS8_10device_ptrIaEEEESG_SI_NS1_21upper_bound_search_opENS9_16wrapped_functionINS8_7greaterIaEEbEEEE10hipError_tPvRmT1_T2_T3_mmT4_T5_P12ihipStream_tbEUlRKaE_EESS_SW_SX_mSY_S11_bEUlT_E_NS1_11comp_targetILNS1_3genE8ELNS1_11target_archE1030ELNS1_3gpuE2ELNS1_3repE0EEENS1_30default_config_static_selectorELNS0_4arch9wavefront6targetE0EEEvSV_.uses_flat_scratch, 0
	.set _ZN7rocprim17ROCPRIM_400000_NS6detail17trampoline_kernelINS0_14default_configENS1_27upper_bound_config_selectorIalEEZNS1_14transform_implILb0ES3_S5_N6thrust23THRUST_200600_302600_NS6detail15normal_iteratorINS8_7pointerIaNS8_11hip_rocprim3tagENS8_11use_defaultESE_EEEENSA_INSB_IlSD_SE_SE_EEEEZNS1_13binary_searchIS3_S5_NSA_INS8_10device_ptrIaEEEESG_SI_NS1_21upper_bound_search_opENS9_16wrapped_functionINS8_7greaterIaEEbEEEE10hipError_tPvRmT1_T2_T3_mmT4_T5_P12ihipStream_tbEUlRKaE_EESS_SW_SX_mSY_S11_bEUlT_E_NS1_11comp_targetILNS1_3genE8ELNS1_11target_archE1030ELNS1_3gpuE2ELNS1_3repE0EEENS1_30default_config_static_selectorELNS0_4arch9wavefront6targetE0EEEvSV_.has_dyn_sized_stack, 0
	.set _ZN7rocprim17ROCPRIM_400000_NS6detail17trampoline_kernelINS0_14default_configENS1_27upper_bound_config_selectorIalEEZNS1_14transform_implILb0ES3_S5_N6thrust23THRUST_200600_302600_NS6detail15normal_iteratorINS8_7pointerIaNS8_11hip_rocprim3tagENS8_11use_defaultESE_EEEENSA_INSB_IlSD_SE_SE_EEEEZNS1_13binary_searchIS3_S5_NSA_INS8_10device_ptrIaEEEESG_SI_NS1_21upper_bound_search_opENS9_16wrapped_functionINS8_7greaterIaEEbEEEE10hipError_tPvRmT1_T2_T3_mmT4_T5_P12ihipStream_tbEUlRKaE_EESS_SW_SX_mSY_S11_bEUlT_E_NS1_11comp_targetILNS1_3genE8ELNS1_11target_archE1030ELNS1_3gpuE2ELNS1_3repE0EEENS1_30default_config_static_selectorELNS0_4arch9wavefront6targetE0EEEvSV_.has_recursion, 0
	.set _ZN7rocprim17ROCPRIM_400000_NS6detail17trampoline_kernelINS0_14default_configENS1_27upper_bound_config_selectorIalEEZNS1_14transform_implILb0ES3_S5_N6thrust23THRUST_200600_302600_NS6detail15normal_iteratorINS8_7pointerIaNS8_11hip_rocprim3tagENS8_11use_defaultESE_EEEENSA_INSB_IlSD_SE_SE_EEEEZNS1_13binary_searchIS3_S5_NSA_INS8_10device_ptrIaEEEESG_SI_NS1_21upper_bound_search_opENS9_16wrapped_functionINS8_7greaterIaEEbEEEE10hipError_tPvRmT1_T2_T3_mmT4_T5_P12ihipStream_tbEUlRKaE_EESS_SW_SX_mSY_S11_bEUlT_E_NS1_11comp_targetILNS1_3genE8ELNS1_11target_archE1030ELNS1_3gpuE2ELNS1_3repE0EEENS1_30default_config_static_selectorELNS0_4arch9wavefront6targetE0EEEvSV_.has_indirect_call, 0
	.section	.AMDGPU.csdata,"",@progbits
; Kernel info:
; codeLenInByte = 0
; TotalNumSgprs: 0
; NumVgprs: 0
; ScratchSize: 0
; MemoryBound: 0
; FloatMode: 240
; IeeeMode: 1
; LDSByteSize: 0 bytes/workgroup (compile time only)
; SGPRBlocks: 0
; VGPRBlocks: 0
; NumSGPRsForWavesPerEU: 1
; NumVGPRsForWavesPerEU: 1
; NamedBarCnt: 0
; Occupancy: 16
; WaveLimiterHint : 0
; COMPUTE_PGM_RSRC2:SCRATCH_EN: 0
; COMPUTE_PGM_RSRC2:USER_SGPR: 2
; COMPUTE_PGM_RSRC2:TRAP_HANDLER: 0
; COMPUTE_PGM_RSRC2:TGID_X_EN: 1
; COMPUTE_PGM_RSRC2:TGID_Y_EN: 0
; COMPUTE_PGM_RSRC2:TGID_Z_EN: 0
; COMPUTE_PGM_RSRC2:TIDIG_COMP_CNT: 0
	.section	.text._ZN7rocprim17ROCPRIM_400000_NS6detail17trampoline_kernelINS0_14default_configENS1_27upper_bound_config_selectorIslEEZNS1_14transform_implILb0ES3_S5_N6thrust23THRUST_200600_302600_NS6detail15normal_iteratorINS8_7pointerIsNS8_11hip_rocprim3tagENS8_11use_defaultESE_EEEENSA_INSB_IlSD_SE_SE_EEEEZNS1_13binary_searchIS3_S5_NSA_INS8_10device_ptrIsEEEESG_SI_NS1_21upper_bound_search_opENS9_16wrapped_functionINS8_7greaterIsEEbEEEE10hipError_tPvRmT1_T2_T3_mmT4_T5_P12ihipStream_tbEUlRKsE_EESS_SW_SX_mSY_S11_bEUlT_E_NS1_11comp_targetILNS1_3genE0ELNS1_11target_archE4294967295ELNS1_3gpuE0ELNS1_3repE0EEENS1_30default_config_static_selectorELNS0_4arch9wavefront6targetE0EEEvSV_,"axG",@progbits,_ZN7rocprim17ROCPRIM_400000_NS6detail17trampoline_kernelINS0_14default_configENS1_27upper_bound_config_selectorIslEEZNS1_14transform_implILb0ES3_S5_N6thrust23THRUST_200600_302600_NS6detail15normal_iteratorINS8_7pointerIsNS8_11hip_rocprim3tagENS8_11use_defaultESE_EEEENSA_INSB_IlSD_SE_SE_EEEEZNS1_13binary_searchIS3_S5_NSA_INS8_10device_ptrIsEEEESG_SI_NS1_21upper_bound_search_opENS9_16wrapped_functionINS8_7greaterIsEEbEEEE10hipError_tPvRmT1_T2_T3_mmT4_T5_P12ihipStream_tbEUlRKsE_EESS_SW_SX_mSY_S11_bEUlT_E_NS1_11comp_targetILNS1_3genE0ELNS1_11target_archE4294967295ELNS1_3gpuE0ELNS1_3repE0EEENS1_30default_config_static_selectorELNS0_4arch9wavefront6targetE0EEEvSV_,comdat
	.protected	_ZN7rocprim17ROCPRIM_400000_NS6detail17trampoline_kernelINS0_14default_configENS1_27upper_bound_config_selectorIslEEZNS1_14transform_implILb0ES3_S5_N6thrust23THRUST_200600_302600_NS6detail15normal_iteratorINS8_7pointerIsNS8_11hip_rocprim3tagENS8_11use_defaultESE_EEEENSA_INSB_IlSD_SE_SE_EEEEZNS1_13binary_searchIS3_S5_NSA_INS8_10device_ptrIsEEEESG_SI_NS1_21upper_bound_search_opENS9_16wrapped_functionINS8_7greaterIsEEbEEEE10hipError_tPvRmT1_T2_T3_mmT4_T5_P12ihipStream_tbEUlRKsE_EESS_SW_SX_mSY_S11_bEUlT_E_NS1_11comp_targetILNS1_3genE0ELNS1_11target_archE4294967295ELNS1_3gpuE0ELNS1_3repE0EEENS1_30default_config_static_selectorELNS0_4arch9wavefront6targetE0EEEvSV_ ; -- Begin function _ZN7rocprim17ROCPRIM_400000_NS6detail17trampoline_kernelINS0_14default_configENS1_27upper_bound_config_selectorIslEEZNS1_14transform_implILb0ES3_S5_N6thrust23THRUST_200600_302600_NS6detail15normal_iteratorINS8_7pointerIsNS8_11hip_rocprim3tagENS8_11use_defaultESE_EEEENSA_INSB_IlSD_SE_SE_EEEEZNS1_13binary_searchIS3_S5_NSA_INS8_10device_ptrIsEEEESG_SI_NS1_21upper_bound_search_opENS9_16wrapped_functionINS8_7greaterIsEEbEEEE10hipError_tPvRmT1_T2_T3_mmT4_T5_P12ihipStream_tbEUlRKsE_EESS_SW_SX_mSY_S11_bEUlT_E_NS1_11comp_targetILNS1_3genE0ELNS1_11target_archE4294967295ELNS1_3gpuE0ELNS1_3repE0EEENS1_30default_config_static_selectorELNS0_4arch9wavefront6targetE0EEEvSV_
	.globl	_ZN7rocprim17ROCPRIM_400000_NS6detail17trampoline_kernelINS0_14default_configENS1_27upper_bound_config_selectorIslEEZNS1_14transform_implILb0ES3_S5_N6thrust23THRUST_200600_302600_NS6detail15normal_iteratorINS8_7pointerIsNS8_11hip_rocprim3tagENS8_11use_defaultESE_EEEENSA_INSB_IlSD_SE_SE_EEEEZNS1_13binary_searchIS3_S5_NSA_INS8_10device_ptrIsEEEESG_SI_NS1_21upper_bound_search_opENS9_16wrapped_functionINS8_7greaterIsEEbEEEE10hipError_tPvRmT1_T2_T3_mmT4_T5_P12ihipStream_tbEUlRKsE_EESS_SW_SX_mSY_S11_bEUlT_E_NS1_11comp_targetILNS1_3genE0ELNS1_11target_archE4294967295ELNS1_3gpuE0ELNS1_3repE0EEENS1_30default_config_static_selectorELNS0_4arch9wavefront6targetE0EEEvSV_
	.p2align	8
	.type	_ZN7rocprim17ROCPRIM_400000_NS6detail17trampoline_kernelINS0_14default_configENS1_27upper_bound_config_selectorIslEEZNS1_14transform_implILb0ES3_S5_N6thrust23THRUST_200600_302600_NS6detail15normal_iteratorINS8_7pointerIsNS8_11hip_rocprim3tagENS8_11use_defaultESE_EEEENSA_INSB_IlSD_SE_SE_EEEEZNS1_13binary_searchIS3_S5_NSA_INS8_10device_ptrIsEEEESG_SI_NS1_21upper_bound_search_opENS9_16wrapped_functionINS8_7greaterIsEEbEEEE10hipError_tPvRmT1_T2_T3_mmT4_T5_P12ihipStream_tbEUlRKsE_EESS_SW_SX_mSY_S11_bEUlT_E_NS1_11comp_targetILNS1_3genE0ELNS1_11target_archE4294967295ELNS1_3gpuE0ELNS1_3repE0EEENS1_30default_config_static_selectorELNS0_4arch9wavefront6targetE0EEEvSV_,@function
_ZN7rocprim17ROCPRIM_400000_NS6detail17trampoline_kernelINS0_14default_configENS1_27upper_bound_config_selectorIslEEZNS1_14transform_implILb0ES3_S5_N6thrust23THRUST_200600_302600_NS6detail15normal_iteratorINS8_7pointerIsNS8_11hip_rocprim3tagENS8_11use_defaultESE_EEEENSA_INSB_IlSD_SE_SE_EEEEZNS1_13binary_searchIS3_S5_NSA_INS8_10device_ptrIsEEEESG_SI_NS1_21upper_bound_search_opENS9_16wrapped_functionINS8_7greaterIsEEbEEEE10hipError_tPvRmT1_T2_T3_mmT4_T5_P12ihipStream_tbEUlRKsE_EESS_SW_SX_mSY_S11_bEUlT_E_NS1_11comp_targetILNS1_3genE0ELNS1_11target_archE4294967295ELNS1_3gpuE0ELNS1_3repE0EEENS1_30default_config_static_selectorELNS0_4arch9wavefront6targetE0EEEvSV_: ; @_ZN7rocprim17ROCPRIM_400000_NS6detail17trampoline_kernelINS0_14default_configENS1_27upper_bound_config_selectorIslEEZNS1_14transform_implILb0ES3_S5_N6thrust23THRUST_200600_302600_NS6detail15normal_iteratorINS8_7pointerIsNS8_11hip_rocprim3tagENS8_11use_defaultESE_EEEENSA_INSB_IlSD_SE_SE_EEEEZNS1_13binary_searchIS3_S5_NSA_INS8_10device_ptrIsEEEESG_SI_NS1_21upper_bound_search_opENS9_16wrapped_functionINS8_7greaterIsEEbEEEE10hipError_tPvRmT1_T2_T3_mmT4_T5_P12ihipStream_tbEUlRKsE_EESS_SW_SX_mSY_S11_bEUlT_E_NS1_11comp_targetILNS1_3genE0ELNS1_11target_archE4294967295ELNS1_3gpuE0ELNS1_3repE0EEENS1_30default_config_static_selectorELNS0_4arch9wavefront6targetE0EEEvSV_
; %bb.0:
	s_clause 0x3
	s_load_b128 s[12:15], s[0:1], 0x0
	s_load_b128 s[4:7], s[0:1], 0x18
	s_load_b32 s16, s[0:1], 0x38
	s_load_b64 s[8:9], s[0:1], 0x28
	s_bfe_u32 s2, ttmp6, 0x4000c
	s_and_b32 s3, ttmp6, 15
	s_add_co_i32 s2, s2, 1
	s_getreg_b32 s10, hwreg(HW_REG_IB_STS2, 6, 4)
	s_mul_i32 s2, ttmp9, s2
	s_delay_alu instid0(SALU_CYCLE_1)
	s_add_co_i32 s17, s3, s2
	s_wait_kmcnt 0x0
	s_lshl_b64 s[2:3], s[14:15], 1
	s_lshl_b64 s[14:15], s[14:15], 3
	s_cmp_eq_u32 s10, 0
	s_add_nc_u64 s[10:11], s[12:13], s[2:3]
	s_cselect_b32 s12, ttmp9, s17
	s_add_co_i32 s16, s16, -1
	s_add_nc_u64 s[2:3], s[4:5], s[14:15]
	s_lshl_b32 s4, s12, 7
	s_mov_b32 s5, 0
	s_cmp_lg_u32 s12, s16
	s_mov_b32 s12, -1
	s_cbranch_scc0 .LBB86_7
; %bb.1:
	s_cmp_eq_u64 s[8:9], 0
	s_cbranch_scc1 .LBB86_5
; %bb.2:
	s_lshl_b64 s[12:13], s[4:5], 1
	v_mov_b64_e32 v[2:3], 0
	s_add_nc_u64 s[12:13], s[10:11], s[12:13]
	v_mov_b64_e32 v[4:5], s[8:9]
	flat_load_u16 v1, v0, s[12:13] scale_offset
	s_wait_xcnt 0x0
	s_mov_b32 s12, 0
.LBB86_3:                               ; =>This Inner Loop Header: Depth=1
	v_sub_nc_u64_e32 v[6:7], v[4:5], v[2:3]
	s_delay_alu instid0(VALU_DEP_1) | instskip(SKIP_1) | instid1(VALU_DEP_2)
	v_lshrrev_b64 v[8:9], 1, v[6:7]
	v_lshrrev_b64 v[6:7], 6, v[6:7]
	v_add_nc_u64_e32 v[8:9], v[8:9], v[2:3]
	s_delay_alu instid0(VALU_DEP_1) | instskip(NEXT) | instid1(VALU_DEP_1)
	v_add_nc_u64_e32 v[6:7], v[8:9], v[6:7]
	v_lshl_add_u64 v[8:9], v[6:7], 1, s[6:7]
	global_load_u16 v10, v[8:9], off
	s_wait_xcnt 0x0
	v_add_nc_u64_e32 v[8:9], 1, v[6:7]
	s_wait_loadcnt_dscnt 0x0
	v_cmp_gt_i16_e32 vcc_lo, v1, v10
	v_dual_cndmask_b32 v5, v5, v7 :: v_dual_cndmask_b32 v4, v4, v6
	s_delay_alu instid0(VALU_DEP_3) | instskip(NEXT) | instid1(VALU_DEP_1)
	v_dual_cndmask_b32 v3, v9, v3 :: v_dual_cndmask_b32 v2, v8, v2
	v_cmp_ge_u64_e32 vcc_lo, v[2:3], v[4:5]
	s_or_b32 s12, vcc_lo, s12
	s_delay_alu instid0(SALU_CYCLE_1)
	s_and_not1_b32 exec_lo, exec_lo, s12
	s_cbranch_execnz .LBB86_3
; %bb.4:
	s_or_b32 exec_lo, exec_lo, s12
	s_branch .LBB86_6
.LBB86_5:
	v_mov_b64_e32 v[2:3], 0
.LBB86_6:
	s_lshl_b64 s[12:13], s[4:5], 3
	s_delay_alu instid0(SALU_CYCLE_1)
	s_add_nc_u64 s[14:15], s[2:3], s[12:13]
	s_mov_b32 s12, 0
	flat_store_b64 v0, v[2:3], s[14:15] scale_offset
.LBB86_7:
	s_and_b32 vcc_lo, exec_lo, s12
	s_cbranch_vccz .LBB86_16
; %bb.8:
	s_load_b32 s0, s[0:1], 0x10
                                        ; implicit-def: $vgpr1
	s_wait_kmcnt 0x0
	s_sub_co_i32 s1, s0, s4
	s_delay_alu instid0(SALU_CYCLE_1)
	v_cmp_le_u32_e64 s0, s1, v0
	v_cmp_gt_u32_e32 vcc_lo, s1, v0
	s_and_saveexec_b32 s1, vcc_lo
	s_cbranch_execz .LBB86_10
; %bb.9:
	s_lshl_b64 s[12:13], s[4:5], 1
	s_delay_alu instid0(SALU_CYCLE_1)
	s_add_nc_u64 s[10:11], s[10:11], s[12:13]
	flat_load_u16 v1, v0, s[10:11] scale_offset
.LBB86_10:
	s_wait_xcnt 0x0
	s_or_b32 exec_lo, exec_lo, s1
	v_mov_b64_e32 v[2:3], 0
	s_cmp_lg_u64 s[8:9], 0
	s_cselect_b32 s1, -1, 0
	s_xor_b32 s0, s0, -1
	s_delay_alu instid0(SALU_CYCLE_1) | instskip(NEXT) | instid1(SALU_CYCLE_1)
	s_and_b32 s0, s0, s1
	s_and_saveexec_b32 s1, s0
	s_cbranch_execz .LBB86_14
; %bb.11:
	v_mov_b64_e32 v[2:3], 0
	v_mov_b64_e32 v[4:5], s[8:9]
	s_mov_b32 s8, 0
.LBB86_12:                              ; =>This Inner Loop Header: Depth=1
	s_delay_alu instid0(VALU_DEP_1) | instskip(NEXT) | instid1(VALU_DEP_1)
	v_sub_nc_u64_e32 v[6:7], v[4:5], v[2:3]
	v_lshrrev_b64 v[8:9], 1, v[6:7]
	v_lshrrev_b64 v[6:7], 6, v[6:7]
	s_delay_alu instid0(VALU_DEP_2) | instskip(NEXT) | instid1(VALU_DEP_1)
	v_add_nc_u64_e32 v[8:9], v[8:9], v[2:3]
	v_add_nc_u64_e32 v[6:7], v[8:9], v[6:7]
	s_delay_alu instid0(VALU_DEP_1)
	v_lshl_add_u64 v[8:9], v[6:7], 1, s[6:7]
	global_load_u16 v10, v[8:9], off
	s_wait_xcnt 0x0
	v_add_nc_u64_e32 v[8:9], 1, v[6:7]
	s_wait_loadcnt_dscnt 0x0
	v_cmp_gt_i16_e64 s0, v1, v10
	s_delay_alu instid0(VALU_DEP_1) | instskip(NEXT) | instid1(VALU_DEP_3)
	v_dual_cndmask_b32 v5, v5, v7, s0 :: v_dual_cndmask_b32 v4, v4, v6, s0
	v_dual_cndmask_b32 v3, v9, v3, s0 :: v_dual_cndmask_b32 v2, v8, v2, s0
	s_delay_alu instid0(VALU_DEP_1) | instskip(SKIP_1) | instid1(SALU_CYCLE_1)
	v_cmp_ge_u64_e64 s0, v[2:3], v[4:5]
	s_or_b32 s8, s0, s8
	s_and_not1_b32 exec_lo, exec_lo, s8
	s_cbranch_execnz .LBB86_12
; %bb.13:
	s_or_b32 exec_lo, exec_lo, s8
.LBB86_14:
	s_delay_alu instid0(SALU_CYCLE_1)
	s_or_b32 exec_lo, exec_lo, s1
	s_and_saveexec_b32 s0, vcc_lo
	s_cbranch_execz .LBB86_16
; %bb.15:
	s_lshl_b64 s[0:1], s[4:5], 3
	s_delay_alu instid0(SALU_CYCLE_1)
	s_add_nc_u64 s[0:1], s[2:3], s[0:1]
	flat_store_b64 v0, v[2:3], s[0:1] scale_offset
.LBB86_16:
	s_endpgm
	.section	.rodata,"a",@progbits
	.p2align	6, 0x0
	.amdhsa_kernel _ZN7rocprim17ROCPRIM_400000_NS6detail17trampoline_kernelINS0_14default_configENS1_27upper_bound_config_selectorIslEEZNS1_14transform_implILb0ES3_S5_N6thrust23THRUST_200600_302600_NS6detail15normal_iteratorINS8_7pointerIsNS8_11hip_rocprim3tagENS8_11use_defaultESE_EEEENSA_INSB_IlSD_SE_SE_EEEEZNS1_13binary_searchIS3_S5_NSA_INS8_10device_ptrIsEEEESG_SI_NS1_21upper_bound_search_opENS9_16wrapped_functionINS8_7greaterIsEEbEEEE10hipError_tPvRmT1_T2_T3_mmT4_T5_P12ihipStream_tbEUlRKsE_EESS_SW_SX_mSY_S11_bEUlT_E_NS1_11comp_targetILNS1_3genE0ELNS1_11target_archE4294967295ELNS1_3gpuE0ELNS1_3repE0EEENS1_30default_config_static_selectorELNS0_4arch9wavefront6targetE0EEEvSV_
		.amdhsa_group_segment_fixed_size 0
		.amdhsa_private_segment_fixed_size 0
		.amdhsa_kernarg_size 312
		.amdhsa_user_sgpr_count 2
		.amdhsa_user_sgpr_dispatch_ptr 0
		.amdhsa_user_sgpr_queue_ptr 0
		.amdhsa_user_sgpr_kernarg_segment_ptr 1
		.amdhsa_user_sgpr_dispatch_id 0
		.amdhsa_user_sgpr_kernarg_preload_length 0
		.amdhsa_user_sgpr_kernarg_preload_offset 0
		.amdhsa_user_sgpr_private_segment_size 0
		.amdhsa_wavefront_size32 1
		.amdhsa_uses_dynamic_stack 0
		.amdhsa_enable_private_segment 0
		.amdhsa_system_sgpr_workgroup_id_x 1
		.amdhsa_system_sgpr_workgroup_id_y 0
		.amdhsa_system_sgpr_workgroup_id_z 0
		.amdhsa_system_sgpr_workgroup_info 0
		.amdhsa_system_vgpr_workitem_id 0
		.amdhsa_next_free_vgpr 11
		.amdhsa_next_free_sgpr 18
		.amdhsa_named_barrier_count 0
		.amdhsa_reserve_vcc 1
		.amdhsa_float_round_mode_32 0
		.amdhsa_float_round_mode_16_64 0
		.amdhsa_float_denorm_mode_32 3
		.amdhsa_float_denorm_mode_16_64 3
		.amdhsa_fp16_overflow 0
		.amdhsa_memory_ordered 1
		.amdhsa_forward_progress 1
		.amdhsa_inst_pref_size 5
		.amdhsa_round_robin_scheduling 0
		.amdhsa_exception_fp_ieee_invalid_op 0
		.amdhsa_exception_fp_denorm_src 0
		.amdhsa_exception_fp_ieee_div_zero 0
		.amdhsa_exception_fp_ieee_overflow 0
		.amdhsa_exception_fp_ieee_underflow 0
		.amdhsa_exception_fp_ieee_inexact 0
		.amdhsa_exception_int_div_zero 0
	.end_amdhsa_kernel
	.section	.text._ZN7rocprim17ROCPRIM_400000_NS6detail17trampoline_kernelINS0_14default_configENS1_27upper_bound_config_selectorIslEEZNS1_14transform_implILb0ES3_S5_N6thrust23THRUST_200600_302600_NS6detail15normal_iteratorINS8_7pointerIsNS8_11hip_rocprim3tagENS8_11use_defaultESE_EEEENSA_INSB_IlSD_SE_SE_EEEEZNS1_13binary_searchIS3_S5_NSA_INS8_10device_ptrIsEEEESG_SI_NS1_21upper_bound_search_opENS9_16wrapped_functionINS8_7greaterIsEEbEEEE10hipError_tPvRmT1_T2_T3_mmT4_T5_P12ihipStream_tbEUlRKsE_EESS_SW_SX_mSY_S11_bEUlT_E_NS1_11comp_targetILNS1_3genE0ELNS1_11target_archE4294967295ELNS1_3gpuE0ELNS1_3repE0EEENS1_30default_config_static_selectorELNS0_4arch9wavefront6targetE0EEEvSV_,"axG",@progbits,_ZN7rocprim17ROCPRIM_400000_NS6detail17trampoline_kernelINS0_14default_configENS1_27upper_bound_config_selectorIslEEZNS1_14transform_implILb0ES3_S5_N6thrust23THRUST_200600_302600_NS6detail15normal_iteratorINS8_7pointerIsNS8_11hip_rocprim3tagENS8_11use_defaultESE_EEEENSA_INSB_IlSD_SE_SE_EEEEZNS1_13binary_searchIS3_S5_NSA_INS8_10device_ptrIsEEEESG_SI_NS1_21upper_bound_search_opENS9_16wrapped_functionINS8_7greaterIsEEbEEEE10hipError_tPvRmT1_T2_T3_mmT4_T5_P12ihipStream_tbEUlRKsE_EESS_SW_SX_mSY_S11_bEUlT_E_NS1_11comp_targetILNS1_3genE0ELNS1_11target_archE4294967295ELNS1_3gpuE0ELNS1_3repE0EEENS1_30default_config_static_selectorELNS0_4arch9wavefront6targetE0EEEvSV_,comdat
.Lfunc_end86:
	.size	_ZN7rocprim17ROCPRIM_400000_NS6detail17trampoline_kernelINS0_14default_configENS1_27upper_bound_config_selectorIslEEZNS1_14transform_implILb0ES3_S5_N6thrust23THRUST_200600_302600_NS6detail15normal_iteratorINS8_7pointerIsNS8_11hip_rocprim3tagENS8_11use_defaultESE_EEEENSA_INSB_IlSD_SE_SE_EEEEZNS1_13binary_searchIS3_S5_NSA_INS8_10device_ptrIsEEEESG_SI_NS1_21upper_bound_search_opENS9_16wrapped_functionINS8_7greaterIsEEbEEEE10hipError_tPvRmT1_T2_T3_mmT4_T5_P12ihipStream_tbEUlRKsE_EESS_SW_SX_mSY_S11_bEUlT_E_NS1_11comp_targetILNS1_3genE0ELNS1_11target_archE4294967295ELNS1_3gpuE0ELNS1_3repE0EEENS1_30default_config_static_selectorELNS0_4arch9wavefront6targetE0EEEvSV_, .Lfunc_end86-_ZN7rocprim17ROCPRIM_400000_NS6detail17trampoline_kernelINS0_14default_configENS1_27upper_bound_config_selectorIslEEZNS1_14transform_implILb0ES3_S5_N6thrust23THRUST_200600_302600_NS6detail15normal_iteratorINS8_7pointerIsNS8_11hip_rocprim3tagENS8_11use_defaultESE_EEEENSA_INSB_IlSD_SE_SE_EEEEZNS1_13binary_searchIS3_S5_NSA_INS8_10device_ptrIsEEEESG_SI_NS1_21upper_bound_search_opENS9_16wrapped_functionINS8_7greaterIsEEbEEEE10hipError_tPvRmT1_T2_T3_mmT4_T5_P12ihipStream_tbEUlRKsE_EESS_SW_SX_mSY_S11_bEUlT_E_NS1_11comp_targetILNS1_3genE0ELNS1_11target_archE4294967295ELNS1_3gpuE0ELNS1_3repE0EEENS1_30default_config_static_selectorELNS0_4arch9wavefront6targetE0EEEvSV_
                                        ; -- End function
	.set _ZN7rocprim17ROCPRIM_400000_NS6detail17trampoline_kernelINS0_14default_configENS1_27upper_bound_config_selectorIslEEZNS1_14transform_implILb0ES3_S5_N6thrust23THRUST_200600_302600_NS6detail15normal_iteratorINS8_7pointerIsNS8_11hip_rocprim3tagENS8_11use_defaultESE_EEEENSA_INSB_IlSD_SE_SE_EEEEZNS1_13binary_searchIS3_S5_NSA_INS8_10device_ptrIsEEEESG_SI_NS1_21upper_bound_search_opENS9_16wrapped_functionINS8_7greaterIsEEbEEEE10hipError_tPvRmT1_T2_T3_mmT4_T5_P12ihipStream_tbEUlRKsE_EESS_SW_SX_mSY_S11_bEUlT_E_NS1_11comp_targetILNS1_3genE0ELNS1_11target_archE4294967295ELNS1_3gpuE0ELNS1_3repE0EEENS1_30default_config_static_selectorELNS0_4arch9wavefront6targetE0EEEvSV_.num_vgpr, 11
	.set _ZN7rocprim17ROCPRIM_400000_NS6detail17trampoline_kernelINS0_14default_configENS1_27upper_bound_config_selectorIslEEZNS1_14transform_implILb0ES3_S5_N6thrust23THRUST_200600_302600_NS6detail15normal_iteratorINS8_7pointerIsNS8_11hip_rocprim3tagENS8_11use_defaultESE_EEEENSA_INSB_IlSD_SE_SE_EEEEZNS1_13binary_searchIS3_S5_NSA_INS8_10device_ptrIsEEEESG_SI_NS1_21upper_bound_search_opENS9_16wrapped_functionINS8_7greaterIsEEbEEEE10hipError_tPvRmT1_T2_T3_mmT4_T5_P12ihipStream_tbEUlRKsE_EESS_SW_SX_mSY_S11_bEUlT_E_NS1_11comp_targetILNS1_3genE0ELNS1_11target_archE4294967295ELNS1_3gpuE0ELNS1_3repE0EEENS1_30default_config_static_selectorELNS0_4arch9wavefront6targetE0EEEvSV_.num_agpr, 0
	.set _ZN7rocprim17ROCPRIM_400000_NS6detail17trampoline_kernelINS0_14default_configENS1_27upper_bound_config_selectorIslEEZNS1_14transform_implILb0ES3_S5_N6thrust23THRUST_200600_302600_NS6detail15normal_iteratorINS8_7pointerIsNS8_11hip_rocprim3tagENS8_11use_defaultESE_EEEENSA_INSB_IlSD_SE_SE_EEEEZNS1_13binary_searchIS3_S5_NSA_INS8_10device_ptrIsEEEESG_SI_NS1_21upper_bound_search_opENS9_16wrapped_functionINS8_7greaterIsEEbEEEE10hipError_tPvRmT1_T2_T3_mmT4_T5_P12ihipStream_tbEUlRKsE_EESS_SW_SX_mSY_S11_bEUlT_E_NS1_11comp_targetILNS1_3genE0ELNS1_11target_archE4294967295ELNS1_3gpuE0ELNS1_3repE0EEENS1_30default_config_static_selectorELNS0_4arch9wavefront6targetE0EEEvSV_.numbered_sgpr, 18
	.set _ZN7rocprim17ROCPRIM_400000_NS6detail17trampoline_kernelINS0_14default_configENS1_27upper_bound_config_selectorIslEEZNS1_14transform_implILb0ES3_S5_N6thrust23THRUST_200600_302600_NS6detail15normal_iteratorINS8_7pointerIsNS8_11hip_rocprim3tagENS8_11use_defaultESE_EEEENSA_INSB_IlSD_SE_SE_EEEEZNS1_13binary_searchIS3_S5_NSA_INS8_10device_ptrIsEEEESG_SI_NS1_21upper_bound_search_opENS9_16wrapped_functionINS8_7greaterIsEEbEEEE10hipError_tPvRmT1_T2_T3_mmT4_T5_P12ihipStream_tbEUlRKsE_EESS_SW_SX_mSY_S11_bEUlT_E_NS1_11comp_targetILNS1_3genE0ELNS1_11target_archE4294967295ELNS1_3gpuE0ELNS1_3repE0EEENS1_30default_config_static_selectorELNS0_4arch9wavefront6targetE0EEEvSV_.num_named_barrier, 0
	.set _ZN7rocprim17ROCPRIM_400000_NS6detail17trampoline_kernelINS0_14default_configENS1_27upper_bound_config_selectorIslEEZNS1_14transform_implILb0ES3_S5_N6thrust23THRUST_200600_302600_NS6detail15normal_iteratorINS8_7pointerIsNS8_11hip_rocprim3tagENS8_11use_defaultESE_EEEENSA_INSB_IlSD_SE_SE_EEEEZNS1_13binary_searchIS3_S5_NSA_INS8_10device_ptrIsEEEESG_SI_NS1_21upper_bound_search_opENS9_16wrapped_functionINS8_7greaterIsEEbEEEE10hipError_tPvRmT1_T2_T3_mmT4_T5_P12ihipStream_tbEUlRKsE_EESS_SW_SX_mSY_S11_bEUlT_E_NS1_11comp_targetILNS1_3genE0ELNS1_11target_archE4294967295ELNS1_3gpuE0ELNS1_3repE0EEENS1_30default_config_static_selectorELNS0_4arch9wavefront6targetE0EEEvSV_.private_seg_size, 0
	.set _ZN7rocprim17ROCPRIM_400000_NS6detail17trampoline_kernelINS0_14default_configENS1_27upper_bound_config_selectorIslEEZNS1_14transform_implILb0ES3_S5_N6thrust23THRUST_200600_302600_NS6detail15normal_iteratorINS8_7pointerIsNS8_11hip_rocprim3tagENS8_11use_defaultESE_EEEENSA_INSB_IlSD_SE_SE_EEEEZNS1_13binary_searchIS3_S5_NSA_INS8_10device_ptrIsEEEESG_SI_NS1_21upper_bound_search_opENS9_16wrapped_functionINS8_7greaterIsEEbEEEE10hipError_tPvRmT1_T2_T3_mmT4_T5_P12ihipStream_tbEUlRKsE_EESS_SW_SX_mSY_S11_bEUlT_E_NS1_11comp_targetILNS1_3genE0ELNS1_11target_archE4294967295ELNS1_3gpuE0ELNS1_3repE0EEENS1_30default_config_static_selectorELNS0_4arch9wavefront6targetE0EEEvSV_.uses_vcc, 1
	.set _ZN7rocprim17ROCPRIM_400000_NS6detail17trampoline_kernelINS0_14default_configENS1_27upper_bound_config_selectorIslEEZNS1_14transform_implILb0ES3_S5_N6thrust23THRUST_200600_302600_NS6detail15normal_iteratorINS8_7pointerIsNS8_11hip_rocprim3tagENS8_11use_defaultESE_EEEENSA_INSB_IlSD_SE_SE_EEEEZNS1_13binary_searchIS3_S5_NSA_INS8_10device_ptrIsEEEESG_SI_NS1_21upper_bound_search_opENS9_16wrapped_functionINS8_7greaterIsEEbEEEE10hipError_tPvRmT1_T2_T3_mmT4_T5_P12ihipStream_tbEUlRKsE_EESS_SW_SX_mSY_S11_bEUlT_E_NS1_11comp_targetILNS1_3genE0ELNS1_11target_archE4294967295ELNS1_3gpuE0ELNS1_3repE0EEENS1_30default_config_static_selectorELNS0_4arch9wavefront6targetE0EEEvSV_.uses_flat_scratch, 0
	.set _ZN7rocprim17ROCPRIM_400000_NS6detail17trampoline_kernelINS0_14default_configENS1_27upper_bound_config_selectorIslEEZNS1_14transform_implILb0ES3_S5_N6thrust23THRUST_200600_302600_NS6detail15normal_iteratorINS8_7pointerIsNS8_11hip_rocprim3tagENS8_11use_defaultESE_EEEENSA_INSB_IlSD_SE_SE_EEEEZNS1_13binary_searchIS3_S5_NSA_INS8_10device_ptrIsEEEESG_SI_NS1_21upper_bound_search_opENS9_16wrapped_functionINS8_7greaterIsEEbEEEE10hipError_tPvRmT1_T2_T3_mmT4_T5_P12ihipStream_tbEUlRKsE_EESS_SW_SX_mSY_S11_bEUlT_E_NS1_11comp_targetILNS1_3genE0ELNS1_11target_archE4294967295ELNS1_3gpuE0ELNS1_3repE0EEENS1_30default_config_static_selectorELNS0_4arch9wavefront6targetE0EEEvSV_.has_dyn_sized_stack, 0
	.set _ZN7rocprim17ROCPRIM_400000_NS6detail17trampoline_kernelINS0_14default_configENS1_27upper_bound_config_selectorIslEEZNS1_14transform_implILb0ES3_S5_N6thrust23THRUST_200600_302600_NS6detail15normal_iteratorINS8_7pointerIsNS8_11hip_rocprim3tagENS8_11use_defaultESE_EEEENSA_INSB_IlSD_SE_SE_EEEEZNS1_13binary_searchIS3_S5_NSA_INS8_10device_ptrIsEEEESG_SI_NS1_21upper_bound_search_opENS9_16wrapped_functionINS8_7greaterIsEEbEEEE10hipError_tPvRmT1_T2_T3_mmT4_T5_P12ihipStream_tbEUlRKsE_EESS_SW_SX_mSY_S11_bEUlT_E_NS1_11comp_targetILNS1_3genE0ELNS1_11target_archE4294967295ELNS1_3gpuE0ELNS1_3repE0EEENS1_30default_config_static_selectorELNS0_4arch9wavefront6targetE0EEEvSV_.has_recursion, 0
	.set _ZN7rocprim17ROCPRIM_400000_NS6detail17trampoline_kernelINS0_14default_configENS1_27upper_bound_config_selectorIslEEZNS1_14transform_implILb0ES3_S5_N6thrust23THRUST_200600_302600_NS6detail15normal_iteratorINS8_7pointerIsNS8_11hip_rocprim3tagENS8_11use_defaultESE_EEEENSA_INSB_IlSD_SE_SE_EEEEZNS1_13binary_searchIS3_S5_NSA_INS8_10device_ptrIsEEEESG_SI_NS1_21upper_bound_search_opENS9_16wrapped_functionINS8_7greaterIsEEbEEEE10hipError_tPvRmT1_T2_T3_mmT4_T5_P12ihipStream_tbEUlRKsE_EESS_SW_SX_mSY_S11_bEUlT_E_NS1_11comp_targetILNS1_3genE0ELNS1_11target_archE4294967295ELNS1_3gpuE0ELNS1_3repE0EEENS1_30default_config_static_selectorELNS0_4arch9wavefront6targetE0EEEvSV_.has_indirect_call, 0
	.section	.AMDGPU.csdata,"",@progbits
; Kernel info:
; codeLenInByte = 620
; TotalNumSgprs: 20
; NumVgprs: 11
; ScratchSize: 0
; MemoryBound: 0
; FloatMode: 240
; IeeeMode: 1
; LDSByteSize: 0 bytes/workgroup (compile time only)
; SGPRBlocks: 0
; VGPRBlocks: 0
; NumSGPRsForWavesPerEU: 20
; NumVGPRsForWavesPerEU: 11
; NamedBarCnt: 0
; Occupancy: 16
; WaveLimiterHint : 0
; COMPUTE_PGM_RSRC2:SCRATCH_EN: 0
; COMPUTE_PGM_RSRC2:USER_SGPR: 2
; COMPUTE_PGM_RSRC2:TRAP_HANDLER: 0
; COMPUTE_PGM_RSRC2:TGID_X_EN: 1
; COMPUTE_PGM_RSRC2:TGID_Y_EN: 0
; COMPUTE_PGM_RSRC2:TGID_Z_EN: 0
; COMPUTE_PGM_RSRC2:TIDIG_COMP_CNT: 0
	.section	.text._ZN7rocprim17ROCPRIM_400000_NS6detail17trampoline_kernelINS0_14default_configENS1_27upper_bound_config_selectorIslEEZNS1_14transform_implILb0ES3_S5_N6thrust23THRUST_200600_302600_NS6detail15normal_iteratorINS8_7pointerIsNS8_11hip_rocprim3tagENS8_11use_defaultESE_EEEENSA_INSB_IlSD_SE_SE_EEEEZNS1_13binary_searchIS3_S5_NSA_INS8_10device_ptrIsEEEESG_SI_NS1_21upper_bound_search_opENS9_16wrapped_functionINS8_7greaterIsEEbEEEE10hipError_tPvRmT1_T2_T3_mmT4_T5_P12ihipStream_tbEUlRKsE_EESS_SW_SX_mSY_S11_bEUlT_E_NS1_11comp_targetILNS1_3genE5ELNS1_11target_archE942ELNS1_3gpuE9ELNS1_3repE0EEENS1_30default_config_static_selectorELNS0_4arch9wavefront6targetE0EEEvSV_,"axG",@progbits,_ZN7rocprim17ROCPRIM_400000_NS6detail17trampoline_kernelINS0_14default_configENS1_27upper_bound_config_selectorIslEEZNS1_14transform_implILb0ES3_S5_N6thrust23THRUST_200600_302600_NS6detail15normal_iteratorINS8_7pointerIsNS8_11hip_rocprim3tagENS8_11use_defaultESE_EEEENSA_INSB_IlSD_SE_SE_EEEEZNS1_13binary_searchIS3_S5_NSA_INS8_10device_ptrIsEEEESG_SI_NS1_21upper_bound_search_opENS9_16wrapped_functionINS8_7greaterIsEEbEEEE10hipError_tPvRmT1_T2_T3_mmT4_T5_P12ihipStream_tbEUlRKsE_EESS_SW_SX_mSY_S11_bEUlT_E_NS1_11comp_targetILNS1_3genE5ELNS1_11target_archE942ELNS1_3gpuE9ELNS1_3repE0EEENS1_30default_config_static_selectorELNS0_4arch9wavefront6targetE0EEEvSV_,comdat
	.protected	_ZN7rocprim17ROCPRIM_400000_NS6detail17trampoline_kernelINS0_14default_configENS1_27upper_bound_config_selectorIslEEZNS1_14transform_implILb0ES3_S5_N6thrust23THRUST_200600_302600_NS6detail15normal_iteratorINS8_7pointerIsNS8_11hip_rocprim3tagENS8_11use_defaultESE_EEEENSA_INSB_IlSD_SE_SE_EEEEZNS1_13binary_searchIS3_S5_NSA_INS8_10device_ptrIsEEEESG_SI_NS1_21upper_bound_search_opENS9_16wrapped_functionINS8_7greaterIsEEbEEEE10hipError_tPvRmT1_T2_T3_mmT4_T5_P12ihipStream_tbEUlRKsE_EESS_SW_SX_mSY_S11_bEUlT_E_NS1_11comp_targetILNS1_3genE5ELNS1_11target_archE942ELNS1_3gpuE9ELNS1_3repE0EEENS1_30default_config_static_selectorELNS0_4arch9wavefront6targetE0EEEvSV_ ; -- Begin function _ZN7rocprim17ROCPRIM_400000_NS6detail17trampoline_kernelINS0_14default_configENS1_27upper_bound_config_selectorIslEEZNS1_14transform_implILb0ES3_S5_N6thrust23THRUST_200600_302600_NS6detail15normal_iteratorINS8_7pointerIsNS8_11hip_rocprim3tagENS8_11use_defaultESE_EEEENSA_INSB_IlSD_SE_SE_EEEEZNS1_13binary_searchIS3_S5_NSA_INS8_10device_ptrIsEEEESG_SI_NS1_21upper_bound_search_opENS9_16wrapped_functionINS8_7greaterIsEEbEEEE10hipError_tPvRmT1_T2_T3_mmT4_T5_P12ihipStream_tbEUlRKsE_EESS_SW_SX_mSY_S11_bEUlT_E_NS1_11comp_targetILNS1_3genE5ELNS1_11target_archE942ELNS1_3gpuE9ELNS1_3repE0EEENS1_30default_config_static_selectorELNS0_4arch9wavefront6targetE0EEEvSV_
	.globl	_ZN7rocprim17ROCPRIM_400000_NS6detail17trampoline_kernelINS0_14default_configENS1_27upper_bound_config_selectorIslEEZNS1_14transform_implILb0ES3_S5_N6thrust23THRUST_200600_302600_NS6detail15normal_iteratorINS8_7pointerIsNS8_11hip_rocprim3tagENS8_11use_defaultESE_EEEENSA_INSB_IlSD_SE_SE_EEEEZNS1_13binary_searchIS3_S5_NSA_INS8_10device_ptrIsEEEESG_SI_NS1_21upper_bound_search_opENS9_16wrapped_functionINS8_7greaterIsEEbEEEE10hipError_tPvRmT1_T2_T3_mmT4_T5_P12ihipStream_tbEUlRKsE_EESS_SW_SX_mSY_S11_bEUlT_E_NS1_11comp_targetILNS1_3genE5ELNS1_11target_archE942ELNS1_3gpuE9ELNS1_3repE0EEENS1_30default_config_static_selectorELNS0_4arch9wavefront6targetE0EEEvSV_
	.p2align	8
	.type	_ZN7rocprim17ROCPRIM_400000_NS6detail17trampoline_kernelINS0_14default_configENS1_27upper_bound_config_selectorIslEEZNS1_14transform_implILb0ES3_S5_N6thrust23THRUST_200600_302600_NS6detail15normal_iteratorINS8_7pointerIsNS8_11hip_rocprim3tagENS8_11use_defaultESE_EEEENSA_INSB_IlSD_SE_SE_EEEEZNS1_13binary_searchIS3_S5_NSA_INS8_10device_ptrIsEEEESG_SI_NS1_21upper_bound_search_opENS9_16wrapped_functionINS8_7greaterIsEEbEEEE10hipError_tPvRmT1_T2_T3_mmT4_T5_P12ihipStream_tbEUlRKsE_EESS_SW_SX_mSY_S11_bEUlT_E_NS1_11comp_targetILNS1_3genE5ELNS1_11target_archE942ELNS1_3gpuE9ELNS1_3repE0EEENS1_30default_config_static_selectorELNS0_4arch9wavefront6targetE0EEEvSV_,@function
_ZN7rocprim17ROCPRIM_400000_NS6detail17trampoline_kernelINS0_14default_configENS1_27upper_bound_config_selectorIslEEZNS1_14transform_implILb0ES3_S5_N6thrust23THRUST_200600_302600_NS6detail15normal_iteratorINS8_7pointerIsNS8_11hip_rocprim3tagENS8_11use_defaultESE_EEEENSA_INSB_IlSD_SE_SE_EEEEZNS1_13binary_searchIS3_S5_NSA_INS8_10device_ptrIsEEEESG_SI_NS1_21upper_bound_search_opENS9_16wrapped_functionINS8_7greaterIsEEbEEEE10hipError_tPvRmT1_T2_T3_mmT4_T5_P12ihipStream_tbEUlRKsE_EESS_SW_SX_mSY_S11_bEUlT_E_NS1_11comp_targetILNS1_3genE5ELNS1_11target_archE942ELNS1_3gpuE9ELNS1_3repE0EEENS1_30default_config_static_selectorELNS0_4arch9wavefront6targetE0EEEvSV_: ; @_ZN7rocprim17ROCPRIM_400000_NS6detail17trampoline_kernelINS0_14default_configENS1_27upper_bound_config_selectorIslEEZNS1_14transform_implILb0ES3_S5_N6thrust23THRUST_200600_302600_NS6detail15normal_iteratorINS8_7pointerIsNS8_11hip_rocprim3tagENS8_11use_defaultESE_EEEENSA_INSB_IlSD_SE_SE_EEEEZNS1_13binary_searchIS3_S5_NSA_INS8_10device_ptrIsEEEESG_SI_NS1_21upper_bound_search_opENS9_16wrapped_functionINS8_7greaterIsEEbEEEE10hipError_tPvRmT1_T2_T3_mmT4_T5_P12ihipStream_tbEUlRKsE_EESS_SW_SX_mSY_S11_bEUlT_E_NS1_11comp_targetILNS1_3genE5ELNS1_11target_archE942ELNS1_3gpuE9ELNS1_3repE0EEENS1_30default_config_static_selectorELNS0_4arch9wavefront6targetE0EEEvSV_
; %bb.0:
	.section	.rodata,"a",@progbits
	.p2align	6, 0x0
	.amdhsa_kernel _ZN7rocprim17ROCPRIM_400000_NS6detail17trampoline_kernelINS0_14default_configENS1_27upper_bound_config_selectorIslEEZNS1_14transform_implILb0ES3_S5_N6thrust23THRUST_200600_302600_NS6detail15normal_iteratorINS8_7pointerIsNS8_11hip_rocprim3tagENS8_11use_defaultESE_EEEENSA_INSB_IlSD_SE_SE_EEEEZNS1_13binary_searchIS3_S5_NSA_INS8_10device_ptrIsEEEESG_SI_NS1_21upper_bound_search_opENS9_16wrapped_functionINS8_7greaterIsEEbEEEE10hipError_tPvRmT1_T2_T3_mmT4_T5_P12ihipStream_tbEUlRKsE_EESS_SW_SX_mSY_S11_bEUlT_E_NS1_11comp_targetILNS1_3genE5ELNS1_11target_archE942ELNS1_3gpuE9ELNS1_3repE0EEENS1_30default_config_static_selectorELNS0_4arch9wavefront6targetE0EEEvSV_
		.amdhsa_group_segment_fixed_size 0
		.amdhsa_private_segment_fixed_size 0
		.amdhsa_kernarg_size 56
		.amdhsa_user_sgpr_count 2
		.amdhsa_user_sgpr_dispatch_ptr 0
		.amdhsa_user_sgpr_queue_ptr 0
		.amdhsa_user_sgpr_kernarg_segment_ptr 1
		.amdhsa_user_sgpr_dispatch_id 0
		.amdhsa_user_sgpr_kernarg_preload_length 0
		.amdhsa_user_sgpr_kernarg_preload_offset 0
		.amdhsa_user_sgpr_private_segment_size 0
		.amdhsa_wavefront_size32 1
		.amdhsa_uses_dynamic_stack 0
		.amdhsa_enable_private_segment 0
		.amdhsa_system_sgpr_workgroup_id_x 1
		.amdhsa_system_sgpr_workgroup_id_y 0
		.amdhsa_system_sgpr_workgroup_id_z 0
		.amdhsa_system_sgpr_workgroup_info 0
		.amdhsa_system_vgpr_workitem_id 0
		.amdhsa_next_free_vgpr 1
		.amdhsa_next_free_sgpr 1
		.amdhsa_named_barrier_count 0
		.amdhsa_reserve_vcc 0
		.amdhsa_float_round_mode_32 0
		.amdhsa_float_round_mode_16_64 0
		.amdhsa_float_denorm_mode_32 3
		.amdhsa_float_denorm_mode_16_64 3
		.amdhsa_fp16_overflow 0
		.amdhsa_memory_ordered 1
		.amdhsa_forward_progress 1
		.amdhsa_inst_pref_size 0
		.amdhsa_round_robin_scheduling 0
		.amdhsa_exception_fp_ieee_invalid_op 0
		.amdhsa_exception_fp_denorm_src 0
		.amdhsa_exception_fp_ieee_div_zero 0
		.amdhsa_exception_fp_ieee_overflow 0
		.amdhsa_exception_fp_ieee_underflow 0
		.amdhsa_exception_fp_ieee_inexact 0
		.amdhsa_exception_int_div_zero 0
	.end_amdhsa_kernel
	.section	.text._ZN7rocprim17ROCPRIM_400000_NS6detail17trampoline_kernelINS0_14default_configENS1_27upper_bound_config_selectorIslEEZNS1_14transform_implILb0ES3_S5_N6thrust23THRUST_200600_302600_NS6detail15normal_iteratorINS8_7pointerIsNS8_11hip_rocprim3tagENS8_11use_defaultESE_EEEENSA_INSB_IlSD_SE_SE_EEEEZNS1_13binary_searchIS3_S5_NSA_INS8_10device_ptrIsEEEESG_SI_NS1_21upper_bound_search_opENS9_16wrapped_functionINS8_7greaterIsEEbEEEE10hipError_tPvRmT1_T2_T3_mmT4_T5_P12ihipStream_tbEUlRKsE_EESS_SW_SX_mSY_S11_bEUlT_E_NS1_11comp_targetILNS1_3genE5ELNS1_11target_archE942ELNS1_3gpuE9ELNS1_3repE0EEENS1_30default_config_static_selectorELNS0_4arch9wavefront6targetE0EEEvSV_,"axG",@progbits,_ZN7rocprim17ROCPRIM_400000_NS6detail17trampoline_kernelINS0_14default_configENS1_27upper_bound_config_selectorIslEEZNS1_14transform_implILb0ES3_S5_N6thrust23THRUST_200600_302600_NS6detail15normal_iteratorINS8_7pointerIsNS8_11hip_rocprim3tagENS8_11use_defaultESE_EEEENSA_INSB_IlSD_SE_SE_EEEEZNS1_13binary_searchIS3_S5_NSA_INS8_10device_ptrIsEEEESG_SI_NS1_21upper_bound_search_opENS9_16wrapped_functionINS8_7greaterIsEEbEEEE10hipError_tPvRmT1_T2_T3_mmT4_T5_P12ihipStream_tbEUlRKsE_EESS_SW_SX_mSY_S11_bEUlT_E_NS1_11comp_targetILNS1_3genE5ELNS1_11target_archE942ELNS1_3gpuE9ELNS1_3repE0EEENS1_30default_config_static_selectorELNS0_4arch9wavefront6targetE0EEEvSV_,comdat
.Lfunc_end87:
	.size	_ZN7rocprim17ROCPRIM_400000_NS6detail17trampoline_kernelINS0_14default_configENS1_27upper_bound_config_selectorIslEEZNS1_14transform_implILb0ES3_S5_N6thrust23THRUST_200600_302600_NS6detail15normal_iteratorINS8_7pointerIsNS8_11hip_rocprim3tagENS8_11use_defaultESE_EEEENSA_INSB_IlSD_SE_SE_EEEEZNS1_13binary_searchIS3_S5_NSA_INS8_10device_ptrIsEEEESG_SI_NS1_21upper_bound_search_opENS9_16wrapped_functionINS8_7greaterIsEEbEEEE10hipError_tPvRmT1_T2_T3_mmT4_T5_P12ihipStream_tbEUlRKsE_EESS_SW_SX_mSY_S11_bEUlT_E_NS1_11comp_targetILNS1_3genE5ELNS1_11target_archE942ELNS1_3gpuE9ELNS1_3repE0EEENS1_30default_config_static_selectorELNS0_4arch9wavefront6targetE0EEEvSV_, .Lfunc_end87-_ZN7rocprim17ROCPRIM_400000_NS6detail17trampoline_kernelINS0_14default_configENS1_27upper_bound_config_selectorIslEEZNS1_14transform_implILb0ES3_S5_N6thrust23THRUST_200600_302600_NS6detail15normal_iteratorINS8_7pointerIsNS8_11hip_rocprim3tagENS8_11use_defaultESE_EEEENSA_INSB_IlSD_SE_SE_EEEEZNS1_13binary_searchIS3_S5_NSA_INS8_10device_ptrIsEEEESG_SI_NS1_21upper_bound_search_opENS9_16wrapped_functionINS8_7greaterIsEEbEEEE10hipError_tPvRmT1_T2_T3_mmT4_T5_P12ihipStream_tbEUlRKsE_EESS_SW_SX_mSY_S11_bEUlT_E_NS1_11comp_targetILNS1_3genE5ELNS1_11target_archE942ELNS1_3gpuE9ELNS1_3repE0EEENS1_30default_config_static_selectorELNS0_4arch9wavefront6targetE0EEEvSV_
                                        ; -- End function
	.set _ZN7rocprim17ROCPRIM_400000_NS6detail17trampoline_kernelINS0_14default_configENS1_27upper_bound_config_selectorIslEEZNS1_14transform_implILb0ES3_S5_N6thrust23THRUST_200600_302600_NS6detail15normal_iteratorINS8_7pointerIsNS8_11hip_rocprim3tagENS8_11use_defaultESE_EEEENSA_INSB_IlSD_SE_SE_EEEEZNS1_13binary_searchIS3_S5_NSA_INS8_10device_ptrIsEEEESG_SI_NS1_21upper_bound_search_opENS9_16wrapped_functionINS8_7greaterIsEEbEEEE10hipError_tPvRmT1_T2_T3_mmT4_T5_P12ihipStream_tbEUlRKsE_EESS_SW_SX_mSY_S11_bEUlT_E_NS1_11comp_targetILNS1_3genE5ELNS1_11target_archE942ELNS1_3gpuE9ELNS1_3repE0EEENS1_30default_config_static_selectorELNS0_4arch9wavefront6targetE0EEEvSV_.num_vgpr, 0
	.set _ZN7rocprim17ROCPRIM_400000_NS6detail17trampoline_kernelINS0_14default_configENS1_27upper_bound_config_selectorIslEEZNS1_14transform_implILb0ES3_S5_N6thrust23THRUST_200600_302600_NS6detail15normal_iteratorINS8_7pointerIsNS8_11hip_rocprim3tagENS8_11use_defaultESE_EEEENSA_INSB_IlSD_SE_SE_EEEEZNS1_13binary_searchIS3_S5_NSA_INS8_10device_ptrIsEEEESG_SI_NS1_21upper_bound_search_opENS9_16wrapped_functionINS8_7greaterIsEEbEEEE10hipError_tPvRmT1_T2_T3_mmT4_T5_P12ihipStream_tbEUlRKsE_EESS_SW_SX_mSY_S11_bEUlT_E_NS1_11comp_targetILNS1_3genE5ELNS1_11target_archE942ELNS1_3gpuE9ELNS1_3repE0EEENS1_30default_config_static_selectorELNS0_4arch9wavefront6targetE0EEEvSV_.num_agpr, 0
	.set _ZN7rocprim17ROCPRIM_400000_NS6detail17trampoline_kernelINS0_14default_configENS1_27upper_bound_config_selectorIslEEZNS1_14transform_implILb0ES3_S5_N6thrust23THRUST_200600_302600_NS6detail15normal_iteratorINS8_7pointerIsNS8_11hip_rocprim3tagENS8_11use_defaultESE_EEEENSA_INSB_IlSD_SE_SE_EEEEZNS1_13binary_searchIS3_S5_NSA_INS8_10device_ptrIsEEEESG_SI_NS1_21upper_bound_search_opENS9_16wrapped_functionINS8_7greaterIsEEbEEEE10hipError_tPvRmT1_T2_T3_mmT4_T5_P12ihipStream_tbEUlRKsE_EESS_SW_SX_mSY_S11_bEUlT_E_NS1_11comp_targetILNS1_3genE5ELNS1_11target_archE942ELNS1_3gpuE9ELNS1_3repE0EEENS1_30default_config_static_selectorELNS0_4arch9wavefront6targetE0EEEvSV_.numbered_sgpr, 0
	.set _ZN7rocprim17ROCPRIM_400000_NS6detail17trampoline_kernelINS0_14default_configENS1_27upper_bound_config_selectorIslEEZNS1_14transform_implILb0ES3_S5_N6thrust23THRUST_200600_302600_NS6detail15normal_iteratorINS8_7pointerIsNS8_11hip_rocprim3tagENS8_11use_defaultESE_EEEENSA_INSB_IlSD_SE_SE_EEEEZNS1_13binary_searchIS3_S5_NSA_INS8_10device_ptrIsEEEESG_SI_NS1_21upper_bound_search_opENS9_16wrapped_functionINS8_7greaterIsEEbEEEE10hipError_tPvRmT1_T2_T3_mmT4_T5_P12ihipStream_tbEUlRKsE_EESS_SW_SX_mSY_S11_bEUlT_E_NS1_11comp_targetILNS1_3genE5ELNS1_11target_archE942ELNS1_3gpuE9ELNS1_3repE0EEENS1_30default_config_static_selectorELNS0_4arch9wavefront6targetE0EEEvSV_.num_named_barrier, 0
	.set _ZN7rocprim17ROCPRIM_400000_NS6detail17trampoline_kernelINS0_14default_configENS1_27upper_bound_config_selectorIslEEZNS1_14transform_implILb0ES3_S5_N6thrust23THRUST_200600_302600_NS6detail15normal_iteratorINS8_7pointerIsNS8_11hip_rocprim3tagENS8_11use_defaultESE_EEEENSA_INSB_IlSD_SE_SE_EEEEZNS1_13binary_searchIS3_S5_NSA_INS8_10device_ptrIsEEEESG_SI_NS1_21upper_bound_search_opENS9_16wrapped_functionINS8_7greaterIsEEbEEEE10hipError_tPvRmT1_T2_T3_mmT4_T5_P12ihipStream_tbEUlRKsE_EESS_SW_SX_mSY_S11_bEUlT_E_NS1_11comp_targetILNS1_3genE5ELNS1_11target_archE942ELNS1_3gpuE9ELNS1_3repE0EEENS1_30default_config_static_selectorELNS0_4arch9wavefront6targetE0EEEvSV_.private_seg_size, 0
	.set _ZN7rocprim17ROCPRIM_400000_NS6detail17trampoline_kernelINS0_14default_configENS1_27upper_bound_config_selectorIslEEZNS1_14transform_implILb0ES3_S5_N6thrust23THRUST_200600_302600_NS6detail15normal_iteratorINS8_7pointerIsNS8_11hip_rocprim3tagENS8_11use_defaultESE_EEEENSA_INSB_IlSD_SE_SE_EEEEZNS1_13binary_searchIS3_S5_NSA_INS8_10device_ptrIsEEEESG_SI_NS1_21upper_bound_search_opENS9_16wrapped_functionINS8_7greaterIsEEbEEEE10hipError_tPvRmT1_T2_T3_mmT4_T5_P12ihipStream_tbEUlRKsE_EESS_SW_SX_mSY_S11_bEUlT_E_NS1_11comp_targetILNS1_3genE5ELNS1_11target_archE942ELNS1_3gpuE9ELNS1_3repE0EEENS1_30default_config_static_selectorELNS0_4arch9wavefront6targetE0EEEvSV_.uses_vcc, 0
	.set _ZN7rocprim17ROCPRIM_400000_NS6detail17trampoline_kernelINS0_14default_configENS1_27upper_bound_config_selectorIslEEZNS1_14transform_implILb0ES3_S5_N6thrust23THRUST_200600_302600_NS6detail15normal_iteratorINS8_7pointerIsNS8_11hip_rocprim3tagENS8_11use_defaultESE_EEEENSA_INSB_IlSD_SE_SE_EEEEZNS1_13binary_searchIS3_S5_NSA_INS8_10device_ptrIsEEEESG_SI_NS1_21upper_bound_search_opENS9_16wrapped_functionINS8_7greaterIsEEbEEEE10hipError_tPvRmT1_T2_T3_mmT4_T5_P12ihipStream_tbEUlRKsE_EESS_SW_SX_mSY_S11_bEUlT_E_NS1_11comp_targetILNS1_3genE5ELNS1_11target_archE942ELNS1_3gpuE9ELNS1_3repE0EEENS1_30default_config_static_selectorELNS0_4arch9wavefront6targetE0EEEvSV_.uses_flat_scratch, 0
	.set _ZN7rocprim17ROCPRIM_400000_NS6detail17trampoline_kernelINS0_14default_configENS1_27upper_bound_config_selectorIslEEZNS1_14transform_implILb0ES3_S5_N6thrust23THRUST_200600_302600_NS6detail15normal_iteratorINS8_7pointerIsNS8_11hip_rocprim3tagENS8_11use_defaultESE_EEEENSA_INSB_IlSD_SE_SE_EEEEZNS1_13binary_searchIS3_S5_NSA_INS8_10device_ptrIsEEEESG_SI_NS1_21upper_bound_search_opENS9_16wrapped_functionINS8_7greaterIsEEbEEEE10hipError_tPvRmT1_T2_T3_mmT4_T5_P12ihipStream_tbEUlRKsE_EESS_SW_SX_mSY_S11_bEUlT_E_NS1_11comp_targetILNS1_3genE5ELNS1_11target_archE942ELNS1_3gpuE9ELNS1_3repE0EEENS1_30default_config_static_selectorELNS0_4arch9wavefront6targetE0EEEvSV_.has_dyn_sized_stack, 0
	.set _ZN7rocprim17ROCPRIM_400000_NS6detail17trampoline_kernelINS0_14default_configENS1_27upper_bound_config_selectorIslEEZNS1_14transform_implILb0ES3_S5_N6thrust23THRUST_200600_302600_NS6detail15normal_iteratorINS8_7pointerIsNS8_11hip_rocprim3tagENS8_11use_defaultESE_EEEENSA_INSB_IlSD_SE_SE_EEEEZNS1_13binary_searchIS3_S5_NSA_INS8_10device_ptrIsEEEESG_SI_NS1_21upper_bound_search_opENS9_16wrapped_functionINS8_7greaterIsEEbEEEE10hipError_tPvRmT1_T2_T3_mmT4_T5_P12ihipStream_tbEUlRKsE_EESS_SW_SX_mSY_S11_bEUlT_E_NS1_11comp_targetILNS1_3genE5ELNS1_11target_archE942ELNS1_3gpuE9ELNS1_3repE0EEENS1_30default_config_static_selectorELNS0_4arch9wavefront6targetE0EEEvSV_.has_recursion, 0
	.set _ZN7rocprim17ROCPRIM_400000_NS6detail17trampoline_kernelINS0_14default_configENS1_27upper_bound_config_selectorIslEEZNS1_14transform_implILb0ES3_S5_N6thrust23THRUST_200600_302600_NS6detail15normal_iteratorINS8_7pointerIsNS8_11hip_rocprim3tagENS8_11use_defaultESE_EEEENSA_INSB_IlSD_SE_SE_EEEEZNS1_13binary_searchIS3_S5_NSA_INS8_10device_ptrIsEEEESG_SI_NS1_21upper_bound_search_opENS9_16wrapped_functionINS8_7greaterIsEEbEEEE10hipError_tPvRmT1_T2_T3_mmT4_T5_P12ihipStream_tbEUlRKsE_EESS_SW_SX_mSY_S11_bEUlT_E_NS1_11comp_targetILNS1_3genE5ELNS1_11target_archE942ELNS1_3gpuE9ELNS1_3repE0EEENS1_30default_config_static_selectorELNS0_4arch9wavefront6targetE0EEEvSV_.has_indirect_call, 0
	.section	.AMDGPU.csdata,"",@progbits
; Kernel info:
; codeLenInByte = 0
; TotalNumSgprs: 0
; NumVgprs: 0
; ScratchSize: 0
; MemoryBound: 0
; FloatMode: 240
; IeeeMode: 1
; LDSByteSize: 0 bytes/workgroup (compile time only)
; SGPRBlocks: 0
; VGPRBlocks: 0
; NumSGPRsForWavesPerEU: 1
; NumVGPRsForWavesPerEU: 1
; NamedBarCnt: 0
; Occupancy: 16
; WaveLimiterHint : 0
; COMPUTE_PGM_RSRC2:SCRATCH_EN: 0
; COMPUTE_PGM_RSRC2:USER_SGPR: 2
; COMPUTE_PGM_RSRC2:TRAP_HANDLER: 0
; COMPUTE_PGM_RSRC2:TGID_X_EN: 1
; COMPUTE_PGM_RSRC2:TGID_Y_EN: 0
; COMPUTE_PGM_RSRC2:TGID_Z_EN: 0
; COMPUTE_PGM_RSRC2:TIDIG_COMP_CNT: 0
	.section	.text._ZN7rocprim17ROCPRIM_400000_NS6detail17trampoline_kernelINS0_14default_configENS1_27upper_bound_config_selectorIslEEZNS1_14transform_implILb0ES3_S5_N6thrust23THRUST_200600_302600_NS6detail15normal_iteratorINS8_7pointerIsNS8_11hip_rocprim3tagENS8_11use_defaultESE_EEEENSA_INSB_IlSD_SE_SE_EEEEZNS1_13binary_searchIS3_S5_NSA_INS8_10device_ptrIsEEEESG_SI_NS1_21upper_bound_search_opENS9_16wrapped_functionINS8_7greaterIsEEbEEEE10hipError_tPvRmT1_T2_T3_mmT4_T5_P12ihipStream_tbEUlRKsE_EESS_SW_SX_mSY_S11_bEUlT_E_NS1_11comp_targetILNS1_3genE4ELNS1_11target_archE910ELNS1_3gpuE8ELNS1_3repE0EEENS1_30default_config_static_selectorELNS0_4arch9wavefront6targetE0EEEvSV_,"axG",@progbits,_ZN7rocprim17ROCPRIM_400000_NS6detail17trampoline_kernelINS0_14default_configENS1_27upper_bound_config_selectorIslEEZNS1_14transform_implILb0ES3_S5_N6thrust23THRUST_200600_302600_NS6detail15normal_iteratorINS8_7pointerIsNS8_11hip_rocprim3tagENS8_11use_defaultESE_EEEENSA_INSB_IlSD_SE_SE_EEEEZNS1_13binary_searchIS3_S5_NSA_INS8_10device_ptrIsEEEESG_SI_NS1_21upper_bound_search_opENS9_16wrapped_functionINS8_7greaterIsEEbEEEE10hipError_tPvRmT1_T2_T3_mmT4_T5_P12ihipStream_tbEUlRKsE_EESS_SW_SX_mSY_S11_bEUlT_E_NS1_11comp_targetILNS1_3genE4ELNS1_11target_archE910ELNS1_3gpuE8ELNS1_3repE0EEENS1_30default_config_static_selectorELNS0_4arch9wavefront6targetE0EEEvSV_,comdat
	.protected	_ZN7rocprim17ROCPRIM_400000_NS6detail17trampoline_kernelINS0_14default_configENS1_27upper_bound_config_selectorIslEEZNS1_14transform_implILb0ES3_S5_N6thrust23THRUST_200600_302600_NS6detail15normal_iteratorINS8_7pointerIsNS8_11hip_rocprim3tagENS8_11use_defaultESE_EEEENSA_INSB_IlSD_SE_SE_EEEEZNS1_13binary_searchIS3_S5_NSA_INS8_10device_ptrIsEEEESG_SI_NS1_21upper_bound_search_opENS9_16wrapped_functionINS8_7greaterIsEEbEEEE10hipError_tPvRmT1_T2_T3_mmT4_T5_P12ihipStream_tbEUlRKsE_EESS_SW_SX_mSY_S11_bEUlT_E_NS1_11comp_targetILNS1_3genE4ELNS1_11target_archE910ELNS1_3gpuE8ELNS1_3repE0EEENS1_30default_config_static_selectorELNS0_4arch9wavefront6targetE0EEEvSV_ ; -- Begin function _ZN7rocprim17ROCPRIM_400000_NS6detail17trampoline_kernelINS0_14default_configENS1_27upper_bound_config_selectorIslEEZNS1_14transform_implILb0ES3_S5_N6thrust23THRUST_200600_302600_NS6detail15normal_iteratorINS8_7pointerIsNS8_11hip_rocprim3tagENS8_11use_defaultESE_EEEENSA_INSB_IlSD_SE_SE_EEEEZNS1_13binary_searchIS3_S5_NSA_INS8_10device_ptrIsEEEESG_SI_NS1_21upper_bound_search_opENS9_16wrapped_functionINS8_7greaterIsEEbEEEE10hipError_tPvRmT1_T2_T3_mmT4_T5_P12ihipStream_tbEUlRKsE_EESS_SW_SX_mSY_S11_bEUlT_E_NS1_11comp_targetILNS1_3genE4ELNS1_11target_archE910ELNS1_3gpuE8ELNS1_3repE0EEENS1_30default_config_static_selectorELNS0_4arch9wavefront6targetE0EEEvSV_
	.globl	_ZN7rocprim17ROCPRIM_400000_NS6detail17trampoline_kernelINS0_14default_configENS1_27upper_bound_config_selectorIslEEZNS1_14transform_implILb0ES3_S5_N6thrust23THRUST_200600_302600_NS6detail15normal_iteratorINS8_7pointerIsNS8_11hip_rocprim3tagENS8_11use_defaultESE_EEEENSA_INSB_IlSD_SE_SE_EEEEZNS1_13binary_searchIS3_S5_NSA_INS8_10device_ptrIsEEEESG_SI_NS1_21upper_bound_search_opENS9_16wrapped_functionINS8_7greaterIsEEbEEEE10hipError_tPvRmT1_T2_T3_mmT4_T5_P12ihipStream_tbEUlRKsE_EESS_SW_SX_mSY_S11_bEUlT_E_NS1_11comp_targetILNS1_3genE4ELNS1_11target_archE910ELNS1_3gpuE8ELNS1_3repE0EEENS1_30default_config_static_selectorELNS0_4arch9wavefront6targetE0EEEvSV_
	.p2align	8
	.type	_ZN7rocprim17ROCPRIM_400000_NS6detail17trampoline_kernelINS0_14default_configENS1_27upper_bound_config_selectorIslEEZNS1_14transform_implILb0ES3_S5_N6thrust23THRUST_200600_302600_NS6detail15normal_iteratorINS8_7pointerIsNS8_11hip_rocprim3tagENS8_11use_defaultESE_EEEENSA_INSB_IlSD_SE_SE_EEEEZNS1_13binary_searchIS3_S5_NSA_INS8_10device_ptrIsEEEESG_SI_NS1_21upper_bound_search_opENS9_16wrapped_functionINS8_7greaterIsEEbEEEE10hipError_tPvRmT1_T2_T3_mmT4_T5_P12ihipStream_tbEUlRKsE_EESS_SW_SX_mSY_S11_bEUlT_E_NS1_11comp_targetILNS1_3genE4ELNS1_11target_archE910ELNS1_3gpuE8ELNS1_3repE0EEENS1_30default_config_static_selectorELNS0_4arch9wavefront6targetE0EEEvSV_,@function
_ZN7rocprim17ROCPRIM_400000_NS6detail17trampoline_kernelINS0_14default_configENS1_27upper_bound_config_selectorIslEEZNS1_14transform_implILb0ES3_S5_N6thrust23THRUST_200600_302600_NS6detail15normal_iteratorINS8_7pointerIsNS8_11hip_rocprim3tagENS8_11use_defaultESE_EEEENSA_INSB_IlSD_SE_SE_EEEEZNS1_13binary_searchIS3_S5_NSA_INS8_10device_ptrIsEEEESG_SI_NS1_21upper_bound_search_opENS9_16wrapped_functionINS8_7greaterIsEEbEEEE10hipError_tPvRmT1_T2_T3_mmT4_T5_P12ihipStream_tbEUlRKsE_EESS_SW_SX_mSY_S11_bEUlT_E_NS1_11comp_targetILNS1_3genE4ELNS1_11target_archE910ELNS1_3gpuE8ELNS1_3repE0EEENS1_30default_config_static_selectorELNS0_4arch9wavefront6targetE0EEEvSV_: ; @_ZN7rocprim17ROCPRIM_400000_NS6detail17trampoline_kernelINS0_14default_configENS1_27upper_bound_config_selectorIslEEZNS1_14transform_implILb0ES3_S5_N6thrust23THRUST_200600_302600_NS6detail15normal_iteratorINS8_7pointerIsNS8_11hip_rocprim3tagENS8_11use_defaultESE_EEEENSA_INSB_IlSD_SE_SE_EEEEZNS1_13binary_searchIS3_S5_NSA_INS8_10device_ptrIsEEEESG_SI_NS1_21upper_bound_search_opENS9_16wrapped_functionINS8_7greaterIsEEbEEEE10hipError_tPvRmT1_T2_T3_mmT4_T5_P12ihipStream_tbEUlRKsE_EESS_SW_SX_mSY_S11_bEUlT_E_NS1_11comp_targetILNS1_3genE4ELNS1_11target_archE910ELNS1_3gpuE8ELNS1_3repE0EEENS1_30default_config_static_selectorELNS0_4arch9wavefront6targetE0EEEvSV_
; %bb.0:
	.section	.rodata,"a",@progbits
	.p2align	6, 0x0
	.amdhsa_kernel _ZN7rocprim17ROCPRIM_400000_NS6detail17trampoline_kernelINS0_14default_configENS1_27upper_bound_config_selectorIslEEZNS1_14transform_implILb0ES3_S5_N6thrust23THRUST_200600_302600_NS6detail15normal_iteratorINS8_7pointerIsNS8_11hip_rocprim3tagENS8_11use_defaultESE_EEEENSA_INSB_IlSD_SE_SE_EEEEZNS1_13binary_searchIS3_S5_NSA_INS8_10device_ptrIsEEEESG_SI_NS1_21upper_bound_search_opENS9_16wrapped_functionINS8_7greaterIsEEbEEEE10hipError_tPvRmT1_T2_T3_mmT4_T5_P12ihipStream_tbEUlRKsE_EESS_SW_SX_mSY_S11_bEUlT_E_NS1_11comp_targetILNS1_3genE4ELNS1_11target_archE910ELNS1_3gpuE8ELNS1_3repE0EEENS1_30default_config_static_selectorELNS0_4arch9wavefront6targetE0EEEvSV_
		.amdhsa_group_segment_fixed_size 0
		.amdhsa_private_segment_fixed_size 0
		.amdhsa_kernarg_size 56
		.amdhsa_user_sgpr_count 2
		.amdhsa_user_sgpr_dispatch_ptr 0
		.amdhsa_user_sgpr_queue_ptr 0
		.amdhsa_user_sgpr_kernarg_segment_ptr 1
		.amdhsa_user_sgpr_dispatch_id 0
		.amdhsa_user_sgpr_kernarg_preload_length 0
		.amdhsa_user_sgpr_kernarg_preload_offset 0
		.amdhsa_user_sgpr_private_segment_size 0
		.amdhsa_wavefront_size32 1
		.amdhsa_uses_dynamic_stack 0
		.amdhsa_enable_private_segment 0
		.amdhsa_system_sgpr_workgroup_id_x 1
		.amdhsa_system_sgpr_workgroup_id_y 0
		.amdhsa_system_sgpr_workgroup_id_z 0
		.amdhsa_system_sgpr_workgroup_info 0
		.amdhsa_system_vgpr_workitem_id 0
		.amdhsa_next_free_vgpr 1
		.amdhsa_next_free_sgpr 1
		.amdhsa_named_barrier_count 0
		.amdhsa_reserve_vcc 0
		.amdhsa_float_round_mode_32 0
		.amdhsa_float_round_mode_16_64 0
		.amdhsa_float_denorm_mode_32 3
		.amdhsa_float_denorm_mode_16_64 3
		.amdhsa_fp16_overflow 0
		.amdhsa_memory_ordered 1
		.amdhsa_forward_progress 1
		.amdhsa_inst_pref_size 0
		.amdhsa_round_robin_scheduling 0
		.amdhsa_exception_fp_ieee_invalid_op 0
		.amdhsa_exception_fp_denorm_src 0
		.amdhsa_exception_fp_ieee_div_zero 0
		.amdhsa_exception_fp_ieee_overflow 0
		.amdhsa_exception_fp_ieee_underflow 0
		.amdhsa_exception_fp_ieee_inexact 0
		.amdhsa_exception_int_div_zero 0
	.end_amdhsa_kernel
	.section	.text._ZN7rocprim17ROCPRIM_400000_NS6detail17trampoline_kernelINS0_14default_configENS1_27upper_bound_config_selectorIslEEZNS1_14transform_implILb0ES3_S5_N6thrust23THRUST_200600_302600_NS6detail15normal_iteratorINS8_7pointerIsNS8_11hip_rocprim3tagENS8_11use_defaultESE_EEEENSA_INSB_IlSD_SE_SE_EEEEZNS1_13binary_searchIS3_S5_NSA_INS8_10device_ptrIsEEEESG_SI_NS1_21upper_bound_search_opENS9_16wrapped_functionINS8_7greaterIsEEbEEEE10hipError_tPvRmT1_T2_T3_mmT4_T5_P12ihipStream_tbEUlRKsE_EESS_SW_SX_mSY_S11_bEUlT_E_NS1_11comp_targetILNS1_3genE4ELNS1_11target_archE910ELNS1_3gpuE8ELNS1_3repE0EEENS1_30default_config_static_selectorELNS0_4arch9wavefront6targetE0EEEvSV_,"axG",@progbits,_ZN7rocprim17ROCPRIM_400000_NS6detail17trampoline_kernelINS0_14default_configENS1_27upper_bound_config_selectorIslEEZNS1_14transform_implILb0ES3_S5_N6thrust23THRUST_200600_302600_NS6detail15normal_iteratorINS8_7pointerIsNS8_11hip_rocprim3tagENS8_11use_defaultESE_EEEENSA_INSB_IlSD_SE_SE_EEEEZNS1_13binary_searchIS3_S5_NSA_INS8_10device_ptrIsEEEESG_SI_NS1_21upper_bound_search_opENS9_16wrapped_functionINS8_7greaterIsEEbEEEE10hipError_tPvRmT1_T2_T3_mmT4_T5_P12ihipStream_tbEUlRKsE_EESS_SW_SX_mSY_S11_bEUlT_E_NS1_11comp_targetILNS1_3genE4ELNS1_11target_archE910ELNS1_3gpuE8ELNS1_3repE0EEENS1_30default_config_static_selectorELNS0_4arch9wavefront6targetE0EEEvSV_,comdat
.Lfunc_end88:
	.size	_ZN7rocprim17ROCPRIM_400000_NS6detail17trampoline_kernelINS0_14default_configENS1_27upper_bound_config_selectorIslEEZNS1_14transform_implILb0ES3_S5_N6thrust23THRUST_200600_302600_NS6detail15normal_iteratorINS8_7pointerIsNS8_11hip_rocprim3tagENS8_11use_defaultESE_EEEENSA_INSB_IlSD_SE_SE_EEEEZNS1_13binary_searchIS3_S5_NSA_INS8_10device_ptrIsEEEESG_SI_NS1_21upper_bound_search_opENS9_16wrapped_functionINS8_7greaterIsEEbEEEE10hipError_tPvRmT1_T2_T3_mmT4_T5_P12ihipStream_tbEUlRKsE_EESS_SW_SX_mSY_S11_bEUlT_E_NS1_11comp_targetILNS1_3genE4ELNS1_11target_archE910ELNS1_3gpuE8ELNS1_3repE0EEENS1_30default_config_static_selectorELNS0_4arch9wavefront6targetE0EEEvSV_, .Lfunc_end88-_ZN7rocprim17ROCPRIM_400000_NS6detail17trampoline_kernelINS0_14default_configENS1_27upper_bound_config_selectorIslEEZNS1_14transform_implILb0ES3_S5_N6thrust23THRUST_200600_302600_NS6detail15normal_iteratorINS8_7pointerIsNS8_11hip_rocprim3tagENS8_11use_defaultESE_EEEENSA_INSB_IlSD_SE_SE_EEEEZNS1_13binary_searchIS3_S5_NSA_INS8_10device_ptrIsEEEESG_SI_NS1_21upper_bound_search_opENS9_16wrapped_functionINS8_7greaterIsEEbEEEE10hipError_tPvRmT1_T2_T3_mmT4_T5_P12ihipStream_tbEUlRKsE_EESS_SW_SX_mSY_S11_bEUlT_E_NS1_11comp_targetILNS1_3genE4ELNS1_11target_archE910ELNS1_3gpuE8ELNS1_3repE0EEENS1_30default_config_static_selectorELNS0_4arch9wavefront6targetE0EEEvSV_
                                        ; -- End function
	.set _ZN7rocprim17ROCPRIM_400000_NS6detail17trampoline_kernelINS0_14default_configENS1_27upper_bound_config_selectorIslEEZNS1_14transform_implILb0ES3_S5_N6thrust23THRUST_200600_302600_NS6detail15normal_iteratorINS8_7pointerIsNS8_11hip_rocprim3tagENS8_11use_defaultESE_EEEENSA_INSB_IlSD_SE_SE_EEEEZNS1_13binary_searchIS3_S5_NSA_INS8_10device_ptrIsEEEESG_SI_NS1_21upper_bound_search_opENS9_16wrapped_functionINS8_7greaterIsEEbEEEE10hipError_tPvRmT1_T2_T3_mmT4_T5_P12ihipStream_tbEUlRKsE_EESS_SW_SX_mSY_S11_bEUlT_E_NS1_11comp_targetILNS1_3genE4ELNS1_11target_archE910ELNS1_3gpuE8ELNS1_3repE0EEENS1_30default_config_static_selectorELNS0_4arch9wavefront6targetE0EEEvSV_.num_vgpr, 0
	.set _ZN7rocprim17ROCPRIM_400000_NS6detail17trampoline_kernelINS0_14default_configENS1_27upper_bound_config_selectorIslEEZNS1_14transform_implILb0ES3_S5_N6thrust23THRUST_200600_302600_NS6detail15normal_iteratorINS8_7pointerIsNS8_11hip_rocprim3tagENS8_11use_defaultESE_EEEENSA_INSB_IlSD_SE_SE_EEEEZNS1_13binary_searchIS3_S5_NSA_INS8_10device_ptrIsEEEESG_SI_NS1_21upper_bound_search_opENS9_16wrapped_functionINS8_7greaterIsEEbEEEE10hipError_tPvRmT1_T2_T3_mmT4_T5_P12ihipStream_tbEUlRKsE_EESS_SW_SX_mSY_S11_bEUlT_E_NS1_11comp_targetILNS1_3genE4ELNS1_11target_archE910ELNS1_3gpuE8ELNS1_3repE0EEENS1_30default_config_static_selectorELNS0_4arch9wavefront6targetE0EEEvSV_.num_agpr, 0
	.set _ZN7rocprim17ROCPRIM_400000_NS6detail17trampoline_kernelINS0_14default_configENS1_27upper_bound_config_selectorIslEEZNS1_14transform_implILb0ES3_S5_N6thrust23THRUST_200600_302600_NS6detail15normal_iteratorINS8_7pointerIsNS8_11hip_rocprim3tagENS8_11use_defaultESE_EEEENSA_INSB_IlSD_SE_SE_EEEEZNS1_13binary_searchIS3_S5_NSA_INS8_10device_ptrIsEEEESG_SI_NS1_21upper_bound_search_opENS9_16wrapped_functionINS8_7greaterIsEEbEEEE10hipError_tPvRmT1_T2_T3_mmT4_T5_P12ihipStream_tbEUlRKsE_EESS_SW_SX_mSY_S11_bEUlT_E_NS1_11comp_targetILNS1_3genE4ELNS1_11target_archE910ELNS1_3gpuE8ELNS1_3repE0EEENS1_30default_config_static_selectorELNS0_4arch9wavefront6targetE0EEEvSV_.numbered_sgpr, 0
	.set _ZN7rocprim17ROCPRIM_400000_NS6detail17trampoline_kernelINS0_14default_configENS1_27upper_bound_config_selectorIslEEZNS1_14transform_implILb0ES3_S5_N6thrust23THRUST_200600_302600_NS6detail15normal_iteratorINS8_7pointerIsNS8_11hip_rocprim3tagENS8_11use_defaultESE_EEEENSA_INSB_IlSD_SE_SE_EEEEZNS1_13binary_searchIS3_S5_NSA_INS8_10device_ptrIsEEEESG_SI_NS1_21upper_bound_search_opENS9_16wrapped_functionINS8_7greaterIsEEbEEEE10hipError_tPvRmT1_T2_T3_mmT4_T5_P12ihipStream_tbEUlRKsE_EESS_SW_SX_mSY_S11_bEUlT_E_NS1_11comp_targetILNS1_3genE4ELNS1_11target_archE910ELNS1_3gpuE8ELNS1_3repE0EEENS1_30default_config_static_selectorELNS0_4arch9wavefront6targetE0EEEvSV_.num_named_barrier, 0
	.set _ZN7rocprim17ROCPRIM_400000_NS6detail17trampoline_kernelINS0_14default_configENS1_27upper_bound_config_selectorIslEEZNS1_14transform_implILb0ES3_S5_N6thrust23THRUST_200600_302600_NS6detail15normal_iteratorINS8_7pointerIsNS8_11hip_rocprim3tagENS8_11use_defaultESE_EEEENSA_INSB_IlSD_SE_SE_EEEEZNS1_13binary_searchIS3_S5_NSA_INS8_10device_ptrIsEEEESG_SI_NS1_21upper_bound_search_opENS9_16wrapped_functionINS8_7greaterIsEEbEEEE10hipError_tPvRmT1_T2_T3_mmT4_T5_P12ihipStream_tbEUlRKsE_EESS_SW_SX_mSY_S11_bEUlT_E_NS1_11comp_targetILNS1_3genE4ELNS1_11target_archE910ELNS1_3gpuE8ELNS1_3repE0EEENS1_30default_config_static_selectorELNS0_4arch9wavefront6targetE0EEEvSV_.private_seg_size, 0
	.set _ZN7rocprim17ROCPRIM_400000_NS6detail17trampoline_kernelINS0_14default_configENS1_27upper_bound_config_selectorIslEEZNS1_14transform_implILb0ES3_S5_N6thrust23THRUST_200600_302600_NS6detail15normal_iteratorINS8_7pointerIsNS8_11hip_rocprim3tagENS8_11use_defaultESE_EEEENSA_INSB_IlSD_SE_SE_EEEEZNS1_13binary_searchIS3_S5_NSA_INS8_10device_ptrIsEEEESG_SI_NS1_21upper_bound_search_opENS9_16wrapped_functionINS8_7greaterIsEEbEEEE10hipError_tPvRmT1_T2_T3_mmT4_T5_P12ihipStream_tbEUlRKsE_EESS_SW_SX_mSY_S11_bEUlT_E_NS1_11comp_targetILNS1_3genE4ELNS1_11target_archE910ELNS1_3gpuE8ELNS1_3repE0EEENS1_30default_config_static_selectorELNS0_4arch9wavefront6targetE0EEEvSV_.uses_vcc, 0
	.set _ZN7rocprim17ROCPRIM_400000_NS6detail17trampoline_kernelINS0_14default_configENS1_27upper_bound_config_selectorIslEEZNS1_14transform_implILb0ES3_S5_N6thrust23THRUST_200600_302600_NS6detail15normal_iteratorINS8_7pointerIsNS8_11hip_rocprim3tagENS8_11use_defaultESE_EEEENSA_INSB_IlSD_SE_SE_EEEEZNS1_13binary_searchIS3_S5_NSA_INS8_10device_ptrIsEEEESG_SI_NS1_21upper_bound_search_opENS9_16wrapped_functionINS8_7greaterIsEEbEEEE10hipError_tPvRmT1_T2_T3_mmT4_T5_P12ihipStream_tbEUlRKsE_EESS_SW_SX_mSY_S11_bEUlT_E_NS1_11comp_targetILNS1_3genE4ELNS1_11target_archE910ELNS1_3gpuE8ELNS1_3repE0EEENS1_30default_config_static_selectorELNS0_4arch9wavefront6targetE0EEEvSV_.uses_flat_scratch, 0
	.set _ZN7rocprim17ROCPRIM_400000_NS6detail17trampoline_kernelINS0_14default_configENS1_27upper_bound_config_selectorIslEEZNS1_14transform_implILb0ES3_S5_N6thrust23THRUST_200600_302600_NS6detail15normal_iteratorINS8_7pointerIsNS8_11hip_rocprim3tagENS8_11use_defaultESE_EEEENSA_INSB_IlSD_SE_SE_EEEEZNS1_13binary_searchIS3_S5_NSA_INS8_10device_ptrIsEEEESG_SI_NS1_21upper_bound_search_opENS9_16wrapped_functionINS8_7greaterIsEEbEEEE10hipError_tPvRmT1_T2_T3_mmT4_T5_P12ihipStream_tbEUlRKsE_EESS_SW_SX_mSY_S11_bEUlT_E_NS1_11comp_targetILNS1_3genE4ELNS1_11target_archE910ELNS1_3gpuE8ELNS1_3repE0EEENS1_30default_config_static_selectorELNS0_4arch9wavefront6targetE0EEEvSV_.has_dyn_sized_stack, 0
	.set _ZN7rocprim17ROCPRIM_400000_NS6detail17trampoline_kernelINS0_14default_configENS1_27upper_bound_config_selectorIslEEZNS1_14transform_implILb0ES3_S5_N6thrust23THRUST_200600_302600_NS6detail15normal_iteratorINS8_7pointerIsNS8_11hip_rocprim3tagENS8_11use_defaultESE_EEEENSA_INSB_IlSD_SE_SE_EEEEZNS1_13binary_searchIS3_S5_NSA_INS8_10device_ptrIsEEEESG_SI_NS1_21upper_bound_search_opENS9_16wrapped_functionINS8_7greaterIsEEbEEEE10hipError_tPvRmT1_T2_T3_mmT4_T5_P12ihipStream_tbEUlRKsE_EESS_SW_SX_mSY_S11_bEUlT_E_NS1_11comp_targetILNS1_3genE4ELNS1_11target_archE910ELNS1_3gpuE8ELNS1_3repE0EEENS1_30default_config_static_selectorELNS0_4arch9wavefront6targetE0EEEvSV_.has_recursion, 0
	.set _ZN7rocprim17ROCPRIM_400000_NS6detail17trampoline_kernelINS0_14default_configENS1_27upper_bound_config_selectorIslEEZNS1_14transform_implILb0ES3_S5_N6thrust23THRUST_200600_302600_NS6detail15normal_iteratorINS8_7pointerIsNS8_11hip_rocprim3tagENS8_11use_defaultESE_EEEENSA_INSB_IlSD_SE_SE_EEEEZNS1_13binary_searchIS3_S5_NSA_INS8_10device_ptrIsEEEESG_SI_NS1_21upper_bound_search_opENS9_16wrapped_functionINS8_7greaterIsEEbEEEE10hipError_tPvRmT1_T2_T3_mmT4_T5_P12ihipStream_tbEUlRKsE_EESS_SW_SX_mSY_S11_bEUlT_E_NS1_11comp_targetILNS1_3genE4ELNS1_11target_archE910ELNS1_3gpuE8ELNS1_3repE0EEENS1_30default_config_static_selectorELNS0_4arch9wavefront6targetE0EEEvSV_.has_indirect_call, 0
	.section	.AMDGPU.csdata,"",@progbits
; Kernel info:
; codeLenInByte = 0
; TotalNumSgprs: 0
; NumVgprs: 0
; ScratchSize: 0
; MemoryBound: 0
; FloatMode: 240
; IeeeMode: 1
; LDSByteSize: 0 bytes/workgroup (compile time only)
; SGPRBlocks: 0
; VGPRBlocks: 0
; NumSGPRsForWavesPerEU: 1
; NumVGPRsForWavesPerEU: 1
; NamedBarCnt: 0
; Occupancy: 16
; WaveLimiterHint : 0
; COMPUTE_PGM_RSRC2:SCRATCH_EN: 0
; COMPUTE_PGM_RSRC2:USER_SGPR: 2
; COMPUTE_PGM_RSRC2:TRAP_HANDLER: 0
; COMPUTE_PGM_RSRC2:TGID_X_EN: 1
; COMPUTE_PGM_RSRC2:TGID_Y_EN: 0
; COMPUTE_PGM_RSRC2:TGID_Z_EN: 0
; COMPUTE_PGM_RSRC2:TIDIG_COMP_CNT: 0
	.section	.text._ZN7rocprim17ROCPRIM_400000_NS6detail17trampoline_kernelINS0_14default_configENS1_27upper_bound_config_selectorIslEEZNS1_14transform_implILb0ES3_S5_N6thrust23THRUST_200600_302600_NS6detail15normal_iteratorINS8_7pointerIsNS8_11hip_rocprim3tagENS8_11use_defaultESE_EEEENSA_INSB_IlSD_SE_SE_EEEEZNS1_13binary_searchIS3_S5_NSA_INS8_10device_ptrIsEEEESG_SI_NS1_21upper_bound_search_opENS9_16wrapped_functionINS8_7greaterIsEEbEEEE10hipError_tPvRmT1_T2_T3_mmT4_T5_P12ihipStream_tbEUlRKsE_EESS_SW_SX_mSY_S11_bEUlT_E_NS1_11comp_targetILNS1_3genE3ELNS1_11target_archE908ELNS1_3gpuE7ELNS1_3repE0EEENS1_30default_config_static_selectorELNS0_4arch9wavefront6targetE0EEEvSV_,"axG",@progbits,_ZN7rocprim17ROCPRIM_400000_NS6detail17trampoline_kernelINS0_14default_configENS1_27upper_bound_config_selectorIslEEZNS1_14transform_implILb0ES3_S5_N6thrust23THRUST_200600_302600_NS6detail15normal_iteratorINS8_7pointerIsNS8_11hip_rocprim3tagENS8_11use_defaultESE_EEEENSA_INSB_IlSD_SE_SE_EEEEZNS1_13binary_searchIS3_S5_NSA_INS8_10device_ptrIsEEEESG_SI_NS1_21upper_bound_search_opENS9_16wrapped_functionINS8_7greaterIsEEbEEEE10hipError_tPvRmT1_T2_T3_mmT4_T5_P12ihipStream_tbEUlRKsE_EESS_SW_SX_mSY_S11_bEUlT_E_NS1_11comp_targetILNS1_3genE3ELNS1_11target_archE908ELNS1_3gpuE7ELNS1_3repE0EEENS1_30default_config_static_selectorELNS0_4arch9wavefront6targetE0EEEvSV_,comdat
	.protected	_ZN7rocprim17ROCPRIM_400000_NS6detail17trampoline_kernelINS0_14default_configENS1_27upper_bound_config_selectorIslEEZNS1_14transform_implILb0ES3_S5_N6thrust23THRUST_200600_302600_NS6detail15normal_iteratorINS8_7pointerIsNS8_11hip_rocprim3tagENS8_11use_defaultESE_EEEENSA_INSB_IlSD_SE_SE_EEEEZNS1_13binary_searchIS3_S5_NSA_INS8_10device_ptrIsEEEESG_SI_NS1_21upper_bound_search_opENS9_16wrapped_functionINS8_7greaterIsEEbEEEE10hipError_tPvRmT1_T2_T3_mmT4_T5_P12ihipStream_tbEUlRKsE_EESS_SW_SX_mSY_S11_bEUlT_E_NS1_11comp_targetILNS1_3genE3ELNS1_11target_archE908ELNS1_3gpuE7ELNS1_3repE0EEENS1_30default_config_static_selectorELNS0_4arch9wavefront6targetE0EEEvSV_ ; -- Begin function _ZN7rocprim17ROCPRIM_400000_NS6detail17trampoline_kernelINS0_14default_configENS1_27upper_bound_config_selectorIslEEZNS1_14transform_implILb0ES3_S5_N6thrust23THRUST_200600_302600_NS6detail15normal_iteratorINS8_7pointerIsNS8_11hip_rocprim3tagENS8_11use_defaultESE_EEEENSA_INSB_IlSD_SE_SE_EEEEZNS1_13binary_searchIS3_S5_NSA_INS8_10device_ptrIsEEEESG_SI_NS1_21upper_bound_search_opENS9_16wrapped_functionINS8_7greaterIsEEbEEEE10hipError_tPvRmT1_T2_T3_mmT4_T5_P12ihipStream_tbEUlRKsE_EESS_SW_SX_mSY_S11_bEUlT_E_NS1_11comp_targetILNS1_3genE3ELNS1_11target_archE908ELNS1_3gpuE7ELNS1_3repE0EEENS1_30default_config_static_selectorELNS0_4arch9wavefront6targetE0EEEvSV_
	.globl	_ZN7rocprim17ROCPRIM_400000_NS6detail17trampoline_kernelINS0_14default_configENS1_27upper_bound_config_selectorIslEEZNS1_14transform_implILb0ES3_S5_N6thrust23THRUST_200600_302600_NS6detail15normal_iteratorINS8_7pointerIsNS8_11hip_rocprim3tagENS8_11use_defaultESE_EEEENSA_INSB_IlSD_SE_SE_EEEEZNS1_13binary_searchIS3_S5_NSA_INS8_10device_ptrIsEEEESG_SI_NS1_21upper_bound_search_opENS9_16wrapped_functionINS8_7greaterIsEEbEEEE10hipError_tPvRmT1_T2_T3_mmT4_T5_P12ihipStream_tbEUlRKsE_EESS_SW_SX_mSY_S11_bEUlT_E_NS1_11comp_targetILNS1_3genE3ELNS1_11target_archE908ELNS1_3gpuE7ELNS1_3repE0EEENS1_30default_config_static_selectorELNS0_4arch9wavefront6targetE0EEEvSV_
	.p2align	8
	.type	_ZN7rocprim17ROCPRIM_400000_NS6detail17trampoline_kernelINS0_14default_configENS1_27upper_bound_config_selectorIslEEZNS1_14transform_implILb0ES3_S5_N6thrust23THRUST_200600_302600_NS6detail15normal_iteratorINS8_7pointerIsNS8_11hip_rocprim3tagENS8_11use_defaultESE_EEEENSA_INSB_IlSD_SE_SE_EEEEZNS1_13binary_searchIS3_S5_NSA_INS8_10device_ptrIsEEEESG_SI_NS1_21upper_bound_search_opENS9_16wrapped_functionINS8_7greaterIsEEbEEEE10hipError_tPvRmT1_T2_T3_mmT4_T5_P12ihipStream_tbEUlRKsE_EESS_SW_SX_mSY_S11_bEUlT_E_NS1_11comp_targetILNS1_3genE3ELNS1_11target_archE908ELNS1_3gpuE7ELNS1_3repE0EEENS1_30default_config_static_selectorELNS0_4arch9wavefront6targetE0EEEvSV_,@function
_ZN7rocprim17ROCPRIM_400000_NS6detail17trampoline_kernelINS0_14default_configENS1_27upper_bound_config_selectorIslEEZNS1_14transform_implILb0ES3_S5_N6thrust23THRUST_200600_302600_NS6detail15normal_iteratorINS8_7pointerIsNS8_11hip_rocprim3tagENS8_11use_defaultESE_EEEENSA_INSB_IlSD_SE_SE_EEEEZNS1_13binary_searchIS3_S5_NSA_INS8_10device_ptrIsEEEESG_SI_NS1_21upper_bound_search_opENS9_16wrapped_functionINS8_7greaterIsEEbEEEE10hipError_tPvRmT1_T2_T3_mmT4_T5_P12ihipStream_tbEUlRKsE_EESS_SW_SX_mSY_S11_bEUlT_E_NS1_11comp_targetILNS1_3genE3ELNS1_11target_archE908ELNS1_3gpuE7ELNS1_3repE0EEENS1_30default_config_static_selectorELNS0_4arch9wavefront6targetE0EEEvSV_: ; @_ZN7rocprim17ROCPRIM_400000_NS6detail17trampoline_kernelINS0_14default_configENS1_27upper_bound_config_selectorIslEEZNS1_14transform_implILb0ES3_S5_N6thrust23THRUST_200600_302600_NS6detail15normal_iteratorINS8_7pointerIsNS8_11hip_rocprim3tagENS8_11use_defaultESE_EEEENSA_INSB_IlSD_SE_SE_EEEEZNS1_13binary_searchIS3_S5_NSA_INS8_10device_ptrIsEEEESG_SI_NS1_21upper_bound_search_opENS9_16wrapped_functionINS8_7greaterIsEEbEEEE10hipError_tPvRmT1_T2_T3_mmT4_T5_P12ihipStream_tbEUlRKsE_EESS_SW_SX_mSY_S11_bEUlT_E_NS1_11comp_targetILNS1_3genE3ELNS1_11target_archE908ELNS1_3gpuE7ELNS1_3repE0EEENS1_30default_config_static_selectorELNS0_4arch9wavefront6targetE0EEEvSV_
; %bb.0:
	.section	.rodata,"a",@progbits
	.p2align	6, 0x0
	.amdhsa_kernel _ZN7rocprim17ROCPRIM_400000_NS6detail17trampoline_kernelINS0_14default_configENS1_27upper_bound_config_selectorIslEEZNS1_14transform_implILb0ES3_S5_N6thrust23THRUST_200600_302600_NS6detail15normal_iteratorINS8_7pointerIsNS8_11hip_rocprim3tagENS8_11use_defaultESE_EEEENSA_INSB_IlSD_SE_SE_EEEEZNS1_13binary_searchIS3_S5_NSA_INS8_10device_ptrIsEEEESG_SI_NS1_21upper_bound_search_opENS9_16wrapped_functionINS8_7greaterIsEEbEEEE10hipError_tPvRmT1_T2_T3_mmT4_T5_P12ihipStream_tbEUlRKsE_EESS_SW_SX_mSY_S11_bEUlT_E_NS1_11comp_targetILNS1_3genE3ELNS1_11target_archE908ELNS1_3gpuE7ELNS1_3repE0EEENS1_30default_config_static_selectorELNS0_4arch9wavefront6targetE0EEEvSV_
		.amdhsa_group_segment_fixed_size 0
		.amdhsa_private_segment_fixed_size 0
		.amdhsa_kernarg_size 56
		.amdhsa_user_sgpr_count 2
		.amdhsa_user_sgpr_dispatch_ptr 0
		.amdhsa_user_sgpr_queue_ptr 0
		.amdhsa_user_sgpr_kernarg_segment_ptr 1
		.amdhsa_user_sgpr_dispatch_id 0
		.amdhsa_user_sgpr_kernarg_preload_length 0
		.amdhsa_user_sgpr_kernarg_preload_offset 0
		.amdhsa_user_sgpr_private_segment_size 0
		.amdhsa_wavefront_size32 1
		.amdhsa_uses_dynamic_stack 0
		.amdhsa_enable_private_segment 0
		.amdhsa_system_sgpr_workgroup_id_x 1
		.amdhsa_system_sgpr_workgroup_id_y 0
		.amdhsa_system_sgpr_workgroup_id_z 0
		.amdhsa_system_sgpr_workgroup_info 0
		.amdhsa_system_vgpr_workitem_id 0
		.amdhsa_next_free_vgpr 1
		.amdhsa_next_free_sgpr 1
		.amdhsa_named_barrier_count 0
		.amdhsa_reserve_vcc 0
		.amdhsa_float_round_mode_32 0
		.amdhsa_float_round_mode_16_64 0
		.amdhsa_float_denorm_mode_32 3
		.amdhsa_float_denorm_mode_16_64 3
		.amdhsa_fp16_overflow 0
		.amdhsa_memory_ordered 1
		.amdhsa_forward_progress 1
		.amdhsa_inst_pref_size 0
		.amdhsa_round_robin_scheduling 0
		.amdhsa_exception_fp_ieee_invalid_op 0
		.amdhsa_exception_fp_denorm_src 0
		.amdhsa_exception_fp_ieee_div_zero 0
		.amdhsa_exception_fp_ieee_overflow 0
		.amdhsa_exception_fp_ieee_underflow 0
		.amdhsa_exception_fp_ieee_inexact 0
		.amdhsa_exception_int_div_zero 0
	.end_amdhsa_kernel
	.section	.text._ZN7rocprim17ROCPRIM_400000_NS6detail17trampoline_kernelINS0_14default_configENS1_27upper_bound_config_selectorIslEEZNS1_14transform_implILb0ES3_S5_N6thrust23THRUST_200600_302600_NS6detail15normal_iteratorINS8_7pointerIsNS8_11hip_rocprim3tagENS8_11use_defaultESE_EEEENSA_INSB_IlSD_SE_SE_EEEEZNS1_13binary_searchIS3_S5_NSA_INS8_10device_ptrIsEEEESG_SI_NS1_21upper_bound_search_opENS9_16wrapped_functionINS8_7greaterIsEEbEEEE10hipError_tPvRmT1_T2_T3_mmT4_T5_P12ihipStream_tbEUlRKsE_EESS_SW_SX_mSY_S11_bEUlT_E_NS1_11comp_targetILNS1_3genE3ELNS1_11target_archE908ELNS1_3gpuE7ELNS1_3repE0EEENS1_30default_config_static_selectorELNS0_4arch9wavefront6targetE0EEEvSV_,"axG",@progbits,_ZN7rocprim17ROCPRIM_400000_NS6detail17trampoline_kernelINS0_14default_configENS1_27upper_bound_config_selectorIslEEZNS1_14transform_implILb0ES3_S5_N6thrust23THRUST_200600_302600_NS6detail15normal_iteratorINS8_7pointerIsNS8_11hip_rocprim3tagENS8_11use_defaultESE_EEEENSA_INSB_IlSD_SE_SE_EEEEZNS1_13binary_searchIS3_S5_NSA_INS8_10device_ptrIsEEEESG_SI_NS1_21upper_bound_search_opENS9_16wrapped_functionINS8_7greaterIsEEbEEEE10hipError_tPvRmT1_T2_T3_mmT4_T5_P12ihipStream_tbEUlRKsE_EESS_SW_SX_mSY_S11_bEUlT_E_NS1_11comp_targetILNS1_3genE3ELNS1_11target_archE908ELNS1_3gpuE7ELNS1_3repE0EEENS1_30default_config_static_selectorELNS0_4arch9wavefront6targetE0EEEvSV_,comdat
.Lfunc_end89:
	.size	_ZN7rocprim17ROCPRIM_400000_NS6detail17trampoline_kernelINS0_14default_configENS1_27upper_bound_config_selectorIslEEZNS1_14transform_implILb0ES3_S5_N6thrust23THRUST_200600_302600_NS6detail15normal_iteratorINS8_7pointerIsNS8_11hip_rocprim3tagENS8_11use_defaultESE_EEEENSA_INSB_IlSD_SE_SE_EEEEZNS1_13binary_searchIS3_S5_NSA_INS8_10device_ptrIsEEEESG_SI_NS1_21upper_bound_search_opENS9_16wrapped_functionINS8_7greaterIsEEbEEEE10hipError_tPvRmT1_T2_T3_mmT4_T5_P12ihipStream_tbEUlRKsE_EESS_SW_SX_mSY_S11_bEUlT_E_NS1_11comp_targetILNS1_3genE3ELNS1_11target_archE908ELNS1_3gpuE7ELNS1_3repE0EEENS1_30default_config_static_selectorELNS0_4arch9wavefront6targetE0EEEvSV_, .Lfunc_end89-_ZN7rocprim17ROCPRIM_400000_NS6detail17trampoline_kernelINS0_14default_configENS1_27upper_bound_config_selectorIslEEZNS1_14transform_implILb0ES3_S5_N6thrust23THRUST_200600_302600_NS6detail15normal_iteratorINS8_7pointerIsNS8_11hip_rocprim3tagENS8_11use_defaultESE_EEEENSA_INSB_IlSD_SE_SE_EEEEZNS1_13binary_searchIS3_S5_NSA_INS8_10device_ptrIsEEEESG_SI_NS1_21upper_bound_search_opENS9_16wrapped_functionINS8_7greaterIsEEbEEEE10hipError_tPvRmT1_T2_T3_mmT4_T5_P12ihipStream_tbEUlRKsE_EESS_SW_SX_mSY_S11_bEUlT_E_NS1_11comp_targetILNS1_3genE3ELNS1_11target_archE908ELNS1_3gpuE7ELNS1_3repE0EEENS1_30default_config_static_selectorELNS0_4arch9wavefront6targetE0EEEvSV_
                                        ; -- End function
	.set _ZN7rocprim17ROCPRIM_400000_NS6detail17trampoline_kernelINS0_14default_configENS1_27upper_bound_config_selectorIslEEZNS1_14transform_implILb0ES3_S5_N6thrust23THRUST_200600_302600_NS6detail15normal_iteratorINS8_7pointerIsNS8_11hip_rocprim3tagENS8_11use_defaultESE_EEEENSA_INSB_IlSD_SE_SE_EEEEZNS1_13binary_searchIS3_S5_NSA_INS8_10device_ptrIsEEEESG_SI_NS1_21upper_bound_search_opENS9_16wrapped_functionINS8_7greaterIsEEbEEEE10hipError_tPvRmT1_T2_T3_mmT4_T5_P12ihipStream_tbEUlRKsE_EESS_SW_SX_mSY_S11_bEUlT_E_NS1_11comp_targetILNS1_3genE3ELNS1_11target_archE908ELNS1_3gpuE7ELNS1_3repE0EEENS1_30default_config_static_selectorELNS0_4arch9wavefront6targetE0EEEvSV_.num_vgpr, 0
	.set _ZN7rocprim17ROCPRIM_400000_NS6detail17trampoline_kernelINS0_14default_configENS1_27upper_bound_config_selectorIslEEZNS1_14transform_implILb0ES3_S5_N6thrust23THRUST_200600_302600_NS6detail15normal_iteratorINS8_7pointerIsNS8_11hip_rocprim3tagENS8_11use_defaultESE_EEEENSA_INSB_IlSD_SE_SE_EEEEZNS1_13binary_searchIS3_S5_NSA_INS8_10device_ptrIsEEEESG_SI_NS1_21upper_bound_search_opENS9_16wrapped_functionINS8_7greaterIsEEbEEEE10hipError_tPvRmT1_T2_T3_mmT4_T5_P12ihipStream_tbEUlRKsE_EESS_SW_SX_mSY_S11_bEUlT_E_NS1_11comp_targetILNS1_3genE3ELNS1_11target_archE908ELNS1_3gpuE7ELNS1_3repE0EEENS1_30default_config_static_selectorELNS0_4arch9wavefront6targetE0EEEvSV_.num_agpr, 0
	.set _ZN7rocprim17ROCPRIM_400000_NS6detail17trampoline_kernelINS0_14default_configENS1_27upper_bound_config_selectorIslEEZNS1_14transform_implILb0ES3_S5_N6thrust23THRUST_200600_302600_NS6detail15normal_iteratorINS8_7pointerIsNS8_11hip_rocprim3tagENS8_11use_defaultESE_EEEENSA_INSB_IlSD_SE_SE_EEEEZNS1_13binary_searchIS3_S5_NSA_INS8_10device_ptrIsEEEESG_SI_NS1_21upper_bound_search_opENS9_16wrapped_functionINS8_7greaterIsEEbEEEE10hipError_tPvRmT1_T2_T3_mmT4_T5_P12ihipStream_tbEUlRKsE_EESS_SW_SX_mSY_S11_bEUlT_E_NS1_11comp_targetILNS1_3genE3ELNS1_11target_archE908ELNS1_3gpuE7ELNS1_3repE0EEENS1_30default_config_static_selectorELNS0_4arch9wavefront6targetE0EEEvSV_.numbered_sgpr, 0
	.set _ZN7rocprim17ROCPRIM_400000_NS6detail17trampoline_kernelINS0_14default_configENS1_27upper_bound_config_selectorIslEEZNS1_14transform_implILb0ES3_S5_N6thrust23THRUST_200600_302600_NS6detail15normal_iteratorINS8_7pointerIsNS8_11hip_rocprim3tagENS8_11use_defaultESE_EEEENSA_INSB_IlSD_SE_SE_EEEEZNS1_13binary_searchIS3_S5_NSA_INS8_10device_ptrIsEEEESG_SI_NS1_21upper_bound_search_opENS9_16wrapped_functionINS8_7greaterIsEEbEEEE10hipError_tPvRmT1_T2_T3_mmT4_T5_P12ihipStream_tbEUlRKsE_EESS_SW_SX_mSY_S11_bEUlT_E_NS1_11comp_targetILNS1_3genE3ELNS1_11target_archE908ELNS1_3gpuE7ELNS1_3repE0EEENS1_30default_config_static_selectorELNS0_4arch9wavefront6targetE0EEEvSV_.num_named_barrier, 0
	.set _ZN7rocprim17ROCPRIM_400000_NS6detail17trampoline_kernelINS0_14default_configENS1_27upper_bound_config_selectorIslEEZNS1_14transform_implILb0ES3_S5_N6thrust23THRUST_200600_302600_NS6detail15normal_iteratorINS8_7pointerIsNS8_11hip_rocprim3tagENS8_11use_defaultESE_EEEENSA_INSB_IlSD_SE_SE_EEEEZNS1_13binary_searchIS3_S5_NSA_INS8_10device_ptrIsEEEESG_SI_NS1_21upper_bound_search_opENS9_16wrapped_functionINS8_7greaterIsEEbEEEE10hipError_tPvRmT1_T2_T3_mmT4_T5_P12ihipStream_tbEUlRKsE_EESS_SW_SX_mSY_S11_bEUlT_E_NS1_11comp_targetILNS1_3genE3ELNS1_11target_archE908ELNS1_3gpuE7ELNS1_3repE0EEENS1_30default_config_static_selectorELNS0_4arch9wavefront6targetE0EEEvSV_.private_seg_size, 0
	.set _ZN7rocprim17ROCPRIM_400000_NS6detail17trampoline_kernelINS0_14default_configENS1_27upper_bound_config_selectorIslEEZNS1_14transform_implILb0ES3_S5_N6thrust23THRUST_200600_302600_NS6detail15normal_iteratorINS8_7pointerIsNS8_11hip_rocprim3tagENS8_11use_defaultESE_EEEENSA_INSB_IlSD_SE_SE_EEEEZNS1_13binary_searchIS3_S5_NSA_INS8_10device_ptrIsEEEESG_SI_NS1_21upper_bound_search_opENS9_16wrapped_functionINS8_7greaterIsEEbEEEE10hipError_tPvRmT1_T2_T3_mmT4_T5_P12ihipStream_tbEUlRKsE_EESS_SW_SX_mSY_S11_bEUlT_E_NS1_11comp_targetILNS1_3genE3ELNS1_11target_archE908ELNS1_3gpuE7ELNS1_3repE0EEENS1_30default_config_static_selectorELNS0_4arch9wavefront6targetE0EEEvSV_.uses_vcc, 0
	.set _ZN7rocprim17ROCPRIM_400000_NS6detail17trampoline_kernelINS0_14default_configENS1_27upper_bound_config_selectorIslEEZNS1_14transform_implILb0ES3_S5_N6thrust23THRUST_200600_302600_NS6detail15normal_iteratorINS8_7pointerIsNS8_11hip_rocprim3tagENS8_11use_defaultESE_EEEENSA_INSB_IlSD_SE_SE_EEEEZNS1_13binary_searchIS3_S5_NSA_INS8_10device_ptrIsEEEESG_SI_NS1_21upper_bound_search_opENS9_16wrapped_functionINS8_7greaterIsEEbEEEE10hipError_tPvRmT1_T2_T3_mmT4_T5_P12ihipStream_tbEUlRKsE_EESS_SW_SX_mSY_S11_bEUlT_E_NS1_11comp_targetILNS1_3genE3ELNS1_11target_archE908ELNS1_3gpuE7ELNS1_3repE0EEENS1_30default_config_static_selectorELNS0_4arch9wavefront6targetE0EEEvSV_.uses_flat_scratch, 0
	.set _ZN7rocprim17ROCPRIM_400000_NS6detail17trampoline_kernelINS0_14default_configENS1_27upper_bound_config_selectorIslEEZNS1_14transform_implILb0ES3_S5_N6thrust23THRUST_200600_302600_NS6detail15normal_iteratorINS8_7pointerIsNS8_11hip_rocprim3tagENS8_11use_defaultESE_EEEENSA_INSB_IlSD_SE_SE_EEEEZNS1_13binary_searchIS3_S5_NSA_INS8_10device_ptrIsEEEESG_SI_NS1_21upper_bound_search_opENS9_16wrapped_functionINS8_7greaterIsEEbEEEE10hipError_tPvRmT1_T2_T3_mmT4_T5_P12ihipStream_tbEUlRKsE_EESS_SW_SX_mSY_S11_bEUlT_E_NS1_11comp_targetILNS1_3genE3ELNS1_11target_archE908ELNS1_3gpuE7ELNS1_3repE0EEENS1_30default_config_static_selectorELNS0_4arch9wavefront6targetE0EEEvSV_.has_dyn_sized_stack, 0
	.set _ZN7rocprim17ROCPRIM_400000_NS6detail17trampoline_kernelINS0_14default_configENS1_27upper_bound_config_selectorIslEEZNS1_14transform_implILb0ES3_S5_N6thrust23THRUST_200600_302600_NS6detail15normal_iteratorINS8_7pointerIsNS8_11hip_rocprim3tagENS8_11use_defaultESE_EEEENSA_INSB_IlSD_SE_SE_EEEEZNS1_13binary_searchIS3_S5_NSA_INS8_10device_ptrIsEEEESG_SI_NS1_21upper_bound_search_opENS9_16wrapped_functionINS8_7greaterIsEEbEEEE10hipError_tPvRmT1_T2_T3_mmT4_T5_P12ihipStream_tbEUlRKsE_EESS_SW_SX_mSY_S11_bEUlT_E_NS1_11comp_targetILNS1_3genE3ELNS1_11target_archE908ELNS1_3gpuE7ELNS1_3repE0EEENS1_30default_config_static_selectorELNS0_4arch9wavefront6targetE0EEEvSV_.has_recursion, 0
	.set _ZN7rocprim17ROCPRIM_400000_NS6detail17trampoline_kernelINS0_14default_configENS1_27upper_bound_config_selectorIslEEZNS1_14transform_implILb0ES3_S5_N6thrust23THRUST_200600_302600_NS6detail15normal_iteratorINS8_7pointerIsNS8_11hip_rocprim3tagENS8_11use_defaultESE_EEEENSA_INSB_IlSD_SE_SE_EEEEZNS1_13binary_searchIS3_S5_NSA_INS8_10device_ptrIsEEEESG_SI_NS1_21upper_bound_search_opENS9_16wrapped_functionINS8_7greaterIsEEbEEEE10hipError_tPvRmT1_T2_T3_mmT4_T5_P12ihipStream_tbEUlRKsE_EESS_SW_SX_mSY_S11_bEUlT_E_NS1_11comp_targetILNS1_3genE3ELNS1_11target_archE908ELNS1_3gpuE7ELNS1_3repE0EEENS1_30default_config_static_selectorELNS0_4arch9wavefront6targetE0EEEvSV_.has_indirect_call, 0
	.section	.AMDGPU.csdata,"",@progbits
; Kernel info:
; codeLenInByte = 0
; TotalNumSgprs: 0
; NumVgprs: 0
; ScratchSize: 0
; MemoryBound: 0
; FloatMode: 240
; IeeeMode: 1
; LDSByteSize: 0 bytes/workgroup (compile time only)
; SGPRBlocks: 0
; VGPRBlocks: 0
; NumSGPRsForWavesPerEU: 1
; NumVGPRsForWavesPerEU: 1
; NamedBarCnt: 0
; Occupancy: 16
; WaveLimiterHint : 0
; COMPUTE_PGM_RSRC2:SCRATCH_EN: 0
; COMPUTE_PGM_RSRC2:USER_SGPR: 2
; COMPUTE_PGM_RSRC2:TRAP_HANDLER: 0
; COMPUTE_PGM_RSRC2:TGID_X_EN: 1
; COMPUTE_PGM_RSRC2:TGID_Y_EN: 0
; COMPUTE_PGM_RSRC2:TGID_Z_EN: 0
; COMPUTE_PGM_RSRC2:TIDIG_COMP_CNT: 0
	.section	.text._ZN7rocprim17ROCPRIM_400000_NS6detail17trampoline_kernelINS0_14default_configENS1_27upper_bound_config_selectorIslEEZNS1_14transform_implILb0ES3_S5_N6thrust23THRUST_200600_302600_NS6detail15normal_iteratorINS8_7pointerIsNS8_11hip_rocprim3tagENS8_11use_defaultESE_EEEENSA_INSB_IlSD_SE_SE_EEEEZNS1_13binary_searchIS3_S5_NSA_INS8_10device_ptrIsEEEESG_SI_NS1_21upper_bound_search_opENS9_16wrapped_functionINS8_7greaterIsEEbEEEE10hipError_tPvRmT1_T2_T3_mmT4_T5_P12ihipStream_tbEUlRKsE_EESS_SW_SX_mSY_S11_bEUlT_E_NS1_11comp_targetILNS1_3genE2ELNS1_11target_archE906ELNS1_3gpuE6ELNS1_3repE0EEENS1_30default_config_static_selectorELNS0_4arch9wavefront6targetE0EEEvSV_,"axG",@progbits,_ZN7rocprim17ROCPRIM_400000_NS6detail17trampoline_kernelINS0_14default_configENS1_27upper_bound_config_selectorIslEEZNS1_14transform_implILb0ES3_S5_N6thrust23THRUST_200600_302600_NS6detail15normal_iteratorINS8_7pointerIsNS8_11hip_rocprim3tagENS8_11use_defaultESE_EEEENSA_INSB_IlSD_SE_SE_EEEEZNS1_13binary_searchIS3_S5_NSA_INS8_10device_ptrIsEEEESG_SI_NS1_21upper_bound_search_opENS9_16wrapped_functionINS8_7greaterIsEEbEEEE10hipError_tPvRmT1_T2_T3_mmT4_T5_P12ihipStream_tbEUlRKsE_EESS_SW_SX_mSY_S11_bEUlT_E_NS1_11comp_targetILNS1_3genE2ELNS1_11target_archE906ELNS1_3gpuE6ELNS1_3repE0EEENS1_30default_config_static_selectorELNS0_4arch9wavefront6targetE0EEEvSV_,comdat
	.protected	_ZN7rocprim17ROCPRIM_400000_NS6detail17trampoline_kernelINS0_14default_configENS1_27upper_bound_config_selectorIslEEZNS1_14transform_implILb0ES3_S5_N6thrust23THRUST_200600_302600_NS6detail15normal_iteratorINS8_7pointerIsNS8_11hip_rocprim3tagENS8_11use_defaultESE_EEEENSA_INSB_IlSD_SE_SE_EEEEZNS1_13binary_searchIS3_S5_NSA_INS8_10device_ptrIsEEEESG_SI_NS1_21upper_bound_search_opENS9_16wrapped_functionINS8_7greaterIsEEbEEEE10hipError_tPvRmT1_T2_T3_mmT4_T5_P12ihipStream_tbEUlRKsE_EESS_SW_SX_mSY_S11_bEUlT_E_NS1_11comp_targetILNS1_3genE2ELNS1_11target_archE906ELNS1_3gpuE6ELNS1_3repE0EEENS1_30default_config_static_selectorELNS0_4arch9wavefront6targetE0EEEvSV_ ; -- Begin function _ZN7rocprim17ROCPRIM_400000_NS6detail17trampoline_kernelINS0_14default_configENS1_27upper_bound_config_selectorIslEEZNS1_14transform_implILb0ES3_S5_N6thrust23THRUST_200600_302600_NS6detail15normal_iteratorINS8_7pointerIsNS8_11hip_rocprim3tagENS8_11use_defaultESE_EEEENSA_INSB_IlSD_SE_SE_EEEEZNS1_13binary_searchIS3_S5_NSA_INS8_10device_ptrIsEEEESG_SI_NS1_21upper_bound_search_opENS9_16wrapped_functionINS8_7greaterIsEEbEEEE10hipError_tPvRmT1_T2_T3_mmT4_T5_P12ihipStream_tbEUlRKsE_EESS_SW_SX_mSY_S11_bEUlT_E_NS1_11comp_targetILNS1_3genE2ELNS1_11target_archE906ELNS1_3gpuE6ELNS1_3repE0EEENS1_30default_config_static_selectorELNS0_4arch9wavefront6targetE0EEEvSV_
	.globl	_ZN7rocprim17ROCPRIM_400000_NS6detail17trampoline_kernelINS0_14default_configENS1_27upper_bound_config_selectorIslEEZNS1_14transform_implILb0ES3_S5_N6thrust23THRUST_200600_302600_NS6detail15normal_iteratorINS8_7pointerIsNS8_11hip_rocprim3tagENS8_11use_defaultESE_EEEENSA_INSB_IlSD_SE_SE_EEEEZNS1_13binary_searchIS3_S5_NSA_INS8_10device_ptrIsEEEESG_SI_NS1_21upper_bound_search_opENS9_16wrapped_functionINS8_7greaterIsEEbEEEE10hipError_tPvRmT1_T2_T3_mmT4_T5_P12ihipStream_tbEUlRKsE_EESS_SW_SX_mSY_S11_bEUlT_E_NS1_11comp_targetILNS1_3genE2ELNS1_11target_archE906ELNS1_3gpuE6ELNS1_3repE0EEENS1_30default_config_static_selectorELNS0_4arch9wavefront6targetE0EEEvSV_
	.p2align	8
	.type	_ZN7rocprim17ROCPRIM_400000_NS6detail17trampoline_kernelINS0_14default_configENS1_27upper_bound_config_selectorIslEEZNS1_14transform_implILb0ES3_S5_N6thrust23THRUST_200600_302600_NS6detail15normal_iteratorINS8_7pointerIsNS8_11hip_rocprim3tagENS8_11use_defaultESE_EEEENSA_INSB_IlSD_SE_SE_EEEEZNS1_13binary_searchIS3_S5_NSA_INS8_10device_ptrIsEEEESG_SI_NS1_21upper_bound_search_opENS9_16wrapped_functionINS8_7greaterIsEEbEEEE10hipError_tPvRmT1_T2_T3_mmT4_T5_P12ihipStream_tbEUlRKsE_EESS_SW_SX_mSY_S11_bEUlT_E_NS1_11comp_targetILNS1_3genE2ELNS1_11target_archE906ELNS1_3gpuE6ELNS1_3repE0EEENS1_30default_config_static_selectorELNS0_4arch9wavefront6targetE0EEEvSV_,@function
_ZN7rocprim17ROCPRIM_400000_NS6detail17trampoline_kernelINS0_14default_configENS1_27upper_bound_config_selectorIslEEZNS1_14transform_implILb0ES3_S5_N6thrust23THRUST_200600_302600_NS6detail15normal_iteratorINS8_7pointerIsNS8_11hip_rocprim3tagENS8_11use_defaultESE_EEEENSA_INSB_IlSD_SE_SE_EEEEZNS1_13binary_searchIS3_S5_NSA_INS8_10device_ptrIsEEEESG_SI_NS1_21upper_bound_search_opENS9_16wrapped_functionINS8_7greaterIsEEbEEEE10hipError_tPvRmT1_T2_T3_mmT4_T5_P12ihipStream_tbEUlRKsE_EESS_SW_SX_mSY_S11_bEUlT_E_NS1_11comp_targetILNS1_3genE2ELNS1_11target_archE906ELNS1_3gpuE6ELNS1_3repE0EEENS1_30default_config_static_selectorELNS0_4arch9wavefront6targetE0EEEvSV_: ; @_ZN7rocprim17ROCPRIM_400000_NS6detail17trampoline_kernelINS0_14default_configENS1_27upper_bound_config_selectorIslEEZNS1_14transform_implILb0ES3_S5_N6thrust23THRUST_200600_302600_NS6detail15normal_iteratorINS8_7pointerIsNS8_11hip_rocprim3tagENS8_11use_defaultESE_EEEENSA_INSB_IlSD_SE_SE_EEEEZNS1_13binary_searchIS3_S5_NSA_INS8_10device_ptrIsEEEESG_SI_NS1_21upper_bound_search_opENS9_16wrapped_functionINS8_7greaterIsEEbEEEE10hipError_tPvRmT1_T2_T3_mmT4_T5_P12ihipStream_tbEUlRKsE_EESS_SW_SX_mSY_S11_bEUlT_E_NS1_11comp_targetILNS1_3genE2ELNS1_11target_archE906ELNS1_3gpuE6ELNS1_3repE0EEENS1_30default_config_static_selectorELNS0_4arch9wavefront6targetE0EEEvSV_
; %bb.0:
	.section	.rodata,"a",@progbits
	.p2align	6, 0x0
	.amdhsa_kernel _ZN7rocprim17ROCPRIM_400000_NS6detail17trampoline_kernelINS0_14default_configENS1_27upper_bound_config_selectorIslEEZNS1_14transform_implILb0ES3_S5_N6thrust23THRUST_200600_302600_NS6detail15normal_iteratorINS8_7pointerIsNS8_11hip_rocprim3tagENS8_11use_defaultESE_EEEENSA_INSB_IlSD_SE_SE_EEEEZNS1_13binary_searchIS3_S5_NSA_INS8_10device_ptrIsEEEESG_SI_NS1_21upper_bound_search_opENS9_16wrapped_functionINS8_7greaterIsEEbEEEE10hipError_tPvRmT1_T2_T3_mmT4_T5_P12ihipStream_tbEUlRKsE_EESS_SW_SX_mSY_S11_bEUlT_E_NS1_11comp_targetILNS1_3genE2ELNS1_11target_archE906ELNS1_3gpuE6ELNS1_3repE0EEENS1_30default_config_static_selectorELNS0_4arch9wavefront6targetE0EEEvSV_
		.amdhsa_group_segment_fixed_size 0
		.amdhsa_private_segment_fixed_size 0
		.amdhsa_kernarg_size 56
		.amdhsa_user_sgpr_count 2
		.amdhsa_user_sgpr_dispatch_ptr 0
		.amdhsa_user_sgpr_queue_ptr 0
		.amdhsa_user_sgpr_kernarg_segment_ptr 1
		.amdhsa_user_sgpr_dispatch_id 0
		.amdhsa_user_sgpr_kernarg_preload_length 0
		.amdhsa_user_sgpr_kernarg_preload_offset 0
		.amdhsa_user_sgpr_private_segment_size 0
		.amdhsa_wavefront_size32 1
		.amdhsa_uses_dynamic_stack 0
		.amdhsa_enable_private_segment 0
		.amdhsa_system_sgpr_workgroup_id_x 1
		.amdhsa_system_sgpr_workgroup_id_y 0
		.amdhsa_system_sgpr_workgroup_id_z 0
		.amdhsa_system_sgpr_workgroup_info 0
		.amdhsa_system_vgpr_workitem_id 0
		.amdhsa_next_free_vgpr 1
		.amdhsa_next_free_sgpr 1
		.amdhsa_named_barrier_count 0
		.amdhsa_reserve_vcc 0
		.amdhsa_float_round_mode_32 0
		.amdhsa_float_round_mode_16_64 0
		.amdhsa_float_denorm_mode_32 3
		.amdhsa_float_denorm_mode_16_64 3
		.amdhsa_fp16_overflow 0
		.amdhsa_memory_ordered 1
		.amdhsa_forward_progress 1
		.amdhsa_inst_pref_size 0
		.amdhsa_round_robin_scheduling 0
		.amdhsa_exception_fp_ieee_invalid_op 0
		.amdhsa_exception_fp_denorm_src 0
		.amdhsa_exception_fp_ieee_div_zero 0
		.amdhsa_exception_fp_ieee_overflow 0
		.amdhsa_exception_fp_ieee_underflow 0
		.amdhsa_exception_fp_ieee_inexact 0
		.amdhsa_exception_int_div_zero 0
	.end_amdhsa_kernel
	.section	.text._ZN7rocprim17ROCPRIM_400000_NS6detail17trampoline_kernelINS0_14default_configENS1_27upper_bound_config_selectorIslEEZNS1_14transform_implILb0ES3_S5_N6thrust23THRUST_200600_302600_NS6detail15normal_iteratorINS8_7pointerIsNS8_11hip_rocprim3tagENS8_11use_defaultESE_EEEENSA_INSB_IlSD_SE_SE_EEEEZNS1_13binary_searchIS3_S5_NSA_INS8_10device_ptrIsEEEESG_SI_NS1_21upper_bound_search_opENS9_16wrapped_functionINS8_7greaterIsEEbEEEE10hipError_tPvRmT1_T2_T3_mmT4_T5_P12ihipStream_tbEUlRKsE_EESS_SW_SX_mSY_S11_bEUlT_E_NS1_11comp_targetILNS1_3genE2ELNS1_11target_archE906ELNS1_3gpuE6ELNS1_3repE0EEENS1_30default_config_static_selectorELNS0_4arch9wavefront6targetE0EEEvSV_,"axG",@progbits,_ZN7rocprim17ROCPRIM_400000_NS6detail17trampoline_kernelINS0_14default_configENS1_27upper_bound_config_selectorIslEEZNS1_14transform_implILb0ES3_S5_N6thrust23THRUST_200600_302600_NS6detail15normal_iteratorINS8_7pointerIsNS8_11hip_rocprim3tagENS8_11use_defaultESE_EEEENSA_INSB_IlSD_SE_SE_EEEEZNS1_13binary_searchIS3_S5_NSA_INS8_10device_ptrIsEEEESG_SI_NS1_21upper_bound_search_opENS9_16wrapped_functionINS8_7greaterIsEEbEEEE10hipError_tPvRmT1_T2_T3_mmT4_T5_P12ihipStream_tbEUlRKsE_EESS_SW_SX_mSY_S11_bEUlT_E_NS1_11comp_targetILNS1_3genE2ELNS1_11target_archE906ELNS1_3gpuE6ELNS1_3repE0EEENS1_30default_config_static_selectorELNS0_4arch9wavefront6targetE0EEEvSV_,comdat
.Lfunc_end90:
	.size	_ZN7rocprim17ROCPRIM_400000_NS6detail17trampoline_kernelINS0_14default_configENS1_27upper_bound_config_selectorIslEEZNS1_14transform_implILb0ES3_S5_N6thrust23THRUST_200600_302600_NS6detail15normal_iteratorINS8_7pointerIsNS8_11hip_rocprim3tagENS8_11use_defaultESE_EEEENSA_INSB_IlSD_SE_SE_EEEEZNS1_13binary_searchIS3_S5_NSA_INS8_10device_ptrIsEEEESG_SI_NS1_21upper_bound_search_opENS9_16wrapped_functionINS8_7greaterIsEEbEEEE10hipError_tPvRmT1_T2_T3_mmT4_T5_P12ihipStream_tbEUlRKsE_EESS_SW_SX_mSY_S11_bEUlT_E_NS1_11comp_targetILNS1_3genE2ELNS1_11target_archE906ELNS1_3gpuE6ELNS1_3repE0EEENS1_30default_config_static_selectorELNS0_4arch9wavefront6targetE0EEEvSV_, .Lfunc_end90-_ZN7rocprim17ROCPRIM_400000_NS6detail17trampoline_kernelINS0_14default_configENS1_27upper_bound_config_selectorIslEEZNS1_14transform_implILb0ES3_S5_N6thrust23THRUST_200600_302600_NS6detail15normal_iteratorINS8_7pointerIsNS8_11hip_rocprim3tagENS8_11use_defaultESE_EEEENSA_INSB_IlSD_SE_SE_EEEEZNS1_13binary_searchIS3_S5_NSA_INS8_10device_ptrIsEEEESG_SI_NS1_21upper_bound_search_opENS9_16wrapped_functionINS8_7greaterIsEEbEEEE10hipError_tPvRmT1_T2_T3_mmT4_T5_P12ihipStream_tbEUlRKsE_EESS_SW_SX_mSY_S11_bEUlT_E_NS1_11comp_targetILNS1_3genE2ELNS1_11target_archE906ELNS1_3gpuE6ELNS1_3repE0EEENS1_30default_config_static_selectorELNS0_4arch9wavefront6targetE0EEEvSV_
                                        ; -- End function
	.set _ZN7rocprim17ROCPRIM_400000_NS6detail17trampoline_kernelINS0_14default_configENS1_27upper_bound_config_selectorIslEEZNS1_14transform_implILb0ES3_S5_N6thrust23THRUST_200600_302600_NS6detail15normal_iteratorINS8_7pointerIsNS8_11hip_rocprim3tagENS8_11use_defaultESE_EEEENSA_INSB_IlSD_SE_SE_EEEEZNS1_13binary_searchIS3_S5_NSA_INS8_10device_ptrIsEEEESG_SI_NS1_21upper_bound_search_opENS9_16wrapped_functionINS8_7greaterIsEEbEEEE10hipError_tPvRmT1_T2_T3_mmT4_T5_P12ihipStream_tbEUlRKsE_EESS_SW_SX_mSY_S11_bEUlT_E_NS1_11comp_targetILNS1_3genE2ELNS1_11target_archE906ELNS1_3gpuE6ELNS1_3repE0EEENS1_30default_config_static_selectorELNS0_4arch9wavefront6targetE0EEEvSV_.num_vgpr, 0
	.set _ZN7rocprim17ROCPRIM_400000_NS6detail17trampoline_kernelINS0_14default_configENS1_27upper_bound_config_selectorIslEEZNS1_14transform_implILb0ES3_S5_N6thrust23THRUST_200600_302600_NS6detail15normal_iteratorINS8_7pointerIsNS8_11hip_rocprim3tagENS8_11use_defaultESE_EEEENSA_INSB_IlSD_SE_SE_EEEEZNS1_13binary_searchIS3_S5_NSA_INS8_10device_ptrIsEEEESG_SI_NS1_21upper_bound_search_opENS9_16wrapped_functionINS8_7greaterIsEEbEEEE10hipError_tPvRmT1_T2_T3_mmT4_T5_P12ihipStream_tbEUlRKsE_EESS_SW_SX_mSY_S11_bEUlT_E_NS1_11comp_targetILNS1_3genE2ELNS1_11target_archE906ELNS1_3gpuE6ELNS1_3repE0EEENS1_30default_config_static_selectorELNS0_4arch9wavefront6targetE0EEEvSV_.num_agpr, 0
	.set _ZN7rocprim17ROCPRIM_400000_NS6detail17trampoline_kernelINS0_14default_configENS1_27upper_bound_config_selectorIslEEZNS1_14transform_implILb0ES3_S5_N6thrust23THRUST_200600_302600_NS6detail15normal_iteratorINS8_7pointerIsNS8_11hip_rocprim3tagENS8_11use_defaultESE_EEEENSA_INSB_IlSD_SE_SE_EEEEZNS1_13binary_searchIS3_S5_NSA_INS8_10device_ptrIsEEEESG_SI_NS1_21upper_bound_search_opENS9_16wrapped_functionINS8_7greaterIsEEbEEEE10hipError_tPvRmT1_T2_T3_mmT4_T5_P12ihipStream_tbEUlRKsE_EESS_SW_SX_mSY_S11_bEUlT_E_NS1_11comp_targetILNS1_3genE2ELNS1_11target_archE906ELNS1_3gpuE6ELNS1_3repE0EEENS1_30default_config_static_selectorELNS0_4arch9wavefront6targetE0EEEvSV_.numbered_sgpr, 0
	.set _ZN7rocprim17ROCPRIM_400000_NS6detail17trampoline_kernelINS0_14default_configENS1_27upper_bound_config_selectorIslEEZNS1_14transform_implILb0ES3_S5_N6thrust23THRUST_200600_302600_NS6detail15normal_iteratorINS8_7pointerIsNS8_11hip_rocprim3tagENS8_11use_defaultESE_EEEENSA_INSB_IlSD_SE_SE_EEEEZNS1_13binary_searchIS3_S5_NSA_INS8_10device_ptrIsEEEESG_SI_NS1_21upper_bound_search_opENS9_16wrapped_functionINS8_7greaterIsEEbEEEE10hipError_tPvRmT1_T2_T3_mmT4_T5_P12ihipStream_tbEUlRKsE_EESS_SW_SX_mSY_S11_bEUlT_E_NS1_11comp_targetILNS1_3genE2ELNS1_11target_archE906ELNS1_3gpuE6ELNS1_3repE0EEENS1_30default_config_static_selectorELNS0_4arch9wavefront6targetE0EEEvSV_.num_named_barrier, 0
	.set _ZN7rocprim17ROCPRIM_400000_NS6detail17trampoline_kernelINS0_14default_configENS1_27upper_bound_config_selectorIslEEZNS1_14transform_implILb0ES3_S5_N6thrust23THRUST_200600_302600_NS6detail15normal_iteratorINS8_7pointerIsNS8_11hip_rocprim3tagENS8_11use_defaultESE_EEEENSA_INSB_IlSD_SE_SE_EEEEZNS1_13binary_searchIS3_S5_NSA_INS8_10device_ptrIsEEEESG_SI_NS1_21upper_bound_search_opENS9_16wrapped_functionINS8_7greaterIsEEbEEEE10hipError_tPvRmT1_T2_T3_mmT4_T5_P12ihipStream_tbEUlRKsE_EESS_SW_SX_mSY_S11_bEUlT_E_NS1_11comp_targetILNS1_3genE2ELNS1_11target_archE906ELNS1_3gpuE6ELNS1_3repE0EEENS1_30default_config_static_selectorELNS0_4arch9wavefront6targetE0EEEvSV_.private_seg_size, 0
	.set _ZN7rocprim17ROCPRIM_400000_NS6detail17trampoline_kernelINS0_14default_configENS1_27upper_bound_config_selectorIslEEZNS1_14transform_implILb0ES3_S5_N6thrust23THRUST_200600_302600_NS6detail15normal_iteratorINS8_7pointerIsNS8_11hip_rocprim3tagENS8_11use_defaultESE_EEEENSA_INSB_IlSD_SE_SE_EEEEZNS1_13binary_searchIS3_S5_NSA_INS8_10device_ptrIsEEEESG_SI_NS1_21upper_bound_search_opENS9_16wrapped_functionINS8_7greaterIsEEbEEEE10hipError_tPvRmT1_T2_T3_mmT4_T5_P12ihipStream_tbEUlRKsE_EESS_SW_SX_mSY_S11_bEUlT_E_NS1_11comp_targetILNS1_3genE2ELNS1_11target_archE906ELNS1_3gpuE6ELNS1_3repE0EEENS1_30default_config_static_selectorELNS0_4arch9wavefront6targetE0EEEvSV_.uses_vcc, 0
	.set _ZN7rocprim17ROCPRIM_400000_NS6detail17trampoline_kernelINS0_14default_configENS1_27upper_bound_config_selectorIslEEZNS1_14transform_implILb0ES3_S5_N6thrust23THRUST_200600_302600_NS6detail15normal_iteratorINS8_7pointerIsNS8_11hip_rocprim3tagENS8_11use_defaultESE_EEEENSA_INSB_IlSD_SE_SE_EEEEZNS1_13binary_searchIS3_S5_NSA_INS8_10device_ptrIsEEEESG_SI_NS1_21upper_bound_search_opENS9_16wrapped_functionINS8_7greaterIsEEbEEEE10hipError_tPvRmT1_T2_T3_mmT4_T5_P12ihipStream_tbEUlRKsE_EESS_SW_SX_mSY_S11_bEUlT_E_NS1_11comp_targetILNS1_3genE2ELNS1_11target_archE906ELNS1_3gpuE6ELNS1_3repE0EEENS1_30default_config_static_selectorELNS0_4arch9wavefront6targetE0EEEvSV_.uses_flat_scratch, 0
	.set _ZN7rocprim17ROCPRIM_400000_NS6detail17trampoline_kernelINS0_14default_configENS1_27upper_bound_config_selectorIslEEZNS1_14transform_implILb0ES3_S5_N6thrust23THRUST_200600_302600_NS6detail15normal_iteratorINS8_7pointerIsNS8_11hip_rocprim3tagENS8_11use_defaultESE_EEEENSA_INSB_IlSD_SE_SE_EEEEZNS1_13binary_searchIS3_S5_NSA_INS8_10device_ptrIsEEEESG_SI_NS1_21upper_bound_search_opENS9_16wrapped_functionINS8_7greaterIsEEbEEEE10hipError_tPvRmT1_T2_T3_mmT4_T5_P12ihipStream_tbEUlRKsE_EESS_SW_SX_mSY_S11_bEUlT_E_NS1_11comp_targetILNS1_3genE2ELNS1_11target_archE906ELNS1_3gpuE6ELNS1_3repE0EEENS1_30default_config_static_selectorELNS0_4arch9wavefront6targetE0EEEvSV_.has_dyn_sized_stack, 0
	.set _ZN7rocprim17ROCPRIM_400000_NS6detail17trampoline_kernelINS0_14default_configENS1_27upper_bound_config_selectorIslEEZNS1_14transform_implILb0ES3_S5_N6thrust23THRUST_200600_302600_NS6detail15normal_iteratorINS8_7pointerIsNS8_11hip_rocprim3tagENS8_11use_defaultESE_EEEENSA_INSB_IlSD_SE_SE_EEEEZNS1_13binary_searchIS3_S5_NSA_INS8_10device_ptrIsEEEESG_SI_NS1_21upper_bound_search_opENS9_16wrapped_functionINS8_7greaterIsEEbEEEE10hipError_tPvRmT1_T2_T3_mmT4_T5_P12ihipStream_tbEUlRKsE_EESS_SW_SX_mSY_S11_bEUlT_E_NS1_11comp_targetILNS1_3genE2ELNS1_11target_archE906ELNS1_3gpuE6ELNS1_3repE0EEENS1_30default_config_static_selectorELNS0_4arch9wavefront6targetE0EEEvSV_.has_recursion, 0
	.set _ZN7rocprim17ROCPRIM_400000_NS6detail17trampoline_kernelINS0_14default_configENS1_27upper_bound_config_selectorIslEEZNS1_14transform_implILb0ES3_S5_N6thrust23THRUST_200600_302600_NS6detail15normal_iteratorINS8_7pointerIsNS8_11hip_rocprim3tagENS8_11use_defaultESE_EEEENSA_INSB_IlSD_SE_SE_EEEEZNS1_13binary_searchIS3_S5_NSA_INS8_10device_ptrIsEEEESG_SI_NS1_21upper_bound_search_opENS9_16wrapped_functionINS8_7greaterIsEEbEEEE10hipError_tPvRmT1_T2_T3_mmT4_T5_P12ihipStream_tbEUlRKsE_EESS_SW_SX_mSY_S11_bEUlT_E_NS1_11comp_targetILNS1_3genE2ELNS1_11target_archE906ELNS1_3gpuE6ELNS1_3repE0EEENS1_30default_config_static_selectorELNS0_4arch9wavefront6targetE0EEEvSV_.has_indirect_call, 0
	.section	.AMDGPU.csdata,"",@progbits
; Kernel info:
; codeLenInByte = 0
; TotalNumSgprs: 0
; NumVgprs: 0
; ScratchSize: 0
; MemoryBound: 0
; FloatMode: 240
; IeeeMode: 1
; LDSByteSize: 0 bytes/workgroup (compile time only)
; SGPRBlocks: 0
; VGPRBlocks: 0
; NumSGPRsForWavesPerEU: 1
; NumVGPRsForWavesPerEU: 1
; NamedBarCnt: 0
; Occupancy: 16
; WaveLimiterHint : 0
; COMPUTE_PGM_RSRC2:SCRATCH_EN: 0
; COMPUTE_PGM_RSRC2:USER_SGPR: 2
; COMPUTE_PGM_RSRC2:TRAP_HANDLER: 0
; COMPUTE_PGM_RSRC2:TGID_X_EN: 1
; COMPUTE_PGM_RSRC2:TGID_Y_EN: 0
; COMPUTE_PGM_RSRC2:TGID_Z_EN: 0
; COMPUTE_PGM_RSRC2:TIDIG_COMP_CNT: 0
	.section	.text._ZN7rocprim17ROCPRIM_400000_NS6detail17trampoline_kernelINS0_14default_configENS1_27upper_bound_config_selectorIslEEZNS1_14transform_implILb0ES3_S5_N6thrust23THRUST_200600_302600_NS6detail15normal_iteratorINS8_7pointerIsNS8_11hip_rocprim3tagENS8_11use_defaultESE_EEEENSA_INSB_IlSD_SE_SE_EEEEZNS1_13binary_searchIS3_S5_NSA_INS8_10device_ptrIsEEEESG_SI_NS1_21upper_bound_search_opENS9_16wrapped_functionINS8_7greaterIsEEbEEEE10hipError_tPvRmT1_T2_T3_mmT4_T5_P12ihipStream_tbEUlRKsE_EESS_SW_SX_mSY_S11_bEUlT_E_NS1_11comp_targetILNS1_3genE10ELNS1_11target_archE1201ELNS1_3gpuE5ELNS1_3repE0EEENS1_30default_config_static_selectorELNS0_4arch9wavefront6targetE0EEEvSV_,"axG",@progbits,_ZN7rocprim17ROCPRIM_400000_NS6detail17trampoline_kernelINS0_14default_configENS1_27upper_bound_config_selectorIslEEZNS1_14transform_implILb0ES3_S5_N6thrust23THRUST_200600_302600_NS6detail15normal_iteratorINS8_7pointerIsNS8_11hip_rocprim3tagENS8_11use_defaultESE_EEEENSA_INSB_IlSD_SE_SE_EEEEZNS1_13binary_searchIS3_S5_NSA_INS8_10device_ptrIsEEEESG_SI_NS1_21upper_bound_search_opENS9_16wrapped_functionINS8_7greaterIsEEbEEEE10hipError_tPvRmT1_T2_T3_mmT4_T5_P12ihipStream_tbEUlRKsE_EESS_SW_SX_mSY_S11_bEUlT_E_NS1_11comp_targetILNS1_3genE10ELNS1_11target_archE1201ELNS1_3gpuE5ELNS1_3repE0EEENS1_30default_config_static_selectorELNS0_4arch9wavefront6targetE0EEEvSV_,comdat
	.protected	_ZN7rocprim17ROCPRIM_400000_NS6detail17trampoline_kernelINS0_14default_configENS1_27upper_bound_config_selectorIslEEZNS1_14transform_implILb0ES3_S5_N6thrust23THRUST_200600_302600_NS6detail15normal_iteratorINS8_7pointerIsNS8_11hip_rocprim3tagENS8_11use_defaultESE_EEEENSA_INSB_IlSD_SE_SE_EEEEZNS1_13binary_searchIS3_S5_NSA_INS8_10device_ptrIsEEEESG_SI_NS1_21upper_bound_search_opENS9_16wrapped_functionINS8_7greaterIsEEbEEEE10hipError_tPvRmT1_T2_T3_mmT4_T5_P12ihipStream_tbEUlRKsE_EESS_SW_SX_mSY_S11_bEUlT_E_NS1_11comp_targetILNS1_3genE10ELNS1_11target_archE1201ELNS1_3gpuE5ELNS1_3repE0EEENS1_30default_config_static_selectorELNS0_4arch9wavefront6targetE0EEEvSV_ ; -- Begin function _ZN7rocprim17ROCPRIM_400000_NS6detail17trampoline_kernelINS0_14default_configENS1_27upper_bound_config_selectorIslEEZNS1_14transform_implILb0ES3_S5_N6thrust23THRUST_200600_302600_NS6detail15normal_iteratorINS8_7pointerIsNS8_11hip_rocprim3tagENS8_11use_defaultESE_EEEENSA_INSB_IlSD_SE_SE_EEEEZNS1_13binary_searchIS3_S5_NSA_INS8_10device_ptrIsEEEESG_SI_NS1_21upper_bound_search_opENS9_16wrapped_functionINS8_7greaterIsEEbEEEE10hipError_tPvRmT1_T2_T3_mmT4_T5_P12ihipStream_tbEUlRKsE_EESS_SW_SX_mSY_S11_bEUlT_E_NS1_11comp_targetILNS1_3genE10ELNS1_11target_archE1201ELNS1_3gpuE5ELNS1_3repE0EEENS1_30default_config_static_selectorELNS0_4arch9wavefront6targetE0EEEvSV_
	.globl	_ZN7rocprim17ROCPRIM_400000_NS6detail17trampoline_kernelINS0_14default_configENS1_27upper_bound_config_selectorIslEEZNS1_14transform_implILb0ES3_S5_N6thrust23THRUST_200600_302600_NS6detail15normal_iteratorINS8_7pointerIsNS8_11hip_rocprim3tagENS8_11use_defaultESE_EEEENSA_INSB_IlSD_SE_SE_EEEEZNS1_13binary_searchIS3_S5_NSA_INS8_10device_ptrIsEEEESG_SI_NS1_21upper_bound_search_opENS9_16wrapped_functionINS8_7greaterIsEEbEEEE10hipError_tPvRmT1_T2_T3_mmT4_T5_P12ihipStream_tbEUlRKsE_EESS_SW_SX_mSY_S11_bEUlT_E_NS1_11comp_targetILNS1_3genE10ELNS1_11target_archE1201ELNS1_3gpuE5ELNS1_3repE0EEENS1_30default_config_static_selectorELNS0_4arch9wavefront6targetE0EEEvSV_
	.p2align	8
	.type	_ZN7rocprim17ROCPRIM_400000_NS6detail17trampoline_kernelINS0_14default_configENS1_27upper_bound_config_selectorIslEEZNS1_14transform_implILb0ES3_S5_N6thrust23THRUST_200600_302600_NS6detail15normal_iteratorINS8_7pointerIsNS8_11hip_rocprim3tagENS8_11use_defaultESE_EEEENSA_INSB_IlSD_SE_SE_EEEEZNS1_13binary_searchIS3_S5_NSA_INS8_10device_ptrIsEEEESG_SI_NS1_21upper_bound_search_opENS9_16wrapped_functionINS8_7greaterIsEEbEEEE10hipError_tPvRmT1_T2_T3_mmT4_T5_P12ihipStream_tbEUlRKsE_EESS_SW_SX_mSY_S11_bEUlT_E_NS1_11comp_targetILNS1_3genE10ELNS1_11target_archE1201ELNS1_3gpuE5ELNS1_3repE0EEENS1_30default_config_static_selectorELNS0_4arch9wavefront6targetE0EEEvSV_,@function
_ZN7rocprim17ROCPRIM_400000_NS6detail17trampoline_kernelINS0_14default_configENS1_27upper_bound_config_selectorIslEEZNS1_14transform_implILb0ES3_S5_N6thrust23THRUST_200600_302600_NS6detail15normal_iteratorINS8_7pointerIsNS8_11hip_rocprim3tagENS8_11use_defaultESE_EEEENSA_INSB_IlSD_SE_SE_EEEEZNS1_13binary_searchIS3_S5_NSA_INS8_10device_ptrIsEEEESG_SI_NS1_21upper_bound_search_opENS9_16wrapped_functionINS8_7greaterIsEEbEEEE10hipError_tPvRmT1_T2_T3_mmT4_T5_P12ihipStream_tbEUlRKsE_EESS_SW_SX_mSY_S11_bEUlT_E_NS1_11comp_targetILNS1_3genE10ELNS1_11target_archE1201ELNS1_3gpuE5ELNS1_3repE0EEENS1_30default_config_static_selectorELNS0_4arch9wavefront6targetE0EEEvSV_: ; @_ZN7rocprim17ROCPRIM_400000_NS6detail17trampoline_kernelINS0_14default_configENS1_27upper_bound_config_selectorIslEEZNS1_14transform_implILb0ES3_S5_N6thrust23THRUST_200600_302600_NS6detail15normal_iteratorINS8_7pointerIsNS8_11hip_rocprim3tagENS8_11use_defaultESE_EEEENSA_INSB_IlSD_SE_SE_EEEEZNS1_13binary_searchIS3_S5_NSA_INS8_10device_ptrIsEEEESG_SI_NS1_21upper_bound_search_opENS9_16wrapped_functionINS8_7greaterIsEEbEEEE10hipError_tPvRmT1_T2_T3_mmT4_T5_P12ihipStream_tbEUlRKsE_EESS_SW_SX_mSY_S11_bEUlT_E_NS1_11comp_targetILNS1_3genE10ELNS1_11target_archE1201ELNS1_3gpuE5ELNS1_3repE0EEENS1_30default_config_static_selectorELNS0_4arch9wavefront6targetE0EEEvSV_
; %bb.0:
	.section	.rodata,"a",@progbits
	.p2align	6, 0x0
	.amdhsa_kernel _ZN7rocprim17ROCPRIM_400000_NS6detail17trampoline_kernelINS0_14default_configENS1_27upper_bound_config_selectorIslEEZNS1_14transform_implILb0ES3_S5_N6thrust23THRUST_200600_302600_NS6detail15normal_iteratorINS8_7pointerIsNS8_11hip_rocprim3tagENS8_11use_defaultESE_EEEENSA_INSB_IlSD_SE_SE_EEEEZNS1_13binary_searchIS3_S5_NSA_INS8_10device_ptrIsEEEESG_SI_NS1_21upper_bound_search_opENS9_16wrapped_functionINS8_7greaterIsEEbEEEE10hipError_tPvRmT1_T2_T3_mmT4_T5_P12ihipStream_tbEUlRKsE_EESS_SW_SX_mSY_S11_bEUlT_E_NS1_11comp_targetILNS1_3genE10ELNS1_11target_archE1201ELNS1_3gpuE5ELNS1_3repE0EEENS1_30default_config_static_selectorELNS0_4arch9wavefront6targetE0EEEvSV_
		.amdhsa_group_segment_fixed_size 0
		.amdhsa_private_segment_fixed_size 0
		.amdhsa_kernarg_size 56
		.amdhsa_user_sgpr_count 2
		.amdhsa_user_sgpr_dispatch_ptr 0
		.amdhsa_user_sgpr_queue_ptr 0
		.amdhsa_user_sgpr_kernarg_segment_ptr 1
		.amdhsa_user_sgpr_dispatch_id 0
		.amdhsa_user_sgpr_kernarg_preload_length 0
		.amdhsa_user_sgpr_kernarg_preload_offset 0
		.amdhsa_user_sgpr_private_segment_size 0
		.amdhsa_wavefront_size32 1
		.amdhsa_uses_dynamic_stack 0
		.amdhsa_enable_private_segment 0
		.amdhsa_system_sgpr_workgroup_id_x 1
		.amdhsa_system_sgpr_workgroup_id_y 0
		.amdhsa_system_sgpr_workgroup_id_z 0
		.amdhsa_system_sgpr_workgroup_info 0
		.amdhsa_system_vgpr_workitem_id 0
		.amdhsa_next_free_vgpr 1
		.amdhsa_next_free_sgpr 1
		.amdhsa_named_barrier_count 0
		.amdhsa_reserve_vcc 0
		.amdhsa_float_round_mode_32 0
		.amdhsa_float_round_mode_16_64 0
		.amdhsa_float_denorm_mode_32 3
		.amdhsa_float_denorm_mode_16_64 3
		.amdhsa_fp16_overflow 0
		.amdhsa_memory_ordered 1
		.amdhsa_forward_progress 1
		.amdhsa_inst_pref_size 0
		.amdhsa_round_robin_scheduling 0
		.amdhsa_exception_fp_ieee_invalid_op 0
		.amdhsa_exception_fp_denorm_src 0
		.amdhsa_exception_fp_ieee_div_zero 0
		.amdhsa_exception_fp_ieee_overflow 0
		.amdhsa_exception_fp_ieee_underflow 0
		.amdhsa_exception_fp_ieee_inexact 0
		.amdhsa_exception_int_div_zero 0
	.end_amdhsa_kernel
	.section	.text._ZN7rocprim17ROCPRIM_400000_NS6detail17trampoline_kernelINS0_14default_configENS1_27upper_bound_config_selectorIslEEZNS1_14transform_implILb0ES3_S5_N6thrust23THRUST_200600_302600_NS6detail15normal_iteratorINS8_7pointerIsNS8_11hip_rocprim3tagENS8_11use_defaultESE_EEEENSA_INSB_IlSD_SE_SE_EEEEZNS1_13binary_searchIS3_S5_NSA_INS8_10device_ptrIsEEEESG_SI_NS1_21upper_bound_search_opENS9_16wrapped_functionINS8_7greaterIsEEbEEEE10hipError_tPvRmT1_T2_T3_mmT4_T5_P12ihipStream_tbEUlRKsE_EESS_SW_SX_mSY_S11_bEUlT_E_NS1_11comp_targetILNS1_3genE10ELNS1_11target_archE1201ELNS1_3gpuE5ELNS1_3repE0EEENS1_30default_config_static_selectorELNS0_4arch9wavefront6targetE0EEEvSV_,"axG",@progbits,_ZN7rocprim17ROCPRIM_400000_NS6detail17trampoline_kernelINS0_14default_configENS1_27upper_bound_config_selectorIslEEZNS1_14transform_implILb0ES3_S5_N6thrust23THRUST_200600_302600_NS6detail15normal_iteratorINS8_7pointerIsNS8_11hip_rocprim3tagENS8_11use_defaultESE_EEEENSA_INSB_IlSD_SE_SE_EEEEZNS1_13binary_searchIS3_S5_NSA_INS8_10device_ptrIsEEEESG_SI_NS1_21upper_bound_search_opENS9_16wrapped_functionINS8_7greaterIsEEbEEEE10hipError_tPvRmT1_T2_T3_mmT4_T5_P12ihipStream_tbEUlRKsE_EESS_SW_SX_mSY_S11_bEUlT_E_NS1_11comp_targetILNS1_3genE10ELNS1_11target_archE1201ELNS1_3gpuE5ELNS1_3repE0EEENS1_30default_config_static_selectorELNS0_4arch9wavefront6targetE0EEEvSV_,comdat
.Lfunc_end91:
	.size	_ZN7rocprim17ROCPRIM_400000_NS6detail17trampoline_kernelINS0_14default_configENS1_27upper_bound_config_selectorIslEEZNS1_14transform_implILb0ES3_S5_N6thrust23THRUST_200600_302600_NS6detail15normal_iteratorINS8_7pointerIsNS8_11hip_rocprim3tagENS8_11use_defaultESE_EEEENSA_INSB_IlSD_SE_SE_EEEEZNS1_13binary_searchIS3_S5_NSA_INS8_10device_ptrIsEEEESG_SI_NS1_21upper_bound_search_opENS9_16wrapped_functionINS8_7greaterIsEEbEEEE10hipError_tPvRmT1_T2_T3_mmT4_T5_P12ihipStream_tbEUlRKsE_EESS_SW_SX_mSY_S11_bEUlT_E_NS1_11comp_targetILNS1_3genE10ELNS1_11target_archE1201ELNS1_3gpuE5ELNS1_3repE0EEENS1_30default_config_static_selectorELNS0_4arch9wavefront6targetE0EEEvSV_, .Lfunc_end91-_ZN7rocprim17ROCPRIM_400000_NS6detail17trampoline_kernelINS0_14default_configENS1_27upper_bound_config_selectorIslEEZNS1_14transform_implILb0ES3_S5_N6thrust23THRUST_200600_302600_NS6detail15normal_iteratorINS8_7pointerIsNS8_11hip_rocprim3tagENS8_11use_defaultESE_EEEENSA_INSB_IlSD_SE_SE_EEEEZNS1_13binary_searchIS3_S5_NSA_INS8_10device_ptrIsEEEESG_SI_NS1_21upper_bound_search_opENS9_16wrapped_functionINS8_7greaterIsEEbEEEE10hipError_tPvRmT1_T2_T3_mmT4_T5_P12ihipStream_tbEUlRKsE_EESS_SW_SX_mSY_S11_bEUlT_E_NS1_11comp_targetILNS1_3genE10ELNS1_11target_archE1201ELNS1_3gpuE5ELNS1_3repE0EEENS1_30default_config_static_selectorELNS0_4arch9wavefront6targetE0EEEvSV_
                                        ; -- End function
	.set _ZN7rocprim17ROCPRIM_400000_NS6detail17trampoline_kernelINS0_14default_configENS1_27upper_bound_config_selectorIslEEZNS1_14transform_implILb0ES3_S5_N6thrust23THRUST_200600_302600_NS6detail15normal_iteratorINS8_7pointerIsNS8_11hip_rocprim3tagENS8_11use_defaultESE_EEEENSA_INSB_IlSD_SE_SE_EEEEZNS1_13binary_searchIS3_S5_NSA_INS8_10device_ptrIsEEEESG_SI_NS1_21upper_bound_search_opENS9_16wrapped_functionINS8_7greaterIsEEbEEEE10hipError_tPvRmT1_T2_T3_mmT4_T5_P12ihipStream_tbEUlRKsE_EESS_SW_SX_mSY_S11_bEUlT_E_NS1_11comp_targetILNS1_3genE10ELNS1_11target_archE1201ELNS1_3gpuE5ELNS1_3repE0EEENS1_30default_config_static_selectorELNS0_4arch9wavefront6targetE0EEEvSV_.num_vgpr, 0
	.set _ZN7rocprim17ROCPRIM_400000_NS6detail17trampoline_kernelINS0_14default_configENS1_27upper_bound_config_selectorIslEEZNS1_14transform_implILb0ES3_S5_N6thrust23THRUST_200600_302600_NS6detail15normal_iteratorINS8_7pointerIsNS8_11hip_rocprim3tagENS8_11use_defaultESE_EEEENSA_INSB_IlSD_SE_SE_EEEEZNS1_13binary_searchIS3_S5_NSA_INS8_10device_ptrIsEEEESG_SI_NS1_21upper_bound_search_opENS9_16wrapped_functionINS8_7greaterIsEEbEEEE10hipError_tPvRmT1_T2_T3_mmT4_T5_P12ihipStream_tbEUlRKsE_EESS_SW_SX_mSY_S11_bEUlT_E_NS1_11comp_targetILNS1_3genE10ELNS1_11target_archE1201ELNS1_3gpuE5ELNS1_3repE0EEENS1_30default_config_static_selectorELNS0_4arch9wavefront6targetE0EEEvSV_.num_agpr, 0
	.set _ZN7rocprim17ROCPRIM_400000_NS6detail17trampoline_kernelINS0_14default_configENS1_27upper_bound_config_selectorIslEEZNS1_14transform_implILb0ES3_S5_N6thrust23THRUST_200600_302600_NS6detail15normal_iteratorINS8_7pointerIsNS8_11hip_rocprim3tagENS8_11use_defaultESE_EEEENSA_INSB_IlSD_SE_SE_EEEEZNS1_13binary_searchIS3_S5_NSA_INS8_10device_ptrIsEEEESG_SI_NS1_21upper_bound_search_opENS9_16wrapped_functionINS8_7greaterIsEEbEEEE10hipError_tPvRmT1_T2_T3_mmT4_T5_P12ihipStream_tbEUlRKsE_EESS_SW_SX_mSY_S11_bEUlT_E_NS1_11comp_targetILNS1_3genE10ELNS1_11target_archE1201ELNS1_3gpuE5ELNS1_3repE0EEENS1_30default_config_static_selectorELNS0_4arch9wavefront6targetE0EEEvSV_.numbered_sgpr, 0
	.set _ZN7rocprim17ROCPRIM_400000_NS6detail17trampoline_kernelINS0_14default_configENS1_27upper_bound_config_selectorIslEEZNS1_14transform_implILb0ES3_S5_N6thrust23THRUST_200600_302600_NS6detail15normal_iteratorINS8_7pointerIsNS8_11hip_rocprim3tagENS8_11use_defaultESE_EEEENSA_INSB_IlSD_SE_SE_EEEEZNS1_13binary_searchIS3_S5_NSA_INS8_10device_ptrIsEEEESG_SI_NS1_21upper_bound_search_opENS9_16wrapped_functionINS8_7greaterIsEEbEEEE10hipError_tPvRmT1_T2_T3_mmT4_T5_P12ihipStream_tbEUlRKsE_EESS_SW_SX_mSY_S11_bEUlT_E_NS1_11comp_targetILNS1_3genE10ELNS1_11target_archE1201ELNS1_3gpuE5ELNS1_3repE0EEENS1_30default_config_static_selectorELNS0_4arch9wavefront6targetE0EEEvSV_.num_named_barrier, 0
	.set _ZN7rocprim17ROCPRIM_400000_NS6detail17trampoline_kernelINS0_14default_configENS1_27upper_bound_config_selectorIslEEZNS1_14transform_implILb0ES3_S5_N6thrust23THRUST_200600_302600_NS6detail15normal_iteratorINS8_7pointerIsNS8_11hip_rocprim3tagENS8_11use_defaultESE_EEEENSA_INSB_IlSD_SE_SE_EEEEZNS1_13binary_searchIS3_S5_NSA_INS8_10device_ptrIsEEEESG_SI_NS1_21upper_bound_search_opENS9_16wrapped_functionINS8_7greaterIsEEbEEEE10hipError_tPvRmT1_T2_T3_mmT4_T5_P12ihipStream_tbEUlRKsE_EESS_SW_SX_mSY_S11_bEUlT_E_NS1_11comp_targetILNS1_3genE10ELNS1_11target_archE1201ELNS1_3gpuE5ELNS1_3repE0EEENS1_30default_config_static_selectorELNS0_4arch9wavefront6targetE0EEEvSV_.private_seg_size, 0
	.set _ZN7rocprim17ROCPRIM_400000_NS6detail17trampoline_kernelINS0_14default_configENS1_27upper_bound_config_selectorIslEEZNS1_14transform_implILb0ES3_S5_N6thrust23THRUST_200600_302600_NS6detail15normal_iteratorINS8_7pointerIsNS8_11hip_rocprim3tagENS8_11use_defaultESE_EEEENSA_INSB_IlSD_SE_SE_EEEEZNS1_13binary_searchIS3_S5_NSA_INS8_10device_ptrIsEEEESG_SI_NS1_21upper_bound_search_opENS9_16wrapped_functionINS8_7greaterIsEEbEEEE10hipError_tPvRmT1_T2_T3_mmT4_T5_P12ihipStream_tbEUlRKsE_EESS_SW_SX_mSY_S11_bEUlT_E_NS1_11comp_targetILNS1_3genE10ELNS1_11target_archE1201ELNS1_3gpuE5ELNS1_3repE0EEENS1_30default_config_static_selectorELNS0_4arch9wavefront6targetE0EEEvSV_.uses_vcc, 0
	.set _ZN7rocprim17ROCPRIM_400000_NS6detail17trampoline_kernelINS0_14default_configENS1_27upper_bound_config_selectorIslEEZNS1_14transform_implILb0ES3_S5_N6thrust23THRUST_200600_302600_NS6detail15normal_iteratorINS8_7pointerIsNS8_11hip_rocprim3tagENS8_11use_defaultESE_EEEENSA_INSB_IlSD_SE_SE_EEEEZNS1_13binary_searchIS3_S5_NSA_INS8_10device_ptrIsEEEESG_SI_NS1_21upper_bound_search_opENS9_16wrapped_functionINS8_7greaterIsEEbEEEE10hipError_tPvRmT1_T2_T3_mmT4_T5_P12ihipStream_tbEUlRKsE_EESS_SW_SX_mSY_S11_bEUlT_E_NS1_11comp_targetILNS1_3genE10ELNS1_11target_archE1201ELNS1_3gpuE5ELNS1_3repE0EEENS1_30default_config_static_selectorELNS0_4arch9wavefront6targetE0EEEvSV_.uses_flat_scratch, 0
	.set _ZN7rocprim17ROCPRIM_400000_NS6detail17trampoline_kernelINS0_14default_configENS1_27upper_bound_config_selectorIslEEZNS1_14transform_implILb0ES3_S5_N6thrust23THRUST_200600_302600_NS6detail15normal_iteratorINS8_7pointerIsNS8_11hip_rocprim3tagENS8_11use_defaultESE_EEEENSA_INSB_IlSD_SE_SE_EEEEZNS1_13binary_searchIS3_S5_NSA_INS8_10device_ptrIsEEEESG_SI_NS1_21upper_bound_search_opENS9_16wrapped_functionINS8_7greaterIsEEbEEEE10hipError_tPvRmT1_T2_T3_mmT4_T5_P12ihipStream_tbEUlRKsE_EESS_SW_SX_mSY_S11_bEUlT_E_NS1_11comp_targetILNS1_3genE10ELNS1_11target_archE1201ELNS1_3gpuE5ELNS1_3repE0EEENS1_30default_config_static_selectorELNS0_4arch9wavefront6targetE0EEEvSV_.has_dyn_sized_stack, 0
	.set _ZN7rocprim17ROCPRIM_400000_NS6detail17trampoline_kernelINS0_14default_configENS1_27upper_bound_config_selectorIslEEZNS1_14transform_implILb0ES3_S5_N6thrust23THRUST_200600_302600_NS6detail15normal_iteratorINS8_7pointerIsNS8_11hip_rocprim3tagENS8_11use_defaultESE_EEEENSA_INSB_IlSD_SE_SE_EEEEZNS1_13binary_searchIS3_S5_NSA_INS8_10device_ptrIsEEEESG_SI_NS1_21upper_bound_search_opENS9_16wrapped_functionINS8_7greaterIsEEbEEEE10hipError_tPvRmT1_T2_T3_mmT4_T5_P12ihipStream_tbEUlRKsE_EESS_SW_SX_mSY_S11_bEUlT_E_NS1_11comp_targetILNS1_3genE10ELNS1_11target_archE1201ELNS1_3gpuE5ELNS1_3repE0EEENS1_30default_config_static_selectorELNS0_4arch9wavefront6targetE0EEEvSV_.has_recursion, 0
	.set _ZN7rocprim17ROCPRIM_400000_NS6detail17trampoline_kernelINS0_14default_configENS1_27upper_bound_config_selectorIslEEZNS1_14transform_implILb0ES3_S5_N6thrust23THRUST_200600_302600_NS6detail15normal_iteratorINS8_7pointerIsNS8_11hip_rocprim3tagENS8_11use_defaultESE_EEEENSA_INSB_IlSD_SE_SE_EEEEZNS1_13binary_searchIS3_S5_NSA_INS8_10device_ptrIsEEEESG_SI_NS1_21upper_bound_search_opENS9_16wrapped_functionINS8_7greaterIsEEbEEEE10hipError_tPvRmT1_T2_T3_mmT4_T5_P12ihipStream_tbEUlRKsE_EESS_SW_SX_mSY_S11_bEUlT_E_NS1_11comp_targetILNS1_3genE10ELNS1_11target_archE1201ELNS1_3gpuE5ELNS1_3repE0EEENS1_30default_config_static_selectorELNS0_4arch9wavefront6targetE0EEEvSV_.has_indirect_call, 0
	.section	.AMDGPU.csdata,"",@progbits
; Kernel info:
; codeLenInByte = 0
; TotalNumSgprs: 0
; NumVgprs: 0
; ScratchSize: 0
; MemoryBound: 0
; FloatMode: 240
; IeeeMode: 1
; LDSByteSize: 0 bytes/workgroup (compile time only)
; SGPRBlocks: 0
; VGPRBlocks: 0
; NumSGPRsForWavesPerEU: 1
; NumVGPRsForWavesPerEU: 1
; NamedBarCnt: 0
; Occupancy: 16
; WaveLimiterHint : 0
; COMPUTE_PGM_RSRC2:SCRATCH_EN: 0
; COMPUTE_PGM_RSRC2:USER_SGPR: 2
; COMPUTE_PGM_RSRC2:TRAP_HANDLER: 0
; COMPUTE_PGM_RSRC2:TGID_X_EN: 1
; COMPUTE_PGM_RSRC2:TGID_Y_EN: 0
; COMPUTE_PGM_RSRC2:TGID_Z_EN: 0
; COMPUTE_PGM_RSRC2:TIDIG_COMP_CNT: 0
	.section	.text._ZN7rocprim17ROCPRIM_400000_NS6detail17trampoline_kernelINS0_14default_configENS1_27upper_bound_config_selectorIslEEZNS1_14transform_implILb0ES3_S5_N6thrust23THRUST_200600_302600_NS6detail15normal_iteratorINS8_7pointerIsNS8_11hip_rocprim3tagENS8_11use_defaultESE_EEEENSA_INSB_IlSD_SE_SE_EEEEZNS1_13binary_searchIS3_S5_NSA_INS8_10device_ptrIsEEEESG_SI_NS1_21upper_bound_search_opENS9_16wrapped_functionINS8_7greaterIsEEbEEEE10hipError_tPvRmT1_T2_T3_mmT4_T5_P12ihipStream_tbEUlRKsE_EESS_SW_SX_mSY_S11_bEUlT_E_NS1_11comp_targetILNS1_3genE10ELNS1_11target_archE1200ELNS1_3gpuE4ELNS1_3repE0EEENS1_30default_config_static_selectorELNS0_4arch9wavefront6targetE0EEEvSV_,"axG",@progbits,_ZN7rocprim17ROCPRIM_400000_NS6detail17trampoline_kernelINS0_14default_configENS1_27upper_bound_config_selectorIslEEZNS1_14transform_implILb0ES3_S5_N6thrust23THRUST_200600_302600_NS6detail15normal_iteratorINS8_7pointerIsNS8_11hip_rocprim3tagENS8_11use_defaultESE_EEEENSA_INSB_IlSD_SE_SE_EEEEZNS1_13binary_searchIS3_S5_NSA_INS8_10device_ptrIsEEEESG_SI_NS1_21upper_bound_search_opENS9_16wrapped_functionINS8_7greaterIsEEbEEEE10hipError_tPvRmT1_T2_T3_mmT4_T5_P12ihipStream_tbEUlRKsE_EESS_SW_SX_mSY_S11_bEUlT_E_NS1_11comp_targetILNS1_3genE10ELNS1_11target_archE1200ELNS1_3gpuE4ELNS1_3repE0EEENS1_30default_config_static_selectorELNS0_4arch9wavefront6targetE0EEEvSV_,comdat
	.protected	_ZN7rocprim17ROCPRIM_400000_NS6detail17trampoline_kernelINS0_14default_configENS1_27upper_bound_config_selectorIslEEZNS1_14transform_implILb0ES3_S5_N6thrust23THRUST_200600_302600_NS6detail15normal_iteratorINS8_7pointerIsNS8_11hip_rocprim3tagENS8_11use_defaultESE_EEEENSA_INSB_IlSD_SE_SE_EEEEZNS1_13binary_searchIS3_S5_NSA_INS8_10device_ptrIsEEEESG_SI_NS1_21upper_bound_search_opENS9_16wrapped_functionINS8_7greaterIsEEbEEEE10hipError_tPvRmT1_T2_T3_mmT4_T5_P12ihipStream_tbEUlRKsE_EESS_SW_SX_mSY_S11_bEUlT_E_NS1_11comp_targetILNS1_3genE10ELNS1_11target_archE1200ELNS1_3gpuE4ELNS1_3repE0EEENS1_30default_config_static_selectorELNS0_4arch9wavefront6targetE0EEEvSV_ ; -- Begin function _ZN7rocprim17ROCPRIM_400000_NS6detail17trampoline_kernelINS0_14default_configENS1_27upper_bound_config_selectorIslEEZNS1_14transform_implILb0ES3_S5_N6thrust23THRUST_200600_302600_NS6detail15normal_iteratorINS8_7pointerIsNS8_11hip_rocprim3tagENS8_11use_defaultESE_EEEENSA_INSB_IlSD_SE_SE_EEEEZNS1_13binary_searchIS3_S5_NSA_INS8_10device_ptrIsEEEESG_SI_NS1_21upper_bound_search_opENS9_16wrapped_functionINS8_7greaterIsEEbEEEE10hipError_tPvRmT1_T2_T3_mmT4_T5_P12ihipStream_tbEUlRKsE_EESS_SW_SX_mSY_S11_bEUlT_E_NS1_11comp_targetILNS1_3genE10ELNS1_11target_archE1200ELNS1_3gpuE4ELNS1_3repE0EEENS1_30default_config_static_selectorELNS0_4arch9wavefront6targetE0EEEvSV_
	.globl	_ZN7rocprim17ROCPRIM_400000_NS6detail17trampoline_kernelINS0_14default_configENS1_27upper_bound_config_selectorIslEEZNS1_14transform_implILb0ES3_S5_N6thrust23THRUST_200600_302600_NS6detail15normal_iteratorINS8_7pointerIsNS8_11hip_rocprim3tagENS8_11use_defaultESE_EEEENSA_INSB_IlSD_SE_SE_EEEEZNS1_13binary_searchIS3_S5_NSA_INS8_10device_ptrIsEEEESG_SI_NS1_21upper_bound_search_opENS9_16wrapped_functionINS8_7greaterIsEEbEEEE10hipError_tPvRmT1_T2_T3_mmT4_T5_P12ihipStream_tbEUlRKsE_EESS_SW_SX_mSY_S11_bEUlT_E_NS1_11comp_targetILNS1_3genE10ELNS1_11target_archE1200ELNS1_3gpuE4ELNS1_3repE0EEENS1_30default_config_static_selectorELNS0_4arch9wavefront6targetE0EEEvSV_
	.p2align	8
	.type	_ZN7rocprim17ROCPRIM_400000_NS6detail17trampoline_kernelINS0_14default_configENS1_27upper_bound_config_selectorIslEEZNS1_14transform_implILb0ES3_S5_N6thrust23THRUST_200600_302600_NS6detail15normal_iteratorINS8_7pointerIsNS8_11hip_rocprim3tagENS8_11use_defaultESE_EEEENSA_INSB_IlSD_SE_SE_EEEEZNS1_13binary_searchIS3_S5_NSA_INS8_10device_ptrIsEEEESG_SI_NS1_21upper_bound_search_opENS9_16wrapped_functionINS8_7greaterIsEEbEEEE10hipError_tPvRmT1_T2_T3_mmT4_T5_P12ihipStream_tbEUlRKsE_EESS_SW_SX_mSY_S11_bEUlT_E_NS1_11comp_targetILNS1_3genE10ELNS1_11target_archE1200ELNS1_3gpuE4ELNS1_3repE0EEENS1_30default_config_static_selectorELNS0_4arch9wavefront6targetE0EEEvSV_,@function
_ZN7rocprim17ROCPRIM_400000_NS6detail17trampoline_kernelINS0_14default_configENS1_27upper_bound_config_selectorIslEEZNS1_14transform_implILb0ES3_S5_N6thrust23THRUST_200600_302600_NS6detail15normal_iteratorINS8_7pointerIsNS8_11hip_rocprim3tagENS8_11use_defaultESE_EEEENSA_INSB_IlSD_SE_SE_EEEEZNS1_13binary_searchIS3_S5_NSA_INS8_10device_ptrIsEEEESG_SI_NS1_21upper_bound_search_opENS9_16wrapped_functionINS8_7greaterIsEEbEEEE10hipError_tPvRmT1_T2_T3_mmT4_T5_P12ihipStream_tbEUlRKsE_EESS_SW_SX_mSY_S11_bEUlT_E_NS1_11comp_targetILNS1_3genE10ELNS1_11target_archE1200ELNS1_3gpuE4ELNS1_3repE0EEENS1_30default_config_static_selectorELNS0_4arch9wavefront6targetE0EEEvSV_: ; @_ZN7rocprim17ROCPRIM_400000_NS6detail17trampoline_kernelINS0_14default_configENS1_27upper_bound_config_selectorIslEEZNS1_14transform_implILb0ES3_S5_N6thrust23THRUST_200600_302600_NS6detail15normal_iteratorINS8_7pointerIsNS8_11hip_rocprim3tagENS8_11use_defaultESE_EEEENSA_INSB_IlSD_SE_SE_EEEEZNS1_13binary_searchIS3_S5_NSA_INS8_10device_ptrIsEEEESG_SI_NS1_21upper_bound_search_opENS9_16wrapped_functionINS8_7greaterIsEEbEEEE10hipError_tPvRmT1_T2_T3_mmT4_T5_P12ihipStream_tbEUlRKsE_EESS_SW_SX_mSY_S11_bEUlT_E_NS1_11comp_targetILNS1_3genE10ELNS1_11target_archE1200ELNS1_3gpuE4ELNS1_3repE0EEENS1_30default_config_static_selectorELNS0_4arch9wavefront6targetE0EEEvSV_
; %bb.0:
	.section	.rodata,"a",@progbits
	.p2align	6, 0x0
	.amdhsa_kernel _ZN7rocprim17ROCPRIM_400000_NS6detail17trampoline_kernelINS0_14default_configENS1_27upper_bound_config_selectorIslEEZNS1_14transform_implILb0ES3_S5_N6thrust23THRUST_200600_302600_NS6detail15normal_iteratorINS8_7pointerIsNS8_11hip_rocprim3tagENS8_11use_defaultESE_EEEENSA_INSB_IlSD_SE_SE_EEEEZNS1_13binary_searchIS3_S5_NSA_INS8_10device_ptrIsEEEESG_SI_NS1_21upper_bound_search_opENS9_16wrapped_functionINS8_7greaterIsEEbEEEE10hipError_tPvRmT1_T2_T3_mmT4_T5_P12ihipStream_tbEUlRKsE_EESS_SW_SX_mSY_S11_bEUlT_E_NS1_11comp_targetILNS1_3genE10ELNS1_11target_archE1200ELNS1_3gpuE4ELNS1_3repE0EEENS1_30default_config_static_selectorELNS0_4arch9wavefront6targetE0EEEvSV_
		.amdhsa_group_segment_fixed_size 0
		.amdhsa_private_segment_fixed_size 0
		.amdhsa_kernarg_size 56
		.amdhsa_user_sgpr_count 2
		.amdhsa_user_sgpr_dispatch_ptr 0
		.amdhsa_user_sgpr_queue_ptr 0
		.amdhsa_user_sgpr_kernarg_segment_ptr 1
		.amdhsa_user_sgpr_dispatch_id 0
		.amdhsa_user_sgpr_kernarg_preload_length 0
		.amdhsa_user_sgpr_kernarg_preload_offset 0
		.amdhsa_user_sgpr_private_segment_size 0
		.amdhsa_wavefront_size32 1
		.amdhsa_uses_dynamic_stack 0
		.amdhsa_enable_private_segment 0
		.amdhsa_system_sgpr_workgroup_id_x 1
		.amdhsa_system_sgpr_workgroup_id_y 0
		.amdhsa_system_sgpr_workgroup_id_z 0
		.amdhsa_system_sgpr_workgroup_info 0
		.amdhsa_system_vgpr_workitem_id 0
		.amdhsa_next_free_vgpr 1
		.amdhsa_next_free_sgpr 1
		.amdhsa_named_barrier_count 0
		.amdhsa_reserve_vcc 0
		.amdhsa_float_round_mode_32 0
		.amdhsa_float_round_mode_16_64 0
		.amdhsa_float_denorm_mode_32 3
		.amdhsa_float_denorm_mode_16_64 3
		.amdhsa_fp16_overflow 0
		.amdhsa_memory_ordered 1
		.amdhsa_forward_progress 1
		.amdhsa_inst_pref_size 0
		.amdhsa_round_robin_scheduling 0
		.amdhsa_exception_fp_ieee_invalid_op 0
		.amdhsa_exception_fp_denorm_src 0
		.amdhsa_exception_fp_ieee_div_zero 0
		.amdhsa_exception_fp_ieee_overflow 0
		.amdhsa_exception_fp_ieee_underflow 0
		.amdhsa_exception_fp_ieee_inexact 0
		.amdhsa_exception_int_div_zero 0
	.end_amdhsa_kernel
	.section	.text._ZN7rocprim17ROCPRIM_400000_NS6detail17trampoline_kernelINS0_14default_configENS1_27upper_bound_config_selectorIslEEZNS1_14transform_implILb0ES3_S5_N6thrust23THRUST_200600_302600_NS6detail15normal_iteratorINS8_7pointerIsNS8_11hip_rocprim3tagENS8_11use_defaultESE_EEEENSA_INSB_IlSD_SE_SE_EEEEZNS1_13binary_searchIS3_S5_NSA_INS8_10device_ptrIsEEEESG_SI_NS1_21upper_bound_search_opENS9_16wrapped_functionINS8_7greaterIsEEbEEEE10hipError_tPvRmT1_T2_T3_mmT4_T5_P12ihipStream_tbEUlRKsE_EESS_SW_SX_mSY_S11_bEUlT_E_NS1_11comp_targetILNS1_3genE10ELNS1_11target_archE1200ELNS1_3gpuE4ELNS1_3repE0EEENS1_30default_config_static_selectorELNS0_4arch9wavefront6targetE0EEEvSV_,"axG",@progbits,_ZN7rocprim17ROCPRIM_400000_NS6detail17trampoline_kernelINS0_14default_configENS1_27upper_bound_config_selectorIslEEZNS1_14transform_implILb0ES3_S5_N6thrust23THRUST_200600_302600_NS6detail15normal_iteratorINS8_7pointerIsNS8_11hip_rocprim3tagENS8_11use_defaultESE_EEEENSA_INSB_IlSD_SE_SE_EEEEZNS1_13binary_searchIS3_S5_NSA_INS8_10device_ptrIsEEEESG_SI_NS1_21upper_bound_search_opENS9_16wrapped_functionINS8_7greaterIsEEbEEEE10hipError_tPvRmT1_T2_T3_mmT4_T5_P12ihipStream_tbEUlRKsE_EESS_SW_SX_mSY_S11_bEUlT_E_NS1_11comp_targetILNS1_3genE10ELNS1_11target_archE1200ELNS1_3gpuE4ELNS1_3repE0EEENS1_30default_config_static_selectorELNS0_4arch9wavefront6targetE0EEEvSV_,comdat
.Lfunc_end92:
	.size	_ZN7rocprim17ROCPRIM_400000_NS6detail17trampoline_kernelINS0_14default_configENS1_27upper_bound_config_selectorIslEEZNS1_14transform_implILb0ES3_S5_N6thrust23THRUST_200600_302600_NS6detail15normal_iteratorINS8_7pointerIsNS8_11hip_rocprim3tagENS8_11use_defaultESE_EEEENSA_INSB_IlSD_SE_SE_EEEEZNS1_13binary_searchIS3_S5_NSA_INS8_10device_ptrIsEEEESG_SI_NS1_21upper_bound_search_opENS9_16wrapped_functionINS8_7greaterIsEEbEEEE10hipError_tPvRmT1_T2_T3_mmT4_T5_P12ihipStream_tbEUlRKsE_EESS_SW_SX_mSY_S11_bEUlT_E_NS1_11comp_targetILNS1_3genE10ELNS1_11target_archE1200ELNS1_3gpuE4ELNS1_3repE0EEENS1_30default_config_static_selectorELNS0_4arch9wavefront6targetE0EEEvSV_, .Lfunc_end92-_ZN7rocprim17ROCPRIM_400000_NS6detail17trampoline_kernelINS0_14default_configENS1_27upper_bound_config_selectorIslEEZNS1_14transform_implILb0ES3_S5_N6thrust23THRUST_200600_302600_NS6detail15normal_iteratorINS8_7pointerIsNS8_11hip_rocprim3tagENS8_11use_defaultESE_EEEENSA_INSB_IlSD_SE_SE_EEEEZNS1_13binary_searchIS3_S5_NSA_INS8_10device_ptrIsEEEESG_SI_NS1_21upper_bound_search_opENS9_16wrapped_functionINS8_7greaterIsEEbEEEE10hipError_tPvRmT1_T2_T3_mmT4_T5_P12ihipStream_tbEUlRKsE_EESS_SW_SX_mSY_S11_bEUlT_E_NS1_11comp_targetILNS1_3genE10ELNS1_11target_archE1200ELNS1_3gpuE4ELNS1_3repE0EEENS1_30default_config_static_selectorELNS0_4arch9wavefront6targetE0EEEvSV_
                                        ; -- End function
	.set _ZN7rocprim17ROCPRIM_400000_NS6detail17trampoline_kernelINS0_14default_configENS1_27upper_bound_config_selectorIslEEZNS1_14transform_implILb0ES3_S5_N6thrust23THRUST_200600_302600_NS6detail15normal_iteratorINS8_7pointerIsNS8_11hip_rocprim3tagENS8_11use_defaultESE_EEEENSA_INSB_IlSD_SE_SE_EEEEZNS1_13binary_searchIS3_S5_NSA_INS8_10device_ptrIsEEEESG_SI_NS1_21upper_bound_search_opENS9_16wrapped_functionINS8_7greaterIsEEbEEEE10hipError_tPvRmT1_T2_T3_mmT4_T5_P12ihipStream_tbEUlRKsE_EESS_SW_SX_mSY_S11_bEUlT_E_NS1_11comp_targetILNS1_3genE10ELNS1_11target_archE1200ELNS1_3gpuE4ELNS1_3repE0EEENS1_30default_config_static_selectorELNS0_4arch9wavefront6targetE0EEEvSV_.num_vgpr, 0
	.set _ZN7rocprim17ROCPRIM_400000_NS6detail17trampoline_kernelINS0_14default_configENS1_27upper_bound_config_selectorIslEEZNS1_14transform_implILb0ES3_S5_N6thrust23THRUST_200600_302600_NS6detail15normal_iteratorINS8_7pointerIsNS8_11hip_rocprim3tagENS8_11use_defaultESE_EEEENSA_INSB_IlSD_SE_SE_EEEEZNS1_13binary_searchIS3_S5_NSA_INS8_10device_ptrIsEEEESG_SI_NS1_21upper_bound_search_opENS9_16wrapped_functionINS8_7greaterIsEEbEEEE10hipError_tPvRmT1_T2_T3_mmT4_T5_P12ihipStream_tbEUlRKsE_EESS_SW_SX_mSY_S11_bEUlT_E_NS1_11comp_targetILNS1_3genE10ELNS1_11target_archE1200ELNS1_3gpuE4ELNS1_3repE0EEENS1_30default_config_static_selectorELNS0_4arch9wavefront6targetE0EEEvSV_.num_agpr, 0
	.set _ZN7rocprim17ROCPRIM_400000_NS6detail17trampoline_kernelINS0_14default_configENS1_27upper_bound_config_selectorIslEEZNS1_14transform_implILb0ES3_S5_N6thrust23THRUST_200600_302600_NS6detail15normal_iteratorINS8_7pointerIsNS8_11hip_rocprim3tagENS8_11use_defaultESE_EEEENSA_INSB_IlSD_SE_SE_EEEEZNS1_13binary_searchIS3_S5_NSA_INS8_10device_ptrIsEEEESG_SI_NS1_21upper_bound_search_opENS9_16wrapped_functionINS8_7greaterIsEEbEEEE10hipError_tPvRmT1_T2_T3_mmT4_T5_P12ihipStream_tbEUlRKsE_EESS_SW_SX_mSY_S11_bEUlT_E_NS1_11comp_targetILNS1_3genE10ELNS1_11target_archE1200ELNS1_3gpuE4ELNS1_3repE0EEENS1_30default_config_static_selectorELNS0_4arch9wavefront6targetE0EEEvSV_.numbered_sgpr, 0
	.set _ZN7rocprim17ROCPRIM_400000_NS6detail17trampoline_kernelINS0_14default_configENS1_27upper_bound_config_selectorIslEEZNS1_14transform_implILb0ES3_S5_N6thrust23THRUST_200600_302600_NS6detail15normal_iteratorINS8_7pointerIsNS8_11hip_rocprim3tagENS8_11use_defaultESE_EEEENSA_INSB_IlSD_SE_SE_EEEEZNS1_13binary_searchIS3_S5_NSA_INS8_10device_ptrIsEEEESG_SI_NS1_21upper_bound_search_opENS9_16wrapped_functionINS8_7greaterIsEEbEEEE10hipError_tPvRmT1_T2_T3_mmT4_T5_P12ihipStream_tbEUlRKsE_EESS_SW_SX_mSY_S11_bEUlT_E_NS1_11comp_targetILNS1_3genE10ELNS1_11target_archE1200ELNS1_3gpuE4ELNS1_3repE0EEENS1_30default_config_static_selectorELNS0_4arch9wavefront6targetE0EEEvSV_.num_named_barrier, 0
	.set _ZN7rocprim17ROCPRIM_400000_NS6detail17trampoline_kernelINS0_14default_configENS1_27upper_bound_config_selectorIslEEZNS1_14transform_implILb0ES3_S5_N6thrust23THRUST_200600_302600_NS6detail15normal_iteratorINS8_7pointerIsNS8_11hip_rocprim3tagENS8_11use_defaultESE_EEEENSA_INSB_IlSD_SE_SE_EEEEZNS1_13binary_searchIS3_S5_NSA_INS8_10device_ptrIsEEEESG_SI_NS1_21upper_bound_search_opENS9_16wrapped_functionINS8_7greaterIsEEbEEEE10hipError_tPvRmT1_T2_T3_mmT4_T5_P12ihipStream_tbEUlRKsE_EESS_SW_SX_mSY_S11_bEUlT_E_NS1_11comp_targetILNS1_3genE10ELNS1_11target_archE1200ELNS1_3gpuE4ELNS1_3repE0EEENS1_30default_config_static_selectorELNS0_4arch9wavefront6targetE0EEEvSV_.private_seg_size, 0
	.set _ZN7rocprim17ROCPRIM_400000_NS6detail17trampoline_kernelINS0_14default_configENS1_27upper_bound_config_selectorIslEEZNS1_14transform_implILb0ES3_S5_N6thrust23THRUST_200600_302600_NS6detail15normal_iteratorINS8_7pointerIsNS8_11hip_rocprim3tagENS8_11use_defaultESE_EEEENSA_INSB_IlSD_SE_SE_EEEEZNS1_13binary_searchIS3_S5_NSA_INS8_10device_ptrIsEEEESG_SI_NS1_21upper_bound_search_opENS9_16wrapped_functionINS8_7greaterIsEEbEEEE10hipError_tPvRmT1_T2_T3_mmT4_T5_P12ihipStream_tbEUlRKsE_EESS_SW_SX_mSY_S11_bEUlT_E_NS1_11comp_targetILNS1_3genE10ELNS1_11target_archE1200ELNS1_3gpuE4ELNS1_3repE0EEENS1_30default_config_static_selectorELNS0_4arch9wavefront6targetE0EEEvSV_.uses_vcc, 0
	.set _ZN7rocprim17ROCPRIM_400000_NS6detail17trampoline_kernelINS0_14default_configENS1_27upper_bound_config_selectorIslEEZNS1_14transform_implILb0ES3_S5_N6thrust23THRUST_200600_302600_NS6detail15normal_iteratorINS8_7pointerIsNS8_11hip_rocprim3tagENS8_11use_defaultESE_EEEENSA_INSB_IlSD_SE_SE_EEEEZNS1_13binary_searchIS3_S5_NSA_INS8_10device_ptrIsEEEESG_SI_NS1_21upper_bound_search_opENS9_16wrapped_functionINS8_7greaterIsEEbEEEE10hipError_tPvRmT1_T2_T3_mmT4_T5_P12ihipStream_tbEUlRKsE_EESS_SW_SX_mSY_S11_bEUlT_E_NS1_11comp_targetILNS1_3genE10ELNS1_11target_archE1200ELNS1_3gpuE4ELNS1_3repE0EEENS1_30default_config_static_selectorELNS0_4arch9wavefront6targetE0EEEvSV_.uses_flat_scratch, 0
	.set _ZN7rocprim17ROCPRIM_400000_NS6detail17trampoline_kernelINS0_14default_configENS1_27upper_bound_config_selectorIslEEZNS1_14transform_implILb0ES3_S5_N6thrust23THRUST_200600_302600_NS6detail15normal_iteratorINS8_7pointerIsNS8_11hip_rocprim3tagENS8_11use_defaultESE_EEEENSA_INSB_IlSD_SE_SE_EEEEZNS1_13binary_searchIS3_S5_NSA_INS8_10device_ptrIsEEEESG_SI_NS1_21upper_bound_search_opENS9_16wrapped_functionINS8_7greaterIsEEbEEEE10hipError_tPvRmT1_T2_T3_mmT4_T5_P12ihipStream_tbEUlRKsE_EESS_SW_SX_mSY_S11_bEUlT_E_NS1_11comp_targetILNS1_3genE10ELNS1_11target_archE1200ELNS1_3gpuE4ELNS1_3repE0EEENS1_30default_config_static_selectorELNS0_4arch9wavefront6targetE0EEEvSV_.has_dyn_sized_stack, 0
	.set _ZN7rocprim17ROCPRIM_400000_NS6detail17trampoline_kernelINS0_14default_configENS1_27upper_bound_config_selectorIslEEZNS1_14transform_implILb0ES3_S5_N6thrust23THRUST_200600_302600_NS6detail15normal_iteratorINS8_7pointerIsNS8_11hip_rocprim3tagENS8_11use_defaultESE_EEEENSA_INSB_IlSD_SE_SE_EEEEZNS1_13binary_searchIS3_S5_NSA_INS8_10device_ptrIsEEEESG_SI_NS1_21upper_bound_search_opENS9_16wrapped_functionINS8_7greaterIsEEbEEEE10hipError_tPvRmT1_T2_T3_mmT4_T5_P12ihipStream_tbEUlRKsE_EESS_SW_SX_mSY_S11_bEUlT_E_NS1_11comp_targetILNS1_3genE10ELNS1_11target_archE1200ELNS1_3gpuE4ELNS1_3repE0EEENS1_30default_config_static_selectorELNS0_4arch9wavefront6targetE0EEEvSV_.has_recursion, 0
	.set _ZN7rocprim17ROCPRIM_400000_NS6detail17trampoline_kernelINS0_14default_configENS1_27upper_bound_config_selectorIslEEZNS1_14transform_implILb0ES3_S5_N6thrust23THRUST_200600_302600_NS6detail15normal_iteratorINS8_7pointerIsNS8_11hip_rocprim3tagENS8_11use_defaultESE_EEEENSA_INSB_IlSD_SE_SE_EEEEZNS1_13binary_searchIS3_S5_NSA_INS8_10device_ptrIsEEEESG_SI_NS1_21upper_bound_search_opENS9_16wrapped_functionINS8_7greaterIsEEbEEEE10hipError_tPvRmT1_T2_T3_mmT4_T5_P12ihipStream_tbEUlRKsE_EESS_SW_SX_mSY_S11_bEUlT_E_NS1_11comp_targetILNS1_3genE10ELNS1_11target_archE1200ELNS1_3gpuE4ELNS1_3repE0EEENS1_30default_config_static_selectorELNS0_4arch9wavefront6targetE0EEEvSV_.has_indirect_call, 0
	.section	.AMDGPU.csdata,"",@progbits
; Kernel info:
; codeLenInByte = 0
; TotalNumSgprs: 0
; NumVgprs: 0
; ScratchSize: 0
; MemoryBound: 0
; FloatMode: 240
; IeeeMode: 1
; LDSByteSize: 0 bytes/workgroup (compile time only)
; SGPRBlocks: 0
; VGPRBlocks: 0
; NumSGPRsForWavesPerEU: 1
; NumVGPRsForWavesPerEU: 1
; NamedBarCnt: 0
; Occupancy: 16
; WaveLimiterHint : 0
; COMPUTE_PGM_RSRC2:SCRATCH_EN: 0
; COMPUTE_PGM_RSRC2:USER_SGPR: 2
; COMPUTE_PGM_RSRC2:TRAP_HANDLER: 0
; COMPUTE_PGM_RSRC2:TGID_X_EN: 1
; COMPUTE_PGM_RSRC2:TGID_Y_EN: 0
; COMPUTE_PGM_RSRC2:TGID_Z_EN: 0
; COMPUTE_PGM_RSRC2:TIDIG_COMP_CNT: 0
	.section	.text._ZN7rocprim17ROCPRIM_400000_NS6detail17trampoline_kernelINS0_14default_configENS1_27upper_bound_config_selectorIslEEZNS1_14transform_implILb0ES3_S5_N6thrust23THRUST_200600_302600_NS6detail15normal_iteratorINS8_7pointerIsNS8_11hip_rocprim3tagENS8_11use_defaultESE_EEEENSA_INSB_IlSD_SE_SE_EEEEZNS1_13binary_searchIS3_S5_NSA_INS8_10device_ptrIsEEEESG_SI_NS1_21upper_bound_search_opENS9_16wrapped_functionINS8_7greaterIsEEbEEEE10hipError_tPvRmT1_T2_T3_mmT4_T5_P12ihipStream_tbEUlRKsE_EESS_SW_SX_mSY_S11_bEUlT_E_NS1_11comp_targetILNS1_3genE9ELNS1_11target_archE1100ELNS1_3gpuE3ELNS1_3repE0EEENS1_30default_config_static_selectorELNS0_4arch9wavefront6targetE0EEEvSV_,"axG",@progbits,_ZN7rocprim17ROCPRIM_400000_NS6detail17trampoline_kernelINS0_14default_configENS1_27upper_bound_config_selectorIslEEZNS1_14transform_implILb0ES3_S5_N6thrust23THRUST_200600_302600_NS6detail15normal_iteratorINS8_7pointerIsNS8_11hip_rocprim3tagENS8_11use_defaultESE_EEEENSA_INSB_IlSD_SE_SE_EEEEZNS1_13binary_searchIS3_S5_NSA_INS8_10device_ptrIsEEEESG_SI_NS1_21upper_bound_search_opENS9_16wrapped_functionINS8_7greaterIsEEbEEEE10hipError_tPvRmT1_T2_T3_mmT4_T5_P12ihipStream_tbEUlRKsE_EESS_SW_SX_mSY_S11_bEUlT_E_NS1_11comp_targetILNS1_3genE9ELNS1_11target_archE1100ELNS1_3gpuE3ELNS1_3repE0EEENS1_30default_config_static_selectorELNS0_4arch9wavefront6targetE0EEEvSV_,comdat
	.protected	_ZN7rocprim17ROCPRIM_400000_NS6detail17trampoline_kernelINS0_14default_configENS1_27upper_bound_config_selectorIslEEZNS1_14transform_implILb0ES3_S5_N6thrust23THRUST_200600_302600_NS6detail15normal_iteratorINS8_7pointerIsNS8_11hip_rocprim3tagENS8_11use_defaultESE_EEEENSA_INSB_IlSD_SE_SE_EEEEZNS1_13binary_searchIS3_S5_NSA_INS8_10device_ptrIsEEEESG_SI_NS1_21upper_bound_search_opENS9_16wrapped_functionINS8_7greaterIsEEbEEEE10hipError_tPvRmT1_T2_T3_mmT4_T5_P12ihipStream_tbEUlRKsE_EESS_SW_SX_mSY_S11_bEUlT_E_NS1_11comp_targetILNS1_3genE9ELNS1_11target_archE1100ELNS1_3gpuE3ELNS1_3repE0EEENS1_30default_config_static_selectorELNS0_4arch9wavefront6targetE0EEEvSV_ ; -- Begin function _ZN7rocprim17ROCPRIM_400000_NS6detail17trampoline_kernelINS0_14default_configENS1_27upper_bound_config_selectorIslEEZNS1_14transform_implILb0ES3_S5_N6thrust23THRUST_200600_302600_NS6detail15normal_iteratorINS8_7pointerIsNS8_11hip_rocprim3tagENS8_11use_defaultESE_EEEENSA_INSB_IlSD_SE_SE_EEEEZNS1_13binary_searchIS3_S5_NSA_INS8_10device_ptrIsEEEESG_SI_NS1_21upper_bound_search_opENS9_16wrapped_functionINS8_7greaterIsEEbEEEE10hipError_tPvRmT1_T2_T3_mmT4_T5_P12ihipStream_tbEUlRKsE_EESS_SW_SX_mSY_S11_bEUlT_E_NS1_11comp_targetILNS1_3genE9ELNS1_11target_archE1100ELNS1_3gpuE3ELNS1_3repE0EEENS1_30default_config_static_selectorELNS0_4arch9wavefront6targetE0EEEvSV_
	.globl	_ZN7rocprim17ROCPRIM_400000_NS6detail17trampoline_kernelINS0_14default_configENS1_27upper_bound_config_selectorIslEEZNS1_14transform_implILb0ES3_S5_N6thrust23THRUST_200600_302600_NS6detail15normal_iteratorINS8_7pointerIsNS8_11hip_rocprim3tagENS8_11use_defaultESE_EEEENSA_INSB_IlSD_SE_SE_EEEEZNS1_13binary_searchIS3_S5_NSA_INS8_10device_ptrIsEEEESG_SI_NS1_21upper_bound_search_opENS9_16wrapped_functionINS8_7greaterIsEEbEEEE10hipError_tPvRmT1_T2_T3_mmT4_T5_P12ihipStream_tbEUlRKsE_EESS_SW_SX_mSY_S11_bEUlT_E_NS1_11comp_targetILNS1_3genE9ELNS1_11target_archE1100ELNS1_3gpuE3ELNS1_3repE0EEENS1_30default_config_static_selectorELNS0_4arch9wavefront6targetE0EEEvSV_
	.p2align	8
	.type	_ZN7rocprim17ROCPRIM_400000_NS6detail17trampoline_kernelINS0_14default_configENS1_27upper_bound_config_selectorIslEEZNS1_14transform_implILb0ES3_S5_N6thrust23THRUST_200600_302600_NS6detail15normal_iteratorINS8_7pointerIsNS8_11hip_rocprim3tagENS8_11use_defaultESE_EEEENSA_INSB_IlSD_SE_SE_EEEEZNS1_13binary_searchIS3_S5_NSA_INS8_10device_ptrIsEEEESG_SI_NS1_21upper_bound_search_opENS9_16wrapped_functionINS8_7greaterIsEEbEEEE10hipError_tPvRmT1_T2_T3_mmT4_T5_P12ihipStream_tbEUlRKsE_EESS_SW_SX_mSY_S11_bEUlT_E_NS1_11comp_targetILNS1_3genE9ELNS1_11target_archE1100ELNS1_3gpuE3ELNS1_3repE0EEENS1_30default_config_static_selectorELNS0_4arch9wavefront6targetE0EEEvSV_,@function
_ZN7rocprim17ROCPRIM_400000_NS6detail17trampoline_kernelINS0_14default_configENS1_27upper_bound_config_selectorIslEEZNS1_14transform_implILb0ES3_S5_N6thrust23THRUST_200600_302600_NS6detail15normal_iteratorINS8_7pointerIsNS8_11hip_rocprim3tagENS8_11use_defaultESE_EEEENSA_INSB_IlSD_SE_SE_EEEEZNS1_13binary_searchIS3_S5_NSA_INS8_10device_ptrIsEEEESG_SI_NS1_21upper_bound_search_opENS9_16wrapped_functionINS8_7greaterIsEEbEEEE10hipError_tPvRmT1_T2_T3_mmT4_T5_P12ihipStream_tbEUlRKsE_EESS_SW_SX_mSY_S11_bEUlT_E_NS1_11comp_targetILNS1_3genE9ELNS1_11target_archE1100ELNS1_3gpuE3ELNS1_3repE0EEENS1_30default_config_static_selectorELNS0_4arch9wavefront6targetE0EEEvSV_: ; @_ZN7rocprim17ROCPRIM_400000_NS6detail17trampoline_kernelINS0_14default_configENS1_27upper_bound_config_selectorIslEEZNS1_14transform_implILb0ES3_S5_N6thrust23THRUST_200600_302600_NS6detail15normal_iteratorINS8_7pointerIsNS8_11hip_rocprim3tagENS8_11use_defaultESE_EEEENSA_INSB_IlSD_SE_SE_EEEEZNS1_13binary_searchIS3_S5_NSA_INS8_10device_ptrIsEEEESG_SI_NS1_21upper_bound_search_opENS9_16wrapped_functionINS8_7greaterIsEEbEEEE10hipError_tPvRmT1_T2_T3_mmT4_T5_P12ihipStream_tbEUlRKsE_EESS_SW_SX_mSY_S11_bEUlT_E_NS1_11comp_targetILNS1_3genE9ELNS1_11target_archE1100ELNS1_3gpuE3ELNS1_3repE0EEENS1_30default_config_static_selectorELNS0_4arch9wavefront6targetE0EEEvSV_
; %bb.0:
	.section	.rodata,"a",@progbits
	.p2align	6, 0x0
	.amdhsa_kernel _ZN7rocprim17ROCPRIM_400000_NS6detail17trampoline_kernelINS0_14default_configENS1_27upper_bound_config_selectorIslEEZNS1_14transform_implILb0ES3_S5_N6thrust23THRUST_200600_302600_NS6detail15normal_iteratorINS8_7pointerIsNS8_11hip_rocprim3tagENS8_11use_defaultESE_EEEENSA_INSB_IlSD_SE_SE_EEEEZNS1_13binary_searchIS3_S5_NSA_INS8_10device_ptrIsEEEESG_SI_NS1_21upper_bound_search_opENS9_16wrapped_functionINS8_7greaterIsEEbEEEE10hipError_tPvRmT1_T2_T3_mmT4_T5_P12ihipStream_tbEUlRKsE_EESS_SW_SX_mSY_S11_bEUlT_E_NS1_11comp_targetILNS1_3genE9ELNS1_11target_archE1100ELNS1_3gpuE3ELNS1_3repE0EEENS1_30default_config_static_selectorELNS0_4arch9wavefront6targetE0EEEvSV_
		.amdhsa_group_segment_fixed_size 0
		.amdhsa_private_segment_fixed_size 0
		.amdhsa_kernarg_size 56
		.amdhsa_user_sgpr_count 2
		.amdhsa_user_sgpr_dispatch_ptr 0
		.amdhsa_user_sgpr_queue_ptr 0
		.amdhsa_user_sgpr_kernarg_segment_ptr 1
		.amdhsa_user_sgpr_dispatch_id 0
		.amdhsa_user_sgpr_kernarg_preload_length 0
		.amdhsa_user_sgpr_kernarg_preload_offset 0
		.amdhsa_user_sgpr_private_segment_size 0
		.amdhsa_wavefront_size32 1
		.amdhsa_uses_dynamic_stack 0
		.amdhsa_enable_private_segment 0
		.amdhsa_system_sgpr_workgroup_id_x 1
		.amdhsa_system_sgpr_workgroup_id_y 0
		.amdhsa_system_sgpr_workgroup_id_z 0
		.amdhsa_system_sgpr_workgroup_info 0
		.amdhsa_system_vgpr_workitem_id 0
		.amdhsa_next_free_vgpr 1
		.amdhsa_next_free_sgpr 1
		.amdhsa_named_barrier_count 0
		.amdhsa_reserve_vcc 0
		.amdhsa_float_round_mode_32 0
		.amdhsa_float_round_mode_16_64 0
		.amdhsa_float_denorm_mode_32 3
		.amdhsa_float_denorm_mode_16_64 3
		.amdhsa_fp16_overflow 0
		.amdhsa_memory_ordered 1
		.amdhsa_forward_progress 1
		.amdhsa_inst_pref_size 0
		.amdhsa_round_robin_scheduling 0
		.amdhsa_exception_fp_ieee_invalid_op 0
		.amdhsa_exception_fp_denorm_src 0
		.amdhsa_exception_fp_ieee_div_zero 0
		.amdhsa_exception_fp_ieee_overflow 0
		.amdhsa_exception_fp_ieee_underflow 0
		.amdhsa_exception_fp_ieee_inexact 0
		.amdhsa_exception_int_div_zero 0
	.end_amdhsa_kernel
	.section	.text._ZN7rocprim17ROCPRIM_400000_NS6detail17trampoline_kernelINS0_14default_configENS1_27upper_bound_config_selectorIslEEZNS1_14transform_implILb0ES3_S5_N6thrust23THRUST_200600_302600_NS6detail15normal_iteratorINS8_7pointerIsNS8_11hip_rocprim3tagENS8_11use_defaultESE_EEEENSA_INSB_IlSD_SE_SE_EEEEZNS1_13binary_searchIS3_S5_NSA_INS8_10device_ptrIsEEEESG_SI_NS1_21upper_bound_search_opENS9_16wrapped_functionINS8_7greaterIsEEbEEEE10hipError_tPvRmT1_T2_T3_mmT4_T5_P12ihipStream_tbEUlRKsE_EESS_SW_SX_mSY_S11_bEUlT_E_NS1_11comp_targetILNS1_3genE9ELNS1_11target_archE1100ELNS1_3gpuE3ELNS1_3repE0EEENS1_30default_config_static_selectorELNS0_4arch9wavefront6targetE0EEEvSV_,"axG",@progbits,_ZN7rocprim17ROCPRIM_400000_NS6detail17trampoline_kernelINS0_14default_configENS1_27upper_bound_config_selectorIslEEZNS1_14transform_implILb0ES3_S5_N6thrust23THRUST_200600_302600_NS6detail15normal_iteratorINS8_7pointerIsNS8_11hip_rocprim3tagENS8_11use_defaultESE_EEEENSA_INSB_IlSD_SE_SE_EEEEZNS1_13binary_searchIS3_S5_NSA_INS8_10device_ptrIsEEEESG_SI_NS1_21upper_bound_search_opENS9_16wrapped_functionINS8_7greaterIsEEbEEEE10hipError_tPvRmT1_T2_T3_mmT4_T5_P12ihipStream_tbEUlRKsE_EESS_SW_SX_mSY_S11_bEUlT_E_NS1_11comp_targetILNS1_3genE9ELNS1_11target_archE1100ELNS1_3gpuE3ELNS1_3repE0EEENS1_30default_config_static_selectorELNS0_4arch9wavefront6targetE0EEEvSV_,comdat
.Lfunc_end93:
	.size	_ZN7rocprim17ROCPRIM_400000_NS6detail17trampoline_kernelINS0_14default_configENS1_27upper_bound_config_selectorIslEEZNS1_14transform_implILb0ES3_S5_N6thrust23THRUST_200600_302600_NS6detail15normal_iteratorINS8_7pointerIsNS8_11hip_rocprim3tagENS8_11use_defaultESE_EEEENSA_INSB_IlSD_SE_SE_EEEEZNS1_13binary_searchIS3_S5_NSA_INS8_10device_ptrIsEEEESG_SI_NS1_21upper_bound_search_opENS9_16wrapped_functionINS8_7greaterIsEEbEEEE10hipError_tPvRmT1_T2_T3_mmT4_T5_P12ihipStream_tbEUlRKsE_EESS_SW_SX_mSY_S11_bEUlT_E_NS1_11comp_targetILNS1_3genE9ELNS1_11target_archE1100ELNS1_3gpuE3ELNS1_3repE0EEENS1_30default_config_static_selectorELNS0_4arch9wavefront6targetE0EEEvSV_, .Lfunc_end93-_ZN7rocprim17ROCPRIM_400000_NS6detail17trampoline_kernelINS0_14default_configENS1_27upper_bound_config_selectorIslEEZNS1_14transform_implILb0ES3_S5_N6thrust23THRUST_200600_302600_NS6detail15normal_iteratorINS8_7pointerIsNS8_11hip_rocprim3tagENS8_11use_defaultESE_EEEENSA_INSB_IlSD_SE_SE_EEEEZNS1_13binary_searchIS3_S5_NSA_INS8_10device_ptrIsEEEESG_SI_NS1_21upper_bound_search_opENS9_16wrapped_functionINS8_7greaterIsEEbEEEE10hipError_tPvRmT1_T2_T3_mmT4_T5_P12ihipStream_tbEUlRKsE_EESS_SW_SX_mSY_S11_bEUlT_E_NS1_11comp_targetILNS1_3genE9ELNS1_11target_archE1100ELNS1_3gpuE3ELNS1_3repE0EEENS1_30default_config_static_selectorELNS0_4arch9wavefront6targetE0EEEvSV_
                                        ; -- End function
	.set _ZN7rocprim17ROCPRIM_400000_NS6detail17trampoline_kernelINS0_14default_configENS1_27upper_bound_config_selectorIslEEZNS1_14transform_implILb0ES3_S5_N6thrust23THRUST_200600_302600_NS6detail15normal_iteratorINS8_7pointerIsNS8_11hip_rocprim3tagENS8_11use_defaultESE_EEEENSA_INSB_IlSD_SE_SE_EEEEZNS1_13binary_searchIS3_S5_NSA_INS8_10device_ptrIsEEEESG_SI_NS1_21upper_bound_search_opENS9_16wrapped_functionINS8_7greaterIsEEbEEEE10hipError_tPvRmT1_T2_T3_mmT4_T5_P12ihipStream_tbEUlRKsE_EESS_SW_SX_mSY_S11_bEUlT_E_NS1_11comp_targetILNS1_3genE9ELNS1_11target_archE1100ELNS1_3gpuE3ELNS1_3repE0EEENS1_30default_config_static_selectorELNS0_4arch9wavefront6targetE0EEEvSV_.num_vgpr, 0
	.set _ZN7rocprim17ROCPRIM_400000_NS6detail17trampoline_kernelINS0_14default_configENS1_27upper_bound_config_selectorIslEEZNS1_14transform_implILb0ES3_S5_N6thrust23THRUST_200600_302600_NS6detail15normal_iteratorINS8_7pointerIsNS8_11hip_rocprim3tagENS8_11use_defaultESE_EEEENSA_INSB_IlSD_SE_SE_EEEEZNS1_13binary_searchIS3_S5_NSA_INS8_10device_ptrIsEEEESG_SI_NS1_21upper_bound_search_opENS9_16wrapped_functionINS8_7greaterIsEEbEEEE10hipError_tPvRmT1_T2_T3_mmT4_T5_P12ihipStream_tbEUlRKsE_EESS_SW_SX_mSY_S11_bEUlT_E_NS1_11comp_targetILNS1_3genE9ELNS1_11target_archE1100ELNS1_3gpuE3ELNS1_3repE0EEENS1_30default_config_static_selectorELNS0_4arch9wavefront6targetE0EEEvSV_.num_agpr, 0
	.set _ZN7rocprim17ROCPRIM_400000_NS6detail17trampoline_kernelINS0_14default_configENS1_27upper_bound_config_selectorIslEEZNS1_14transform_implILb0ES3_S5_N6thrust23THRUST_200600_302600_NS6detail15normal_iteratorINS8_7pointerIsNS8_11hip_rocprim3tagENS8_11use_defaultESE_EEEENSA_INSB_IlSD_SE_SE_EEEEZNS1_13binary_searchIS3_S5_NSA_INS8_10device_ptrIsEEEESG_SI_NS1_21upper_bound_search_opENS9_16wrapped_functionINS8_7greaterIsEEbEEEE10hipError_tPvRmT1_T2_T3_mmT4_T5_P12ihipStream_tbEUlRKsE_EESS_SW_SX_mSY_S11_bEUlT_E_NS1_11comp_targetILNS1_3genE9ELNS1_11target_archE1100ELNS1_3gpuE3ELNS1_3repE0EEENS1_30default_config_static_selectorELNS0_4arch9wavefront6targetE0EEEvSV_.numbered_sgpr, 0
	.set _ZN7rocprim17ROCPRIM_400000_NS6detail17trampoline_kernelINS0_14default_configENS1_27upper_bound_config_selectorIslEEZNS1_14transform_implILb0ES3_S5_N6thrust23THRUST_200600_302600_NS6detail15normal_iteratorINS8_7pointerIsNS8_11hip_rocprim3tagENS8_11use_defaultESE_EEEENSA_INSB_IlSD_SE_SE_EEEEZNS1_13binary_searchIS3_S5_NSA_INS8_10device_ptrIsEEEESG_SI_NS1_21upper_bound_search_opENS9_16wrapped_functionINS8_7greaterIsEEbEEEE10hipError_tPvRmT1_T2_T3_mmT4_T5_P12ihipStream_tbEUlRKsE_EESS_SW_SX_mSY_S11_bEUlT_E_NS1_11comp_targetILNS1_3genE9ELNS1_11target_archE1100ELNS1_3gpuE3ELNS1_3repE0EEENS1_30default_config_static_selectorELNS0_4arch9wavefront6targetE0EEEvSV_.num_named_barrier, 0
	.set _ZN7rocprim17ROCPRIM_400000_NS6detail17trampoline_kernelINS0_14default_configENS1_27upper_bound_config_selectorIslEEZNS1_14transform_implILb0ES3_S5_N6thrust23THRUST_200600_302600_NS6detail15normal_iteratorINS8_7pointerIsNS8_11hip_rocprim3tagENS8_11use_defaultESE_EEEENSA_INSB_IlSD_SE_SE_EEEEZNS1_13binary_searchIS3_S5_NSA_INS8_10device_ptrIsEEEESG_SI_NS1_21upper_bound_search_opENS9_16wrapped_functionINS8_7greaterIsEEbEEEE10hipError_tPvRmT1_T2_T3_mmT4_T5_P12ihipStream_tbEUlRKsE_EESS_SW_SX_mSY_S11_bEUlT_E_NS1_11comp_targetILNS1_3genE9ELNS1_11target_archE1100ELNS1_3gpuE3ELNS1_3repE0EEENS1_30default_config_static_selectorELNS0_4arch9wavefront6targetE0EEEvSV_.private_seg_size, 0
	.set _ZN7rocprim17ROCPRIM_400000_NS6detail17trampoline_kernelINS0_14default_configENS1_27upper_bound_config_selectorIslEEZNS1_14transform_implILb0ES3_S5_N6thrust23THRUST_200600_302600_NS6detail15normal_iteratorINS8_7pointerIsNS8_11hip_rocprim3tagENS8_11use_defaultESE_EEEENSA_INSB_IlSD_SE_SE_EEEEZNS1_13binary_searchIS3_S5_NSA_INS8_10device_ptrIsEEEESG_SI_NS1_21upper_bound_search_opENS9_16wrapped_functionINS8_7greaterIsEEbEEEE10hipError_tPvRmT1_T2_T3_mmT4_T5_P12ihipStream_tbEUlRKsE_EESS_SW_SX_mSY_S11_bEUlT_E_NS1_11comp_targetILNS1_3genE9ELNS1_11target_archE1100ELNS1_3gpuE3ELNS1_3repE0EEENS1_30default_config_static_selectorELNS0_4arch9wavefront6targetE0EEEvSV_.uses_vcc, 0
	.set _ZN7rocprim17ROCPRIM_400000_NS6detail17trampoline_kernelINS0_14default_configENS1_27upper_bound_config_selectorIslEEZNS1_14transform_implILb0ES3_S5_N6thrust23THRUST_200600_302600_NS6detail15normal_iteratorINS8_7pointerIsNS8_11hip_rocprim3tagENS8_11use_defaultESE_EEEENSA_INSB_IlSD_SE_SE_EEEEZNS1_13binary_searchIS3_S5_NSA_INS8_10device_ptrIsEEEESG_SI_NS1_21upper_bound_search_opENS9_16wrapped_functionINS8_7greaterIsEEbEEEE10hipError_tPvRmT1_T2_T3_mmT4_T5_P12ihipStream_tbEUlRKsE_EESS_SW_SX_mSY_S11_bEUlT_E_NS1_11comp_targetILNS1_3genE9ELNS1_11target_archE1100ELNS1_3gpuE3ELNS1_3repE0EEENS1_30default_config_static_selectorELNS0_4arch9wavefront6targetE0EEEvSV_.uses_flat_scratch, 0
	.set _ZN7rocprim17ROCPRIM_400000_NS6detail17trampoline_kernelINS0_14default_configENS1_27upper_bound_config_selectorIslEEZNS1_14transform_implILb0ES3_S5_N6thrust23THRUST_200600_302600_NS6detail15normal_iteratorINS8_7pointerIsNS8_11hip_rocprim3tagENS8_11use_defaultESE_EEEENSA_INSB_IlSD_SE_SE_EEEEZNS1_13binary_searchIS3_S5_NSA_INS8_10device_ptrIsEEEESG_SI_NS1_21upper_bound_search_opENS9_16wrapped_functionINS8_7greaterIsEEbEEEE10hipError_tPvRmT1_T2_T3_mmT4_T5_P12ihipStream_tbEUlRKsE_EESS_SW_SX_mSY_S11_bEUlT_E_NS1_11comp_targetILNS1_3genE9ELNS1_11target_archE1100ELNS1_3gpuE3ELNS1_3repE0EEENS1_30default_config_static_selectorELNS0_4arch9wavefront6targetE0EEEvSV_.has_dyn_sized_stack, 0
	.set _ZN7rocprim17ROCPRIM_400000_NS6detail17trampoline_kernelINS0_14default_configENS1_27upper_bound_config_selectorIslEEZNS1_14transform_implILb0ES3_S5_N6thrust23THRUST_200600_302600_NS6detail15normal_iteratorINS8_7pointerIsNS8_11hip_rocprim3tagENS8_11use_defaultESE_EEEENSA_INSB_IlSD_SE_SE_EEEEZNS1_13binary_searchIS3_S5_NSA_INS8_10device_ptrIsEEEESG_SI_NS1_21upper_bound_search_opENS9_16wrapped_functionINS8_7greaterIsEEbEEEE10hipError_tPvRmT1_T2_T3_mmT4_T5_P12ihipStream_tbEUlRKsE_EESS_SW_SX_mSY_S11_bEUlT_E_NS1_11comp_targetILNS1_3genE9ELNS1_11target_archE1100ELNS1_3gpuE3ELNS1_3repE0EEENS1_30default_config_static_selectorELNS0_4arch9wavefront6targetE0EEEvSV_.has_recursion, 0
	.set _ZN7rocprim17ROCPRIM_400000_NS6detail17trampoline_kernelINS0_14default_configENS1_27upper_bound_config_selectorIslEEZNS1_14transform_implILb0ES3_S5_N6thrust23THRUST_200600_302600_NS6detail15normal_iteratorINS8_7pointerIsNS8_11hip_rocprim3tagENS8_11use_defaultESE_EEEENSA_INSB_IlSD_SE_SE_EEEEZNS1_13binary_searchIS3_S5_NSA_INS8_10device_ptrIsEEEESG_SI_NS1_21upper_bound_search_opENS9_16wrapped_functionINS8_7greaterIsEEbEEEE10hipError_tPvRmT1_T2_T3_mmT4_T5_P12ihipStream_tbEUlRKsE_EESS_SW_SX_mSY_S11_bEUlT_E_NS1_11comp_targetILNS1_3genE9ELNS1_11target_archE1100ELNS1_3gpuE3ELNS1_3repE0EEENS1_30default_config_static_selectorELNS0_4arch9wavefront6targetE0EEEvSV_.has_indirect_call, 0
	.section	.AMDGPU.csdata,"",@progbits
; Kernel info:
; codeLenInByte = 0
; TotalNumSgprs: 0
; NumVgprs: 0
; ScratchSize: 0
; MemoryBound: 0
; FloatMode: 240
; IeeeMode: 1
; LDSByteSize: 0 bytes/workgroup (compile time only)
; SGPRBlocks: 0
; VGPRBlocks: 0
; NumSGPRsForWavesPerEU: 1
; NumVGPRsForWavesPerEU: 1
; NamedBarCnt: 0
; Occupancy: 16
; WaveLimiterHint : 0
; COMPUTE_PGM_RSRC2:SCRATCH_EN: 0
; COMPUTE_PGM_RSRC2:USER_SGPR: 2
; COMPUTE_PGM_RSRC2:TRAP_HANDLER: 0
; COMPUTE_PGM_RSRC2:TGID_X_EN: 1
; COMPUTE_PGM_RSRC2:TGID_Y_EN: 0
; COMPUTE_PGM_RSRC2:TGID_Z_EN: 0
; COMPUTE_PGM_RSRC2:TIDIG_COMP_CNT: 0
	.section	.text._ZN7rocprim17ROCPRIM_400000_NS6detail17trampoline_kernelINS0_14default_configENS1_27upper_bound_config_selectorIslEEZNS1_14transform_implILb0ES3_S5_N6thrust23THRUST_200600_302600_NS6detail15normal_iteratorINS8_7pointerIsNS8_11hip_rocprim3tagENS8_11use_defaultESE_EEEENSA_INSB_IlSD_SE_SE_EEEEZNS1_13binary_searchIS3_S5_NSA_INS8_10device_ptrIsEEEESG_SI_NS1_21upper_bound_search_opENS9_16wrapped_functionINS8_7greaterIsEEbEEEE10hipError_tPvRmT1_T2_T3_mmT4_T5_P12ihipStream_tbEUlRKsE_EESS_SW_SX_mSY_S11_bEUlT_E_NS1_11comp_targetILNS1_3genE8ELNS1_11target_archE1030ELNS1_3gpuE2ELNS1_3repE0EEENS1_30default_config_static_selectorELNS0_4arch9wavefront6targetE0EEEvSV_,"axG",@progbits,_ZN7rocprim17ROCPRIM_400000_NS6detail17trampoline_kernelINS0_14default_configENS1_27upper_bound_config_selectorIslEEZNS1_14transform_implILb0ES3_S5_N6thrust23THRUST_200600_302600_NS6detail15normal_iteratorINS8_7pointerIsNS8_11hip_rocprim3tagENS8_11use_defaultESE_EEEENSA_INSB_IlSD_SE_SE_EEEEZNS1_13binary_searchIS3_S5_NSA_INS8_10device_ptrIsEEEESG_SI_NS1_21upper_bound_search_opENS9_16wrapped_functionINS8_7greaterIsEEbEEEE10hipError_tPvRmT1_T2_T3_mmT4_T5_P12ihipStream_tbEUlRKsE_EESS_SW_SX_mSY_S11_bEUlT_E_NS1_11comp_targetILNS1_3genE8ELNS1_11target_archE1030ELNS1_3gpuE2ELNS1_3repE0EEENS1_30default_config_static_selectorELNS0_4arch9wavefront6targetE0EEEvSV_,comdat
	.protected	_ZN7rocprim17ROCPRIM_400000_NS6detail17trampoline_kernelINS0_14default_configENS1_27upper_bound_config_selectorIslEEZNS1_14transform_implILb0ES3_S5_N6thrust23THRUST_200600_302600_NS6detail15normal_iteratorINS8_7pointerIsNS8_11hip_rocprim3tagENS8_11use_defaultESE_EEEENSA_INSB_IlSD_SE_SE_EEEEZNS1_13binary_searchIS3_S5_NSA_INS8_10device_ptrIsEEEESG_SI_NS1_21upper_bound_search_opENS9_16wrapped_functionINS8_7greaterIsEEbEEEE10hipError_tPvRmT1_T2_T3_mmT4_T5_P12ihipStream_tbEUlRKsE_EESS_SW_SX_mSY_S11_bEUlT_E_NS1_11comp_targetILNS1_3genE8ELNS1_11target_archE1030ELNS1_3gpuE2ELNS1_3repE0EEENS1_30default_config_static_selectorELNS0_4arch9wavefront6targetE0EEEvSV_ ; -- Begin function _ZN7rocprim17ROCPRIM_400000_NS6detail17trampoline_kernelINS0_14default_configENS1_27upper_bound_config_selectorIslEEZNS1_14transform_implILb0ES3_S5_N6thrust23THRUST_200600_302600_NS6detail15normal_iteratorINS8_7pointerIsNS8_11hip_rocprim3tagENS8_11use_defaultESE_EEEENSA_INSB_IlSD_SE_SE_EEEEZNS1_13binary_searchIS3_S5_NSA_INS8_10device_ptrIsEEEESG_SI_NS1_21upper_bound_search_opENS9_16wrapped_functionINS8_7greaterIsEEbEEEE10hipError_tPvRmT1_T2_T3_mmT4_T5_P12ihipStream_tbEUlRKsE_EESS_SW_SX_mSY_S11_bEUlT_E_NS1_11comp_targetILNS1_3genE8ELNS1_11target_archE1030ELNS1_3gpuE2ELNS1_3repE0EEENS1_30default_config_static_selectorELNS0_4arch9wavefront6targetE0EEEvSV_
	.globl	_ZN7rocprim17ROCPRIM_400000_NS6detail17trampoline_kernelINS0_14default_configENS1_27upper_bound_config_selectorIslEEZNS1_14transform_implILb0ES3_S5_N6thrust23THRUST_200600_302600_NS6detail15normal_iteratorINS8_7pointerIsNS8_11hip_rocprim3tagENS8_11use_defaultESE_EEEENSA_INSB_IlSD_SE_SE_EEEEZNS1_13binary_searchIS3_S5_NSA_INS8_10device_ptrIsEEEESG_SI_NS1_21upper_bound_search_opENS9_16wrapped_functionINS8_7greaterIsEEbEEEE10hipError_tPvRmT1_T2_T3_mmT4_T5_P12ihipStream_tbEUlRKsE_EESS_SW_SX_mSY_S11_bEUlT_E_NS1_11comp_targetILNS1_3genE8ELNS1_11target_archE1030ELNS1_3gpuE2ELNS1_3repE0EEENS1_30default_config_static_selectorELNS0_4arch9wavefront6targetE0EEEvSV_
	.p2align	8
	.type	_ZN7rocprim17ROCPRIM_400000_NS6detail17trampoline_kernelINS0_14default_configENS1_27upper_bound_config_selectorIslEEZNS1_14transform_implILb0ES3_S5_N6thrust23THRUST_200600_302600_NS6detail15normal_iteratorINS8_7pointerIsNS8_11hip_rocprim3tagENS8_11use_defaultESE_EEEENSA_INSB_IlSD_SE_SE_EEEEZNS1_13binary_searchIS3_S5_NSA_INS8_10device_ptrIsEEEESG_SI_NS1_21upper_bound_search_opENS9_16wrapped_functionINS8_7greaterIsEEbEEEE10hipError_tPvRmT1_T2_T3_mmT4_T5_P12ihipStream_tbEUlRKsE_EESS_SW_SX_mSY_S11_bEUlT_E_NS1_11comp_targetILNS1_3genE8ELNS1_11target_archE1030ELNS1_3gpuE2ELNS1_3repE0EEENS1_30default_config_static_selectorELNS0_4arch9wavefront6targetE0EEEvSV_,@function
_ZN7rocprim17ROCPRIM_400000_NS6detail17trampoline_kernelINS0_14default_configENS1_27upper_bound_config_selectorIslEEZNS1_14transform_implILb0ES3_S5_N6thrust23THRUST_200600_302600_NS6detail15normal_iteratorINS8_7pointerIsNS8_11hip_rocprim3tagENS8_11use_defaultESE_EEEENSA_INSB_IlSD_SE_SE_EEEEZNS1_13binary_searchIS3_S5_NSA_INS8_10device_ptrIsEEEESG_SI_NS1_21upper_bound_search_opENS9_16wrapped_functionINS8_7greaterIsEEbEEEE10hipError_tPvRmT1_T2_T3_mmT4_T5_P12ihipStream_tbEUlRKsE_EESS_SW_SX_mSY_S11_bEUlT_E_NS1_11comp_targetILNS1_3genE8ELNS1_11target_archE1030ELNS1_3gpuE2ELNS1_3repE0EEENS1_30default_config_static_selectorELNS0_4arch9wavefront6targetE0EEEvSV_: ; @_ZN7rocprim17ROCPRIM_400000_NS6detail17trampoline_kernelINS0_14default_configENS1_27upper_bound_config_selectorIslEEZNS1_14transform_implILb0ES3_S5_N6thrust23THRUST_200600_302600_NS6detail15normal_iteratorINS8_7pointerIsNS8_11hip_rocprim3tagENS8_11use_defaultESE_EEEENSA_INSB_IlSD_SE_SE_EEEEZNS1_13binary_searchIS3_S5_NSA_INS8_10device_ptrIsEEEESG_SI_NS1_21upper_bound_search_opENS9_16wrapped_functionINS8_7greaterIsEEbEEEE10hipError_tPvRmT1_T2_T3_mmT4_T5_P12ihipStream_tbEUlRKsE_EESS_SW_SX_mSY_S11_bEUlT_E_NS1_11comp_targetILNS1_3genE8ELNS1_11target_archE1030ELNS1_3gpuE2ELNS1_3repE0EEENS1_30default_config_static_selectorELNS0_4arch9wavefront6targetE0EEEvSV_
; %bb.0:
	.section	.rodata,"a",@progbits
	.p2align	6, 0x0
	.amdhsa_kernel _ZN7rocprim17ROCPRIM_400000_NS6detail17trampoline_kernelINS0_14default_configENS1_27upper_bound_config_selectorIslEEZNS1_14transform_implILb0ES3_S5_N6thrust23THRUST_200600_302600_NS6detail15normal_iteratorINS8_7pointerIsNS8_11hip_rocprim3tagENS8_11use_defaultESE_EEEENSA_INSB_IlSD_SE_SE_EEEEZNS1_13binary_searchIS3_S5_NSA_INS8_10device_ptrIsEEEESG_SI_NS1_21upper_bound_search_opENS9_16wrapped_functionINS8_7greaterIsEEbEEEE10hipError_tPvRmT1_T2_T3_mmT4_T5_P12ihipStream_tbEUlRKsE_EESS_SW_SX_mSY_S11_bEUlT_E_NS1_11comp_targetILNS1_3genE8ELNS1_11target_archE1030ELNS1_3gpuE2ELNS1_3repE0EEENS1_30default_config_static_selectorELNS0_4arch9wavefront6targetE0EEEvSV_
		.amdhsa_group_segment_fixed_size 0
		.amdhsa_private_segment_fixed_size 0
		.amdhsa_kernarg_size 56
		.amdhsa_user_sgpr_count 2
		.amdhsa_user_sgpr_dispatch_ptr 0
		.amdhsa_user_sgpr_queue_ptr 0
		.amdhsa_user_sgpr_kernarg_segment_ptr 1
		.amdhsa_user_sgpr_dispatch_id 0
		.amdhsa_user_sgpr_kernarg_preload_length 0
		.amdhsa_user_sgpr_kernarg_preload_offset 0
		.amdhsa_user_sgpr_private_segment_size 0
		.amdhsa_wavefront_size32 1
		.amdhsa_uses_dynamic_stack 0
		.amdhsa_enable_private_segment 0
		.amdhsa_system_sgpr_workgroup_id_x 1
		.amdhsa_system_sgpr_workgroup_id_y 0
		.amdhsa_system_sgpr_workgroup_id_z 0
		.amdhsa_system_sgpr_workgroup_info 0
		.amdhsa_system_vgpr_workitem_id 0
		.amdhsa_next_free_vgpr 1
		.amdhsa_next_free_sgpr 1
		.amdhsa_named_barrier_count 0
		.amdhsa_reserve_vcc 0
		.amdhsa_float_round_mode_32 0
		.amdhsa_float_round_mode_16_64 0
		.amdhsa_float_denorm_mode_32 3
		.amdhsa_float_denorm_mode_16_64 3
		.amdhsa_fp16_overflow 0
		.amdhsa_memory_ordered 1
		.amdhsa_forward_progress 1
		.amdhsa_inst_pref_size 0
		.amdhsa_round_robin_scheduling 0
		.amdhsa_exception_fp_ieee_invalid_op 0
		.amdhsa_exception_fp_denorm_src 0
		.amdhsa_exception_fp_ieee_div_zero 0
		.amdhsa_exception_fp_ieee_overflow 0
		.amdhsa_exception_fp_ieee_underflow 0
		.amdhsa_exception_fp_ieee_inexact 0
		.amdhsa_exception_int_div_zero 0
	.end_amdhsa_kernel
	.section	.text._ZN7rocprim17ROCPRIM_400000_NS6detail17trampoline_kernelINS0_14default_configENS1_27upper_bound_config_selectorIslEEZNS1_14transform_implILb0ES3_S5_N6thrust23THRUST_200600_302600_NS6detail15normal_iteratorINS8_7pointerIsNS8_11hip_rocprim3tagENS8_11use_defaultESE_EEEENSA_INSB_IlSD_SE_SE_EEEEZNS1_13binary_searchIS3_S5_NSA_INS8_10device_ptrIsEEEESG_SI_NS1_21upper_bound_search_opENS9_16wrapped_functionINS8_7greaterIsEEbEEEE10hipError_tPvRmT1_T2_T3_mmT4_T5_P12ihipStream_tbEUlRKsE_EESS_SW_SX_mSY_S11_bEUlT_E_NS1_11comp_targetILNS1_3genE8ELNS1_11target_archE1030ELNS1_3gpuE2ELNS1_3repE0EEENS1_30default_config_static_selectorELNS0_4arch9wavefront6targetE0EEEvSV_,"axG",@progbits,_ZN7rocprim17ROCPRIM_400000_NS6detail17trampoline_kernelINS0_14default_configENS1_27upper_bound_config_selectorIslEEZNS1_14transform_implILb0ES3_S5_N6thrust23THRUST_200600_302600_NS6detail15normal_iteratorINS8_7pointerIsNS8_11hip_rocprim3tagENS8_11use_defaultESE_EEEENSA_INSB_IlSD_SE_SE_EEEEZNS1_13binary_searchIS3_S5_NSA_INS8_10device_ptrIsEEEESG_SI_NS1_21upper_bound_search_opENS9_16wrapped_functionINS8_7greaterIsEEbEEEE10hipError_tPvRmT1_T2_T3_mmT4_T5_P12ihipStream_tbEUlRKsE_EESS_SW_SX_mSY_S11_bEUlT_E_NS1_11comp_targetILNS1_3genE8ELNS1_11target_archE1030ELNS1_3gpuE2ELNS1_3repE0EEENS1_30default_config_static_selectorELNS0_4arch9wavefront6targetE0EEEvSV_,comdat
.Lfunc_end94:
	.size	_ZN7rocprim17ROCPRIM_400000_NS6detail17trampoline_kernelINS0_14default_configENS1_27upper_bound_config_selectorIslEEZNS1_14transform_implILb0ES3_S5_N6thrust23THRUST_200600_302600_NS6detail15normal_iteratorINS8_7pointerIsNS8_11hip_rocprim3tagENS8_11use_defaultESE_EEEENSA_INSB_IlSD_SE_SE_EEEEZNS1_13binary_searchIS3_S5_NSA_INS8_10device_ptrIsEEEESG_SI_NS1_21upper_bound_search_opENS9_16wrapped_functionINS8_7greaterIsEEbEEEE10hipError_tPvRmT1_T2_T3_mmT4_T5_P12ihipStream_tbEUlRKsE_EESS_SW_SX_mSY_S11_bEUlT_E_NS1_11comp_targetILNS1_3genE8ELNS1_11target_archE1030ELNS1_3gpuE2ELNS1_3repE0EEENS1_30default_config_static_selectorELNS0_4arch9wavefront6targetE0EEEvSV_, .Lfunc_end94-_ZN7rocprim17ROCPRIM_400000_NS6detail17trampoline_kernelINS0_14default_configENS1_27upper_bound_config_selectorIslEEZNS1_14transform_implILb0ES3_S5_N6thrust23THRUST_200600_302600_NS6detail15normal_iteratorINS8_7pointerIsNS8_11hip_rocprim3tagENS8_11use_defaultESE_EEEENSA_INSB_IlSD_SE_SE_EEEEZNS1_13binary_searchIS3_S5_NSA_INS8_10device_ptrIsEEEESG_SI_NS1_21upper_bound_search_opENS9_16wrapped_functionINS8_7greaterIsEEbEEEE10hipError_tPvRmT1_T2_T3_mmT4_T5_P12ihipStream_tbEUlRKsE_EESS_SW_SX_mSY_S11_bEUlT_E_NS1_11comp_targetILNS1_3genE8ELNS1_11target_archE1030ELNS1_3gpuE2ELNS1_3repE0EEENS1_30default_config_static_selectorELNS0_4arch9wavefront6targetE0EEEvSV_
                                        ; -- End function
	.set _ZN7rocprim17ROCPRIM_400000_NS6detail17trampoline_kernelINS0_14default_configENS1_27upper_bound_config_selectorIslEEZNS1_14transform_implILb0ES3_S5_N6thrust23THRUST_200600_302600_NS6detail15normal_iteratorINS8_7pointerIsNS8_11hip_rocprim3tagENS8_11use_defaultESE_EEEENSA_INSB_IlSD_SE_SE_EEEEZNS1_13binary_searchIS3_S5_NSA_INS8_10device_ptrIsEEEESG_SI_NS1_21upper_bound_search_opENS9_16wrapped_functionINS8_7greaterIsEEbEEEE10hipError_tPvRmT1_T2_T3_mmT4_T5_P12ihipStream_tbEUlRKsE_EESS_SW_SX_mSY_S11_bEUlT_E_NS1_11comp_targetILNS1_3genE8ELNS1_11target_archE1030ELNS1_3gpuE2ELNS1_3repE0EEENS1_30default_config_static_selectorELNS0_4arch9wavefront6targetE0EEEvSV_.num_vgpr, 0
	.set _ZN7rocprim17ROCPRIM_400000_NS6detail17trampoline_kernelINS0_14default_configENS1_27upper_bound_config_selectorIslEEZNS1_14transform_implILb0ES3_S5_N6thrust23THRUST_200600_302600_NS6detail15normal_iteratorINS8_7pointerIsNS8_11hip_rocprim3tagENS8_11use_defaultESE_EEEENSA_INSB_IlSD_SE_SE_EEEEZNS1_13binary_searchIS3_S5_NSA_INS8_10device_ptrIsEEEESG_SI_NS1_21upper_bound_search_opENS9_16wrapped_functionINS8_7greaterIsEEbEEEE10hipError_tPvRmT1_T2_T3_mmT4_T5_P12ihipStream_tbEUlRKsE_EESS_SW_SX_mSY_S11_bEUlT_E_NS1_11comp_targetILNS1_3genE8ELNS1_11target_archE1030ELNS1_3gpuE2ELNS1_3repE0EEENS1_30default_config_static_selectorELNS0_4arch9wavefront6targetE0EEEvSV_.num_agpr, 0
	.set _ZN7rocprim17ROCPRIM_400000_NS6detail17trampoline_kernelINS0_14default_configENS1_27upper_bound_config_selectorIslEEZNS1_14transform_implILb0ES3_S5_N6thrust23THRUST_200600_302600_NS6detail15normal_iteratorINS8_7pointerIsNS8_11hip_rocprim3tagENS8_11use_defaultESE_EEEENSA_INSB_IlSD_SE_SE_EEEEZNS1_13binary_searchIS3_S5_NSA_INS8_10device_ptrIsEEEESG_SI_NS1_21upper_bound_search_opENS9_16wrapped_functionINS8_7greaterIsEEbEEEE10hipError_tPvRmT1_T2_T3_mmT4_T5_P12ihipStream_tbEUlRKsE_EESS_SW_SX_mSY_S11_bEUlT_E_NS1_11comp_targetILNS1_3genE8ELNS1_11target_archE1030ELNS1_3gpuE2ELNS1_3repE0EEENS1_30default_config_static_selectorELNS0_4arch9wavefront6targetE0EEEvSV_.numbered_sgpr, 0
	.set _ZN7rocprim17ROCPRIM_400000_NS6detail17trampoline_kernelINS0_14default_configENS1_27upper_bound_config_selectorIslEEZNS1_14transform_implILb0ES3_S5_N6thrust23THRUST_200600_302600_NS6detail15normal_iteratorINS8_7pointerIsNS8_11hip_rocprim3tagENS8_11use_defaultESE_EEEENSA_INSB_IlSD_SE_SE_EEEEZNS1_13binary_searchIS3_S5_NSA_INS8_10device_ptrIsEEEESG_SI_NS1_21upper_bound_search_opENS9_16wrapped_functionINS8_7greaterIsEEbEEEE10hipError_tPvRmT1_T2_T3_mmT4_T5_P12ihipStream_tbEUlRKsE_EESS_SW_SX_mSY_S11_bEUlT_E_NS1_11comp_targetILNS1_3genE8ELNS1_11target_archE1030ELNS1_3gpuE2ELNS1_3repE0EEENS1_30default_config_static_selectorELNS0_4arch9wavefront6targetE0EEEvSV_.num_named_barrier, 0
	.set _ZN7rocprim17ROCPRIM_400000_NS6detail17trampoline_kernelINS0_14default_configENS1_27upper_bound_config_selectorIslEEZNS1_14transform_implILb0ES3_S5_N6thrust23THRUST_200600_302600_NS6detail15normal_iteratorINS8_7pointerIsNS8_11hip_rocprim3tagENS8_11use_defaultESE_EEEENSA_INSB_IlSD_SE_SE_EEEEZNS1_13binary_searchIS3_S5_NSA_INS8_10device_ptrIsEEEESG_SI_NS1_21upper_bound_search_opENS9_16wrapped_functionINS8_7greaterIsEEbEEEE10hipError_tPvRmT1_T2_T3_mmT4_T5_P12ihipStream_tbEUlRKsE_EESS_SW_SX_mSY_S11_bEUlT_E_NS1_11comp_targetILNS1_3genE8ELNS1_11target_archE1030ELNS1_3gpuE2ELNS1_3repE0EEENS1_30default_config_static_selectorELNS0_4arch9wavefront6targetE0EEEvSV_.private_seg_size, 0
	.set _ZN7rocprim17ROCPRIM_400000_NS6detail17trampoline_kernelINS0_14default_configENS1_27upper_bound_config_selectorIslEEZNS1_14transform_implILb0ES3_S5_N6thrust23THRUST_200600_302600_NS6detail15normal_iteratorINS8_7pointerIsNS8_11hip_rocprim3tagENS8_11use_defaultESE_EEEENSA_INSB_IlSD_SE_SE_EEEEZNS1_13binary_searchIS3_S5_NSA_INS8_10device_ptrIsEEEESG_SI_NS1_21upper_bound_search_opENS9_16wrapped_functionINS8_7greaterIsEEbEEEE10hipError_tPvRmT1_T2_T3_mmT4_T5_P12ihipStream_tbEUlRKsE_EESS_SW_SX_mSY_S11_bEUlT_E_NS1_11comp_targetILNS1_3genE8ELNS1_11target_archE1030ELNS1_3gpuE2ELNS1_3repE0EEENS1_30default_config_static_selectorELNS0_4arch9wavefront6targetE0EEEvSV_.uses_vcc, 0
	.set _ZN7rocprim17ROCPRIM_400000_NS6detail17trampoline_kernelINS0_14default_configENS1_27upper_bound_config_selectorIslEEZNS1_14transform_implILb0ES3_S5_N6thrust23THRUST_200600_302600_NS6detail15normal_iteratorINS8_7pointerIsNS8_11hip_rocprim3tagENS8_11use_defaultESE_EEEENSA_INSB_IlSD_SE_SE_EEEEZNS1_13binary_searchIS3_S5_NSA_INS8_10device_ptrIsEEEESG_SI_NS1_21upper_bound_search_opENS9_16wrapped_functionINS8_7greaterIsEEbEEEE10hipError_tPvRmT1_T2_T3_mmT4_T5_P12ihipStream_tbEUlRKsE_EESS_SW_SX_mSY_S11_bEUlT_E_NS1_11comp_targetILNS1_3genE8ELNS1_11target_archE1030ELNS1_3gpuE2ELNS1_3repE0EEENS1_30default_config_static_selectorELNS0_4arch9wavefront6targetE0EEEvSV_.uses_flat_scratch, 0
	.set _ZN7rocprim17ROCPRIM_400000_NS6detail17trampoline_kernelINS0_14default_configENS1_27upper_bound_config_selectorIslEEZNS1_14transform_implILb0ES3_S5_N6thrust23THRUST_200600_302600_NS6detail15normal_iteratorINS8_7pointerIsNS8_11hip_rocprim3tagENS8_11use_defaultESE_EEEENSA_INSB_IlSD_SE_SE_EEEEZNS1_13binary_searchIS3_S5_NSA_INS8_10device_ptrIsEEEESG_SI_NS1_21upper_bound_search_opENS9_16wrapped_functionINS8_7greaterIsEEbEEEE10hipError_tPvRmT1_T2_T3_mmT4_T5_P12ihipStream_tbEUlRKsE_EESS_SW_SX_mSY_S11_bEUlT_E_NS1_11comp_targetILNS1_3genE8ELNS1_11target_archE1030ELNS1_3gpuE2ELNS1_3repE0EEENS1_30default_config_static_selectorELNS0_4arch9wavefront6targetE0EEEvSV_.has_dyn_sized_stack, 0
	.set _ZN7rocprim17ROCPRIM_400000_NS6detail17trampoline_kernelINS0_14default_configENS1_27upper_bound_config_selectorIslEEZNS1_14transform_implILb0ES3_S5_N6thrust23THRUST_200600_302600_NS6detail15normal_iteratorINS8_7pointerIsNS8_11hip_rocprim3tagENS8_11use_defaultESE_EEEENSA_INSB_IlSD_SE_SE_EEEEZNS1_13binary_searchIS3_S5_NSA_INS8_10device_ptrIsEEEESG_SI_NS1_21upper_bound_search_opENS9_16wrapped_functionINS8_7greaterIsEEbEEEE10hipError_tPvRmT1_T2_T3_mmT4_T5_P12ihipStream_tbEUlRKsE_EESS_SW_SX_mSY_S11_bEUlT_E_NS1_11comp_targetILNS1_3genE8ELNS1_11target_archE1030ELNS1_3gpuE2ELNS1_3repE0EEENS1_30default_config_static_selectorELNS0_4arch9wavefront6targetE0EEEvSV_.has_recursion, 0
	.set _ZN7rocprim17ROCPRIM_400000_NS6detail17trampoline_kernelINS0_14default_configENS1_27upper_bound_config_selectorIslEEZNS1_14transform_implILb0ES3_S5_N6thrust23THRUST_200600_302600_NS6detail15normal_iteratorINS8_7pointerIsNS8_11hip_rocprim3tagENS8_11use_defaultESE_EEEENSA_INSB_IlSD_SE_SE_EEEEZNS1_13binary_searchIS3_S5_NSA_INS8_10device_ptrIsEEEESG_SI_NS1_21upper_bound_search_opENS9_16wrapped_functionINS8_7greaterIsEEbEEEE10hipError_tPvRmT1_T2_T3_mmT4_T5_P12ihipStream_tbEUlRKsE_EESS_SW_SX_mSY_S11_bEUlT_E_NS1_11comp_targetILNS1_3genE8ELNS1_11target_archE1030ELNS1_3gpuE2ELNS1_3repE0EEENS1_30default_config_static_selectorELNS0_4arch9wavefront6targetE0EEEvSV_.has_indirect_call, 0
	.section	.AMDGPU.csdata,"",@progbits
; Kernel info:
; codeLenInByte = 0
; TotalNumSgprs: 0
; NumVgprs: 0
; ScratchSize: 0
; MemoryBound: 0
; FloatMode: 240
; IeeeMode: 1
; LDSByteSize: 0 bytes/workgroup (compile time only)
; SGPRBlocks: 0
; VGPRBlocks: 0
; NumSGPRsForWavesPerEU: 1
; NumVGPRsForWavesPerEU: 1
; NamedBarCnt: 0
; Occupancy: 16
; WaveLimiterHint : 0
; COMPUTE_PGM_RSRC2:SCRATCH_EN: 0
; COMPUTE_PGM_RSRC2:USER_SGPR: 2
; COMPUTE_PGM_RSRC2:TRAP_HANDLER: 0
; COMPUTE_PGM_RSRC2:TGID_X_EN: 1
; COMPUTE_PGM_RSRC2:TGID_Y_EN: 0
; COMPUTE_PGM_RSRC2:TGID_Z_EN: 0
; COMPUTE_PGM_RSRC2:TIDIG_COMP_CNT: 0
	.section	.text._ZN7rocprim17ROCPRIM_400000_NS6detail17trampoline_kernelINS0_14default_configENS1_27upper_bound_config_selectorIilEEZNS1_14transform_implILb0ES3_S5_N6thrust23THRUST_200600_302600_NS6detail15normal_iteratorINS8_7pointerIiNS8_11hip_rocprim3tagENS8_11use_defaultESE_EEEENSA_INSB_IlSD_SE_SE_EEEEZNS1_13binary_searchIS3_S5_NSA_INS8_10device_ptrIiEEEESG_SI_NS1_21upper_bound_search_opENS9_16wrapped_functionINS8_7greaterIiEEbEEEE10hipError_tPvRmT1_T2_T3_mmT4_T5_P12ihipStream_tbEUlRKiE_EESS_SW_SX_mSY_S11_bEUlT_E_NS1_11comp_targetILNS1_3genE0ELNS1_11target_archE4294967295ELNS1_3gpuE0ELNS1_3repE0EEENS1_30default_config_static_selectorELNS0_4arch9wavefront6targetE0EEEvSV_,"axG",@progbits,_ZN7rocprim17ROCPRIM_400000_NS6detail17trampoline_kernelINS0_14default_configENS1_27upper_bound_config_selectorIilEEZNS1_14transform_implILb0ES3_S5_N6thrust23THRUST_200600_302600_NS6detail15normal_iteratorINS8_7pointerIiNS8_11hip_rocprim3tagENS8_11use_defaultESE_EEEENSA_INSB_IlSD_SE_SE_EEEEZNS1_13binary_searchIS3_S5_NSA_INS8_10device_ptrIiEEEESG_SI_NS1_21upper_bound_search_opENS9_16wrapped_functionINS8_7greaterIiEEbEEEE10hipError_tPvRmT1_T2_T3_mmT4_T5_P12ihipStream_tbEUlRKiE_EESS_SW_SX_mSY_S11_bEUlT_E_NS1_11comp_targetILNS1_3genE0ELNS1_11target_archE4294967295ELNS1_3gpuE0ELNS1_3repE0EEENS1_30default_config_static_selectorELNS0_4arch9wavefront6targetE0EEEvSV_,comdat
	.protected	_ZN7rocprim17ROCPRIM_400000_NS6detail17trampoline_kernelINS0_14default_configENS1_27upper_bound_config_selectorIilEEZNS1_14transform_implILb0ES3_S5_N6thrust23THRUST_200600_302600_NS6detail15normal_iteratorINS8_7pointerIiNS8_11hip_rocprim3tagENS8_11use_defaultESE_EEEENSA_INSB_IlSD_SE_SE_EEEEZNS1_13binary_searchIS3_S5_NSA_INS8_10device_ptrIiEEEESG_SI_NS1_21upper_bound_search_opENS9_16wrapped_functionINS8_7greaterIiEEbEEEE10hipError_tPvRmT1_T2_T3_mmT4_T5_P12ihipStream_tbEUlRKiE_EESS_SW_SX_mSY_S11_bEUlT_E_NS1_11comp_targetILNS1_3genE0ELNS1_11target_archE4294967295ELNS1_3gpuE0ELNS1_3repE0EEENS1_30default_config_static_selectorELNS0_4arch9wavefront6targetE0EEEvSV_ ; -- Begin function _ZN7rocprim17ROCPRIM_400000_NS6detail17trampoline_kernelINS0_14default_configENS1_27upper_bound_config_selectorIilEEZNS1_14transform_implILb0ES3_S5_N6thrust23THRUST_200600_302600_NS6detail15normal_iteratorINS8_7pointerIiNS8_11hip_rocprim3tagENS8_11use_defaultESE_EEEENSA_INSB_IlSD_SE_SE_EEEEZNS1_13binary_searchIS3_S5_NSA_INS8_10device_ptrIiEEEESG_SI_NS1_21upper_bound_search_opENS9_16wrapped_functionINS8_7greaterIiEEbEEEE10hipError_tPvRmT1_T2_T3_mmT4_T5_P12ihipStream_tbEUlRKiE_EESS_SW_SX_mSY_S11_bEUlT_E_NS1_11comp_targetILNS1_3genE0ELNS1_11target_archE4294967295ELNS1_3gpuE0ELNS1_3repE0EEENS1_30default_config_static_selectorELNS0_4arch9wavefront6targetE0EEEvSV_
	.globl	_ZN7rocprim17ROCPRIM_400000_NS6detail17trampoline_kernelINS0_14default_configENS1_27upper_bound_config_selectorIilEEZNS1_14transform_implILb0ES3_S5_N6thrust23THRUST_200600_302600_NS6detail15normal_iteratorINS8_7pointerIiNS8_11hip_rocprim3tagENS8_11use_defaultESE_EEEENSA_INSB_IlSD_SE_SE_EEEEZNS1_13binary_searchIS3_S5_NSA_INS8_10device_ptrIiEEEESG_SI_NS1_21upper_bound_search_opENS9_16wrapped_functionINS8_7greaterIiEEbEEEE10hipError_tPvRmT1_T2_T3_mmT4_T5_P12ihipStream_tbEUlRKiE_EESS_SW_SX_mSY_S11_bEUlT_E_NS1_11comp_targetILNS1_3genE0ELNS1_11target_archE4294967295ELNS1_3gpuE0ELNS1_3repE0EEENS1_30default_config_static_selectorELNS0_4arch9wavefront6targetE0EEEvSV_
	.p2align	8
	.type	_ZN7rocprim17ROCPRIM_400000_NS6detail17trampoline_kernelINS0_14default_configENS1_27upper_bound_config_selectorIilEEZNS1_14transform_implILb0ES3_S5_N6thrust23THRUST_200600_302600_NS6detail15normal_iteratorINS8_7pointerIiNS8_11hip_rocprim3tagENS8_11use_defaultESE_EEEENSA_INSB_IlSD_SE_SE_EEEEZNS1_13binary_searchIS3_S5_NSA_INS8_10device_ptrIiEEEESG_SI_NS1_21upper_bound_search_opENS9_16wrapped_functionINS8_7greaterIiEEbEEEE10hipError_tPvRmT1_T2_T3_mmT4_T5_P12ihipStream_tbEUlRKiE_EESS_SW_SX_mSY_S11_bEUlT_E_NS1_11comp_targetILNS1_3genE0ELNS1_11target_archE4294967295ELNS1_3gpuE0ELNS1_3repE0EEENS1_30default_config_static_selectorELNS0_4arch9wavefront6targetE0EEEvSV_,@function
_ZN7rocprim17ROCPRIM_400000_NS6detail17trampoline_kernelINS0_14default_configENS1_27upper_bound_config_selectorIilEEZNS1_14transform_implILb0ES3_S5_N6thrust23THRUST_200600_302600_NS6detail15normal_iteratorINS8_7pointerIiNS8_11hip_rocprim3tagENS8_11use_defaultESE_EEEENSA_INSB_IlSD_SE_SE_EEEEZNS1_13binary_searchIS3_S5_NSA_INS8_10device_ptrIiEEEESG_SI_NS1_21upper_bound_search_opENS9_16wrapped_functionINS8_7greaterIiEEbEEEE10hipError_tPvRmT1_T2_T3_mmT4_T5_P12ihipStream_tbEUlRKiE_EESS_SW_SX_mSY_S11_bEUlT_E_NS1_11comp_targetILNS1_3genE0ELNS1_11target_archE4294967295ELNS1_3gpuE0ELNS1_3repE0EEENS1_30default_config_static_selectorELNS0_4arch9wavefront6targetE0EEEvSV_: ; @_ZN7rocprim17ROCPRIM_400000_NS6detail17trampoline_kernelINS0_14default_configENS1_27upper_bound_config_selectorIilEEZNS1_14transform_implILb0ES3_S5_N6thrust23THRUST_200600_302600_NS6detail15normal_iteratorINS8_7pointerIiNS8_11hip_rocprim3tagENS8_11use_defaultESE_EEEENSA_INSB_IlSD_SE_SE_EEEEZNS1_13binary_searchIS3_S5_NSA_INS8_10device_ptrIiEEEESG_SI_NS1_21upper_bound_search_opENS9_16wrapped_functionINS8_7greaterIiEEbEEEE10hipError_tPvRmT1_T2_T3_mmT4_T5_P12ihipStream_tbEUlRKiE_EESS_SW_SX_mSY_S11_bEUlT_E_NS1_11comp_targetILNS1_3genE0ELNS1_11target_archE4294967295ELNS1_3gpuE0ELNS1_3repE0EEENS1_30default_config_static_selectorELNS0_4arch9wavefront6targetE0EEEvSV_
; %bb.0:
	s_clause 0x3
	s_load_b128 s[12:15], s[0:1], 0x0
	s_load_b128 s[4:7], s[0:1], 0x18
	s_load_b32 s16, s[0:1], 0x38
	s_load_b64 s[8:9], s[0:1], 0x28
	s_bfe_u32 s2, ttmp6, 0x4000c
	s_and_b32 s3, ttmp6, 15
	s_add_co_i32 s2, s2, 1
	s_getreg_b32 s10, hwreg(HW_REG_IB_STS2, 6, 4)
	s_mul_i32 s2, ttmp9, s2
	s_delay_alu instid0(SALU_CYCLE_1)
	s_add_co_i32 s17, s3, s2
	s_wait_kmcnt 0x0
	s_lshl_b64 s[2:3], s[14:15], 2
	s_lshl_b64 s[14:15], s[14:15], 3
	s_cmp_eq_u32 s10, 0
	s_add_nc_u64 s[10:11], s[12:13], s[2:3]
	s_cselect_b32 s12, ttmp9, s17
	s_add_co_i32 s16, s16, -1
	s_add_nc_u64 s[2:3], s[4:5], s[14:15]
	s_lshl_b32 s4, s12, 8
	s_mov_b32 s5, 0
	s_cmp_lg_u32 s12, s16
	s_mov_b32 s12, -1
	s_cbranch_scc0 .LBB95_7
; %bb.1:
	s_cmp_eq_u64 s[8:9], 0
	s_cbranch_scc1 .LBB95_5
; %bb.2:
	s_lshl_b64 s[12:13], s[4:5], 2
	v_mov_b64_e32 v[2:3], 0
	s_add_nc_u64 s[12:13], s[10:11], s[12:13]
	v_mov_b64_e32 v[4:5], s[8:9]
	flat_load_b32 v1, v0, s[12:13] scale_offset
	s_wait_xcnt 0x0
	s_mov_b32 s12, 0
.LBB95_3:                               ; =>This Inner Loop Header: Depth=1
	v_sub_nc_u64_e32 v[6:7], v[4:5], v[2:3]
	s_delay_alu instid0(VALU_DEP_1) | instskip(SKIP_1) | instid1(VALU_DEP_2)
	v_lshrrev_b64 v[8:9], 1, v[6:7]
	v_lshrrev_b64 v[6:7], 6, v[6:7]
	v_add_nc_u64_e32 v[8:9], v[8:9], v[2:3]
	s_delay_alu instid0(VALU_DEP_1) | instskip(NEXT) | instid1(VALU_DEP_1)
	v_add_nc_u64_e32 v[6:7], v[8:9], v[6:7]
	v_lshl_add_u64 v[8:9], v[6:7], 2, s[6:7]
	global_load_b32 v10, v[8:9], off
	s_wait_xcnt 0x0
	v_add_nc_u64_e32 v[8:9], 1, v[6:7]
	s_wait_loadcnt_dscnt 0x0
	v_cmp_gt_i32_e32 vcc_lo, v1, v10
	v_dual_cndmask_b32 v5, v5, v7 :: v_dual_cndmask_b32 v4, v4, v6
	s_delay_alu instid0(VALU_DEP_3) | instskip(NEXT) | instid1(VALU_DEP_1)
	v_dual_cndmask_b32 v3, v9, v3 :: v_dual_cndmask_b32 v2, v8, v2
	v_cmp_ge_u64_e32 vcc_lo, v[2:3], v[4:5]
	s_or_b32 s12, vcc_lo, s12
	s_delay_alu instid0(SALU_CYCLE_1)
	s_and_not1_b32 exec_lo, exec_lo, s12
	s_cbranch_execnz .LBB95_3
; %bb.4:
	s_or_b32 exec_lo, exec_lo, s12
	s_branch .LBB95_6
.LBB95_5:
	v_mov_b64_e32 v[2:3], 0
.LBB95_6:
	s_lshl_b64 s[12:13], s[4:5], 3
	s_delay_alu instid0(SALU_CYCLE_1)
	s_add_nc_u64 s[14:15], s[2:3], s[12:13]
	s_mov_b32 s12, 0
	flat_store_b64 v0, v[2:3], s[14:15] scale_offset
.LBB95_7:
	s_and_b32 vcc_lo, exec_lo, s12
	s_cbranch_vccz .LBB95_16
; %bb.8:
	s_load_b32 s0, s[0:1], 0x10
                                        ; implicit-def: $vgpr1
	s_wait_kmcnt 0x0
	s_sub_co_i32 s1, s0, s4
	s_delay_alu instid0(SALU_CYCLE_1)
	v_cmp_le_u32_e64 s0, s1, v0
	v_cmp_gt_u32_e32 vcc_lo, s1, v0
	s_and_saveexec_b32 s1, vcc_lo
	s_cbranch_execz .LBB95_10
; %bb.9:
	s_lshl_b64 s[12:13], s[4:5], 2
	s_delay_alu instid0(SALU_CYCLE_1)
	s_add_nc_u64 s[10:11], s[10:11], s[12:13]
	flat_load_b32 v1, v0, s[10:11] scale_offset
.LBB95_10:
	s_wait_xcnt 0x0
	s_or_b32 exec_lo, exec_lo, s1
	v_mov_b64_e32 v[2:3], 0
	s_cmp_lg_u64 s[8:9], 0
	s_cselect_b32 s1, -1, 0
	s_xor_b32 s0, s0, -1
	s_delay_alu instid0(SALU_CYCLE_1) | instskip(NEXT) | instid1(SALU_CYCLE_1)
	s_and_b32 s0, s0, s1
	s_and_saveexec_b32 s1, s0
	s_cbranch_execz .LBB95_14
; %bb.11:
	v_mov_b64_e32 v[2:3], 0
	v_mov_b64_e32 v[4:5], s[8:9]
	s_mov_b32 s8, 0
.LBB95_12:                              ; =>This Inner Loop Header: Depth=1
	s_delay_alu instid0(VALU_DEP_1) | instskip(NEXT) | instid1(VALU_DEP_1)
	v_sub_nc_u64_e32 v[6:7], v[4:5], v[2:3]
	v_lshrrev_b64 v[8:9], 1, v[6:7]
	v_lshrrev_b64 v[6:7], 6, v[6:7]
	s_delay_alu instid0(VALU_DEP_2) | instskip(NEXT) | instid1(VALU_DEP_1)
	v_add_nc_u64_e32 v[8:9], v[8:9], v[2:3]
	v_add_nc_u64_e32 v[6:7], v[8:9], v[6:7]
	s_delay_alu instid0(VALU_DEP_1)
	v_lshl_add_u64 v[8:9], v[6:7], 2, s[6:7]
	global_load_b32 v10, v[8:9], off
	s_wait_xcnt 0x0
	v_add_nc_u64_e32 v[8:9], 1, v[6:7]
	s_wait_loadcnt_dscnt 0x0
	v_cmp_gt_i32_e64 s0, v1, v10
	s_delay_alu instid0(VALU_DEP_1) | instskip(NEXT) | instid1(VALU_DEP_3)
	v_dual_cndmask_b32 v5, v5, v7, s0 :: v_dual_cndmask_b32 v4, v4, v6, s0
	v_dual_cndmask_b32 v3, v9, v3, s0 :: v_dual_cndmask_b32 v2, v8, v2, s0
	s_delay_alu instid0(VALU_DEP_1) | instskip(SKIP_1) | instid1(SALU_CYCLE_1)
	v_cmp_ge_u64_e64 s0, v[2:3], v[4:5]
	s_or_b32 s8, s0, s8
	s_and_not1_b32 exec_lo, exec_lo, s8
	s_cbranch_execnz .LBB95_12
; %bb.13:
	s_or_b32 exec_lo, exec_lo, s8
.LBB95_14:
	s_delay_alu instid0(SALU_CYCLE_1)
	s_or_b32 exec_lo, exec_lo, s1
	s_and_saveexec_b32 s0, vcc_lo
	s_cbranch_execz .LBB95_16
; %bb.15:
	s_lshl_b64 s[0:1], s[4:5], 3
	s_delay_alu instid0(SALU_CYCLE_1)
	s_add_nc_u64 s[0:1], s[2:3], s[0:1]
	flat_store_b64 v0, v[2:3], s[0:1] scale_offset
.LBB95_16:
	s_endpgm
	.section	.rodata,"a",@progbits
	.p2align	6, 0x0
	.amdhsa_kernel _ZN7rocprim17ROCPRIM_400000_NS6detail17trampoline_kernelINS0_14default_configENS1_27upper_bound_config_selectorIilEEZNS1_14transform_implILb0ES3_S5_N6thrust23THRUST_200600_302600_NS6detail15normal_iteratorINS8_7pointerIiNS8_11hip_rocprim3tagENS8_11use_defaultESE_EEEENSA_INSB_IlSD_SE_SE_EEEEZNS1_13binary_searchIS3_S5_NSA_INS8_10device_ptrIiEEEESG_SI_NS1_21upper_bound_search_opENS9_16wrapped_functionINS8_7greaterIiEEbEEEE10hipError_tPvRmT1_T2_T3_mmT4_T5_P12ihipStream_tbEUlRKiE_EESS_SW_SX_mSY_S11_bEUlT_E_NS1_11comp_targetILNS1_3genE0ELNS1_11target_archE4294967295ELNS1_3gpuE0ELNS1_3repE0EEENS1_30default_config_static_selectorELNS0_4arch9wavefront6targetE0EEEvSV_
		.amdhsa_group_segment_fixed_size 0
		.amdhsa_private_segment_fixed_size 0
		.amdhsa_kernarg_size 312
		.amdhsa_user_sgpr_count 2
		.amdhsa_user_sgpr_dispatch_ptr 0
		.amdhsa_user_sgpr_queue_ptr 0
		.amdhsa_user_sgpr_kernarg_segment_ptr 1
		.amdhsa_user_sgpr_dispatch_id 0
		.amdhsa_user_sgpr_kernarg_preload_length 0
		.amdhsa_user_sgpr_kernarg_preload_offset 0
		.amdhsa_user_sgpr_private_segment_size 0
		.amdhsa_wavefront_size32 1
		.amdhsa_uses_dynamic_stack 0
		.amdhsa_enable_private_segment 0
		.amdhsa_system_sgpr_workgroup_id_x 1
		.amdhsa_system_sgpr_workgroup_id_y 0
		.amdhsa_system_sgpr_workgroup_id_z 0
		.amdhsa_system_sgpr_workgroup_info 0
		.amdhsa_system_vgpr_workitem_id 0
		.amdhsa_next_free_vgpr 11
		.amdhsa_next_free_sgpr 18
		.amdhsa_named_barrier_count 0
		.amdhsa_reserve_vcc 1
		.amdhsa_float_round_mode_32 0
		.amdhsa_float_round_mode_16_64 0
		.amdhsa_float_denorm_mode_32 3
		.amdhsa_float_denorm_mode_16_64 3
		.amdhsa_fp16_overflow 0
		.amdhsa_memory_ordered 1
		.amdhsa_forward_progress 1
		.amdhsa_inst_pref_size 5
		.amdhsa_round_robin_scheduling 0
		.amdhsa_exception_fp_ieee_invalid_op 0
		.amdhsa_exception_fp_denorm_src 0
		.amdhsa_exception_fp_ieee_div_zero 0
		.amdhsa_exception_fp_ieee_overflow 0
		.amdhsa_exception_fp_ieee_underflow 0
		.amdhsa_exception_fp_ieee_inexact 0
		.amdhsa_exception_int_div_zero 0
	.end_amdhsa_kernel
	.section	.text._ZN7rocprim17ROCPRIM_400000_NS6detail17trampoline_kernelINS0_14default_configENS1_27upper_bound_config_selectorIilEEZNS1_14transform_implILb0ES3_S5_N6thrust23THRUST_200600_302600_NS6detail15normal_iteratorINS8_7pointerIiNS8_11hip_rocprim3tagENS8_11use_defaultESE_EEEENSA_INSB_IlSD_SE_SE_EEEEZNS1_13binary_searchIS3_S5_NSA_INS8_10device_ptrIiEEEESG_SI_NS1_21upper_bound_search_opENS9_16wrapped_functionINS8_7greaterIiEEbEEEE10hipError_tPvRmT1_T2_T3_mmT4_T5_P12ihipStream_tbEUlRKiE_EESS_SW_SX_mSY_S11_bEUlT_E_NS1_11comp_targetILNS1_3genE0ELNS1_11target_archE4294967295ELNS1_3gpuE0ELNS1_3repE0EEENS1_30default_config_static_selectorELNS0_4arch9wavefront6targetE0EEEvSV_,"axG",@progbits,_ZN7rocprim17ROCPRIM_400000_NS6detail17trampoline_kernelINS0_14default_configENS1_27upper_bound_config_selectorIilEEZNS1_14transform_implILb0ES3_S5_N6thrust23THRUST_200600_302600_NS6detail15normal_iteratorINS8_7pointerIiNS8_11hip_rocprim3tagENS8_11use_defaultESE_EEEENSA_INSB_IlSD_SE_SE_EEEEZNS1_13binary_searchIS3_S5_NSA_INS8_10device_ptrIiEEEESG_SI_NS1_21upper_bound_search_opENS9_16wrapped_functionINS8_7greaterIiEEbEEEE10hipError_tPvRmT1_T2_T3_mmT4_T5_P12ihipStream_tbEUlRKiE_EESS_SW_SX_mSY_S11_bEUlT_E_NS1_11comp_targetILNS1_3genE0ELNS1_11target_archE4294967295ELNS1_3gpuE0ELNS1_3repE0EEENS1_30default_config_static_selectorELNS0_4arch9wavefront6targetE0EEEvSV_,comdat
.Lfunc_end95:
	.size	_ZN7rocprim17ROCPRIM_400000_NS6detail17trampoline_kernelINS0_14default_configENS1_27upper_bound_config_selectorIilEEZNS1_14transform_implILb0ES3_S5_N6thrust23THRUST_200600_302600_NS6detail15normal_iteratorINS8_7pointerIiNS8_11hip_rocprim3tagENS8_11use_defaultESE_EEEENSA_INSB_IlSD_SE_SE_EEEEZNS1_13binary_searchIS3_S5_NSA_INS8_10device_ptrIiEEEESG_SI_NS1_21upper_bound_search_opENS9_16wrapped_functionINS8_7greaterIiEEbEEEE10hipError_tPvRmT1_T2_T3_mmT4_T5_P12ihipStream_tbEUlRKiE_EESS_SW_SX_mSY_S11_bEUlT_E_NS1_11comp_targetILNS1_3genE0ELNS1_11target_archE4294967295ELNS1_3gpuE0ELNS1_3repE0EEENS1_30default_config_static_selectorELNS0_4arch9wavefront6targetE0EEEvSV_, .Lfunc_end95-_ZN7rocprim17ROCPRIM_400000_NS6detail17trampoline_kernelINS0_14default_configENS1_27upper_bound_config_selectorIilEEZNS1_14transform_implILb0ES3_S5_N6thrust23THRUST_200600_302600_NS6detail15normal_iteratorINS8_7pointerIiNS8_11hip_rocprim3tagENS8_11use_defaultESE_EEEENSA_INSB_IlSD_SE_SE_EEEEZNS1_13binary_searchIS3_S5_NSA_INS8_10device_ptrIiEEEESG_SI_NS1_21upper_bound_search_opENS9_16wrapped_functionINS8_7greaterIiEEbEEEE10hipError_tPvRmT1_T2_T3_mmT4_T5_P12ihipStream_tbEUlRKiE_EESS_SW_SX_mSY_S11_bEUlT_E_NS1_11comp_targetILNS1_3genE0ELNS1_11target_archE4294967295ELNS1_3gpuE0ELNS1_3repE0EEENS1_30default_config_static_selectorELNS0_4arch9wavefront6targetE0EEEvSV_
                                        ; -- End function
	.set _ZN7rocprim17ROCPRIM_400000_NS6detail17trampoline_kernelINS0_14default_configENS1_27upper_bound_config_selectorIilEEZNS1_14transform_implILb0ES3_S5_N6thrust23THRUST_200600_302600_NS6detail15normal_iteratorINS8_7pointerIiNS8_11hip_rocprim3tagENS8_11use_defaultESE_EEEENSA_INSB_IlSD_SE_SE_EEEEZNS1_13binary_searchIS3_S5_NSA_INS8_10device_ptrIiEEEESG_SI_NS1_21upper_bound_search_opENS9_16wrapped_functionINS8_7greaterIiEEbEEEE10hipError_tPvRmT1_T2_T3_mmT4_T5_P12ihipStream_tbEUlRKiE_EESS_SW_SX_mSY_S11_bEUlT_E_NS1_11comp_targetILNS1_3genE0ELNS1_11target_archE4294967295ELNS1_3gpuE0ELNS1_3repE0EEENS1_30default_config_static_selectorELNS0_4arch9wavefront6targetE0EEEvSV_.num_vgpr, 11
	.set _ZN7rocprim17ROCPRIM_400000_NS6detail17trampoline_kernelINS0_14default_configENS1_27upper_bound_config_selectorIilEEZNS1_14transform_implILb0ES3_S5_N6thrust23THRUST_200600_302600_NS6detail15normal_iteratorINS8_7pointerIiNS8_11hip_rocprim3tagENS8_11use_defaultESE_EEEENSA_INSB_IlSD_SE_SE_EEEEZNS1_13binary_searchIS3_S5_NSA_INS8_10device_ptrIiEEEESG_SI_NS1_21upper_bound_search_opENS9_16wrapped_functionINS8_7greaterIiEEbEEEE10hipError_tPvRmT1_T2_T3_mmT4_T5_P12ihipStream_tbEUlRKiE_EESS_SW_SX_mSY_S11_bEUlT_E_NS1_11comp_targetILNS1_3genE0ELNS1_11target_archE4294967295ELNS1_3gpuE0ELNS1_3repE0EEENS1_30default_config_static_selectorELNS0_4arch9wavefront6targetE0EEEvSV_.num_agpr, 0
	.set _ZN7rocprim17ROCPRIM_400000_NS6detail17trampoline_kernelINS0_14default_configENS1_27upper_bound_config_selectorIilEEZNS1_14transform_implILb0ES3_S5_N6thrust23THRUST_200600_302600_NS6detail15normal_iteratorINS8_7pointerIiNS8_11hip_rocprim3tagENS8_11use_defaultESE_EEEENSA_INSB_IlSD_SE_SE_EEEEZNS1_13binary_searchIS3_S5_NSA_INS8_10device_ptrIiEEEESG_SI_NS1_21upper_bound_search_opENS9_16wrapped_functionINS8_7greaterIiEEbEEEE10hipError_tPvRmT1_T2_T3_mmT4_T5_P12ihipStream_tbEUlRKiE_EESS_SW_SX_mSY_S11_bEUlT_E_NS1_11comp_targetILNS1_3genE0ELNS1_11target_archE4294967295ELNS1_3gpuE0ELNS1_3repE0EEENS1_30default_config_static_selectorELNS0_4arch9wavefront6targetE0EEEvSV_.numbered_sgpr, 18
	.set _ZN7rocprim17ROCPRIM_400000_NS6detail17trampoline_kernelINS0_14default_configENS1_27upper_bound_config_selectorIilEEZNS1_14transform_implILb0ES3_S5_N6thrust23THRUST_200600_302600_NS6detail15normal_iteratorINS8_7pointerIiNS8_11hip_rocprim3tagENS8_11use_defaultESE_EEEENSA_INSB_IlSD_SE_SE_EEEEZNS1_13binary_searchIS3_S5_NSA_INS8_10device_ptrIiEEEESG_SI_NS1_21upper_bound_search_opENS9_16wrapped_functionINS8_7greaterIiEEbEEEE10hipError_tPvRmT1_T2_T3_mmT4_T5_P12ihipStream_tbEUlRKiE_EESS_SW_SX_mSY_S11_bEUlT_E_NS1_11comp_targetILNS1_3genE0ELNS1_11target_archE4294967295ELNS1_3gpuE0ELNS1_3repE0EEENS1_30default_config_static_selectorELNS0_4arch9wavefront6targetE0EEEvSV_.num_named_barrier, 0
	.set _ZN7rocprim17ROCPRIM_400000_NS6detail17trampoline_kernelINS0_14default_configENS1_27upper_bound_config_selectorIilEEZNS1_14transform_implILb0ES3_S5_N6thrust23THRUST_200600_302600_NS6detail15normal_iteratorINS8_7pointerIiNS8_11hip_rocprim3tagENS8_11use_defaultESE_EEEENSA_INSB_IlSD_SE_SE_EEEEZNS1_13binary_searchIS3_S5_NSA_INS8_10device_ptrIiEEEESG_SI_NS1_21upper_bound_search_opENS9_16wrapped_functionINS8_7greaterIiEEbEEEE10hipError_tPvRmT1_T2_T3_mmT4_T5_P12ihipStream_tbEUlRKiE_EESS_SW_SX_mSY_S11_bEUlT_E_NS1_11comp_targetILNS1_3genE0ELNS1_11target_archE4294967295ELNS1_3gpuE0ELNS1_3repE0EEENS1_30default_config_static_selectorELNS0_4arch9wavefront6targetE0EEEvSV_.private_seg_size, 0
	.set _ZN7rocprim17ROCPRIM_400000_NS6detail17trampoline_kernelINS0_14default_configENS1_27upper_bound_config_selectorIilEEZNS1_14transform_implILb0ES3_S5_N6thrust23THRUST_200600_302600_NS6detail15normal_iteratorINS8_7pointerIiNS8_11hip_rocprim3tagENS8_11use_defaultESE_EEEENSA_INSB_IlSD_SE_SE_EEEEZNS1_13binary_searchIS3_S5_NSA_INS8_10device_ptrIiEEEESG_SI_NS1_21upper_bound_search_opENS9_16wrapped_functionINS8_7greaterIiEEbEEEE10hipError_tPvRmT1_T2_T3_mmT4_T5_P12ihipStream_tbEUlRKiE_EESS_SW_SX_mSY_S11_bEUlT_E_NS1_11comp_targetILNS1_3genE0ELNS1_11target_archE4294967295ELNS1_3gpuE0ELNS1_3repE0EEENS1_30default_config_static_selectorELNS0_4arch9wavefront6targetE0EEEvSV_.uses_vcc, 1
	.set _ZN7rocprim17ROCPRIM_400000_NS6detail17trampoline_kernelINS0_14default_configENS1_27upper_bound_config_selectorIilEEZNS1_14transform_implILb0ES3_S5_N6thrust23THRUST_200600_302600_NS6detail15normal_iteratorINS8_7pointerIiNS8_11hip_rocprim3tagENS8_11use_defaultESE_EEEENSA_INSB_IlSD_SE_SE_EEEEZNS1_13binary_searchIS3_S5_NSA_INS8_10device_ptrIiEEEESG_SI_NS1_21upper_bound_search_opENS9_16wrapped_functionINS8_7greaterIiEEbEEEE10hipError_tPvRmT1_T2_T3_mmT4_T5_P12ihipStream_tbEUlRKiE_EESS_SW_SX_mSY_S11_bEUlT_E_NS1_11comp_targetILNS1_3genE0ELNS1_11target_archE4294967295ELNS1_3gpuE0ELNS1_3repE0EEENS1_30default_config_static_selectorELNS0_4arch9wavefront6targetE0EEEvSV_.uses_flat_scratch, 0
	.set _ZN7rocprim17ROCPRIM_400000_NS6detail17trampoline_kernelINS0_14default_configENS1_27upper_bound_config_selectorIilEEZNS1_14transform_implILb0ES3_S5_N6thrust23THRUST_200600_302600_NS6detail15normal_iteratorINS8_7pointerIiNS8_11hip_rocprim3tagENS8_11use_defaultESE_EEEENSA_INSB_IlSD_SE_SE_EEEEZNS1_13binary_searchIS3_S5_NSA_INS8_10device_ptrIiEEEESG_SI_NS1_21upper_bound_search_opENS9_16wrapped_functionINS8_7greaterIiEEbEEEE10hipError_tPvRmT1_T2_T3_mmT4_T5_P12ihipStream_tbEUlRKiE_EESS_SW_SX_mSY_S11_bEUlT_E_NS1_11comp_targetILNS1_3genE0ELNS1_11target_archE4294967295ELNS1_3gpuE0ELNS1_3repE0EEENS1_30default_config_static_selectorELNS0_4arch9wavefront6targetE0EEEvSV_.has_dyn_sized_stack, 0
	.set _ZN7rocprim17ROCPRIM_400000_NS6detail17trampoline_kernelINS0_14default_configENS1_27upper_bound_config_selectorIilEEZNS1_14transform_implILb0ES3_S5_N6thrust23THRUST_200600_302600_NS6detail15normal_iteratorINS8_7pointerIiNS8_11hip_rocprim3tagENS8_11use_defaultESE_EEEENSA_INSB_IlSD_SE_SE_EEEEZNS1_13binary_searchIS3_S5_NSA_INS8_10device_ptrIiEEEESG_SI_NS1_21upper_bound_search_opENS9_16wrapped_functionINS8_7greaterIiEEbEEEE10hipError_tPvRmT1_T2_T3_mmT4_T5_P12ihipStream_tbEUlRKiE_EESS_SW_SX_mSY_S11_bEUlT_E_NS1_11comp_targetILNS1_3genE0ELNS1_11target_archE4294967295ELNS1_3gpuE0ELNS1_3repE0EEENS1_30default_config_static_selectorELNS0_4arch9wavefront6targetE0EEEvSV_.has_recursion, 0
	.set _ZN7rocprim17ROCPRIM_400000_NS6detail17trampoline_kernelINS0_14default_configENS1_27upper_bound_config_selectorIilEEZNS1_14transform_implILb0ES3_S5_N6thrust23THRUST_200600_302600_NS6detail15normal_iteratorINS8_7pointerIiNS8_11hip_rocprim3tagENS8_11use_defaultESE_EEEENSA_INSB_IlSD_SE_SE_EEEEZNS1_13binary_searchIS3_S5_NSA_INS8_10device_ptrIiEEEESG_SI_NS1_21upper_bound_search_opENS9_16wrapped_functionINS8_7greaterIiEEbEEEE10hipError_tPvRmT1_T2_T3_mmT4_T5_P12ihipStream_tbEUlRKiE_EESS_SW_SX_mSY_S11_bEUlT_E_NS1_11comp_targetILNS1_3genE0ELNS1_11target_archE4294967295ELNS1_3gpuE0ELNS1_3repE0EEENS1_30default_config_static_selectorELNS0_4arch9wavefront6targetE0EEEvSV_.has_indirect_call, 0
	.section	.AMDGPU.csdata,"",@progbits
; Kernel info:
; codeLenInByte = 620
; TotalNumSgprs: 20
; NumVgprs: 11
; ScratchSize: 0
; MemoryBound: 0
; FloatMode: 240
; IeeeMode: 1
; LDSByteSize: 0 bytes/workgroup (compile time only)
; SGPRBlocks: 0
; VGPRBlocks: 0
; NumSGPRsForWavesPerEU: 20
; NumVGPRsForWavesPerEU: 11
; NamedBarCnt: 0
; Occupancy: 16
; WaveLimiterHint : 0
; COMPUTE_PGM_RSRC2:SCRATCH_EN: 0
; COMPUTE_PGM_RSRC2:USER_SGPR: 2
; COMPUTE_PGM_RSRC2:TRAP_HANDLER: 0
; COMPUTE_PGM_RSRC2:TGID_X_EN: 1
; COMPUTE_PGM_RSRC2:TGID_Y_EN: 0
; COMPUTE_PGM_RSRC2:TGID_Z_EN: 0
; COMPUTE_PGM_RSRC2:TIDIG_COMP_CNT: 0
	.section	.text._ZN7rocprim17ROCPRIM_400000_NS6detail17trampoline_kernelINS0_14default_configENS1_27upper_bound_config_selectorIilEEZNS1_14transform_implILb0ES3_S5_N6thrust23THRUST_200600_302600_NS6detail15normal_iteratorINS8_7pointerIiNS8_11hip_rocprim3tagENS8_11use_defaultESE_EEEENSA_INSB_IlSD_SE_SE_EEEEZNS1_13binary_searchIS3_S5_NSA_INS8_10device_ptrIiEEEESG_SI_NS1_21upper_bound_search_opENS9_16wrapped_functionINS8_7greaterIiEEbEEEE10hipError_tPvRmT1_T2_T3_mmT4_T5_P12ihipStream_tbEUlRKiE_EESS_SW_SX_mSY_S11_bEUlT_E_NS1_11comp_targetILNS1_3genE5ELNS1_11target_archE942ELNS1_3gpuE9ELNS1_3repE0EEENS1_30default_config_static_selectorELNS0_4arch9wavefront6targetE0EEEvSV_,"axG",@progbits,_ZN7rocprim17ROCPRIM_400000_NS6detail17trampoline_kernelINS0_14default_configENS1_27upper_bound_config_selectorIilEEZNS1_14transform_implILb0ES3_S5_N6thrust23THRUST_200600_302600_NS6detail15normal_iteratorINS8_7pointerIiNS8_11hip_rocprim3tagENS8_11use_defaultESE_EEEENSA_INSB_IlSD_SE_SE_EEEEZNS1_13binary_searchIS3_S5_NSA_INS8_10device_ptrIiEEEESG_SI_NS1_21upper_bound_search_opENS9_16wrapped_functionINS8_7greaterIiEEbEEEE10hipError_tPvRmT1_T2_T3_mmT4_T5_P12ihipStream_tbEUlRKiE_EESS_SW_SX_mSY_S11_bEUlT_E_NS1_11comp_targetILNS1_3genE5ELNS1_11target_archE942ELNS1_3gpuE9ELNS1_3repE0EEENS1_30default_config_static_selectorELNS0_4arch9wavefront6targetE0EEEvSV_,comdat
	.protected	_ZN7rocprim17ROCPRIM_400000_NS6detail17trampoline_kernelINS0_14default_configENS1_27upper_bound_config_selectorIilEEZNS1_14transform_implILb0ES3_S5_N6thrust23THRUST_200600_302600_NS6detail15normal_iteratorINS8_7pointerIiNS8_11hip_rocprim3tagENS8_11use_defaultESE_EEEENSA_INSB_IlSD_SE_SE_EEEEZNS1_13binary_searchIS3_S5_NSA_INS8_10device_ptrIiEEEESG_SI_NS1_21upper_bound_search_opENS9_16wrapped_functionINS8_7greaterIiEEbEEEE10hipError_tPvRmT1_T2_T3_mmT4_T5_P12ihipStream_tbEUlRKiE_EESS_SW_SX_mSY_S11_bEUlT_E_NS1_11comp_targetILNS1_3genE5ELNS1_11target_archE942ELNS1_3gpuE9ELNS1_3repE0EEENS1_30default_config_static_selectorELNS0_4arch9wavefront6targetE0EEEvSV_ ; -- Begin function _ZN7rocprim17ROCPRIM_400000_NS6detail17trampoline_kernelINS0_14default_configENS1_27upper_bound_config_selectorIilEEZNS1_14transform_implILb0ES3_S5_N6thrust23THRUST_200600_302600_NS6detail15normal_iteratorINS8_7pointerIiNS8_11hip_rocprim3tagENS8_11use_defaultESE_EEEENSA_INSB_IlSD_SE_SE_EEEEZNS1_13binary_searchIS3_S5_NSA_INS8_10device_ptrIiEEEESG_SI_NS1_21upper_bound_search_opENS9_16wrapped_functionINS8_7greaterIiEEbEEEE10hipError_tPvRmT1_T2_T3_mmT4_T5_P12ihipStream_tbEUlRKiE_EESS_SW_SX_mSY_S11_bEUlT_E_NS1_11comp_targetILNS1_3genE5ELNS1_11target_archE942ELNS1_3gpuE9ELNS1_3repE0EEENS1_30default_config_static_selectorELNS0_4arch9wavefront6targetE0EEEvSV_
	.globl	_ZN7rocprim17ROCPRIM_400000_NS6detail17trampoline_kernelINS0_14default_configENS1_27upper_bound_config_selectorIilEEZNS1_14transform_implILb0ES3_S5_N6thrust23THRUST_200600_302600_NS6detail15normal_iteratorINS8_7pointerIiNS8_11hip_rocprim3tagENS8_11use_defaultESE_EEEENSA_INSB_IlSD_SE_SE_EEEEZNS1_13binary_searchIS3_S5_NSA_INS8_10device_ptrIiEEEESG_SI_NS1_21upper_bound_search_opENS9_16wrapped_functionINS8_7greaterIiEEbEEEE10hipError_tPvRmT1_T2_T3_mmT4_T5_P12ihipStream_tbEUlRKiE_EESS_SW_SX_mSY_S11_bEUlT_E_NS1_11comp_targetILNS1_3genE5ELNS1_11target_archE942ELNS1_3gpuE9ELNS1_3repE0EEENS1_30default_config_static_selectorELNS0_4arch9wavefront6targetE0EEEvSV_
	.p2align	8
	.type	_ZN7rocprim17ROCPRIM_400000_NS6detail17trampoline_kernelINS0_14default_configENS1_27upper_bound_config_selectorIilEEZNS1_14transform_implILb0ES3_S5_N6thrust23THRUST_200600_302600_NS6detail15normal_iteratorINS8_7pointerIiNS8_11hip_rocprim3tagENS8_11use_defaultESE_EEEENSA_INSB_IlSD_SE_SE_EEEEZNS1_13binary_searchIS3_S5_NSA_INS8_10device_ptrIiEEEESG_SI_NS1_21upper_bound_search_opENS9_16wrapped_functionINS8_7greaterIiEEbEEEE10hipError_tPvRmT1_T2_T3_mmT4_T5_P12ihipStream_tbEUlRKiE_EESS_SW_SX_mSY_S11_bEUlT_E_NS1_11comp_targetILNS1_3genE5ELNS1_11target_archE942ELNS1_3gpuE9ELNS1_3repE0EEENS1_30default_config_static_selectorELNS0_4arch9wavefront6targetE0EEEvSV_,@function
_ZN7rocprim17ROCPRIM_400000_NS6detail17trampoline_kernelINS0_14default_configENS1_27upper_bound_config_selectorIilEEZNS1_14transform_implILb0ES3_S5_N6thrust23THRUST_200600_302600_NS6detail15normal_iteratorINS8_7pointerIiNS8_11hip_rocprim3tagENS8_11use_defaultESE_EEEENSA_INSB_IlSD_SE_SE_EEEEZNS1_13binary_searchIS3_S5_NSA_INS8_10device_ptrIiEEEESG_SI_NS1_21upper_bound_search_opENS9_16wrapped_functionINS8_7greaterIiEEbEEEE10hipError_tPvRmT1_T2_T3_mmT4_T5_P12ihipStream_tbEUlRKiE_EESS_SW_SX_mSY_S11_bEUlT_E_NS1_11comp_targetILNS1_3genE5ELNS1_11target_archE942ELNS1_3gpuE9ELNS1_3repE0EEENS1_30default_config_static_selectorELNS0_4arch9wavefront6targetE0EEEvSV_: ; @_ZN7rocprim17ROCPRIM_400000_NS6detail17trampoline_kernelINS0_14default_configENS1_27upper_bound_config_selectorIilEEZNS1_14transform_implILb0ES3_S5_N6thrust23THRUST_200600_302600_NS6detail15normal_iteratorINS8_7pointerIiNS8_11hip_rocprim3tagENS8_11use_defaultESE_EEEENSA_INSB_IlSD_SE_SE_EEEEZNS1_13binary_searchIS3_S5_NSA_INS8_10device_ptrIiEEEESG_SI_NS1_21upper_bound_search_opENS9_16wrapped_functionINS8_7greaterIiEEbEEEE10hipError_tPvRmT1_T2_T3_mmT4_T5_P12ihipStream_tbEUlRKiE_EESS_SW_SX_mSY_S11_bEUlT_E_NS1_11comp_targetILNS1_3genE5ELNS1_11target_archE942ELNS1_3gpuE9ELNS1_3repE0EEENS1_30default_config_static_selectorELNS0_4arch9wavefront6targetE0EEEvSV_
; %bb.0:
	.section	.rodata,"a",@progbits
	.p2align	6, 0x0
	.amdhsa_kernel _ZN7rocprim17ROCPRIM_400000_NS6detail17trampoline_kernelINS0_14default_configENS1_27upper_bound_config_selectorIilEEZNS1_14transform_implILb0ES3_S5_N6thrust23THRUST_200600_302600_NS6detail15normal_iteratorINS8_7pointerIiNS8_11hip_rocprim3tagENS8_11use_defaultESE_EEEENSA_INSB_IlSD_SE_SE_EEEEZNS1_13binary_searchIS3_S5_NSA_INS8_10device_ptrIiEEEESG_SI_NS1_21upper_bound_search_opENS9_16wrapped_functionINS8_7greaterIiEEbEEEE10hipError_tPvRmT1_T2_T3_mmT4_T5_P12ihipStream_tbEUlRKiE_EESS_SW_SX_mSY_S11_bEUlT_E_NS1_11comp_targetILNS1_3genE5ELNS1_11target_archE942ELNS1_3gpuE9ELNS1_3repE0EEENS1_30default_config_static_selectorELNS0_4arch9wavefront6targetE0EEEvSV_
		.amdhsa_group_segment_fixed_size 0
		.amdhsa_private_segment_fixed_size 0
		.amdhsa_kernarg_size 56
		.amdhsa_user_sgpr_count 2
		.amdhsa_user_sgpr_dispatch_ptr 0
		.amdhsa_user_sgpr_queue_ptr 0
		.amdhsa_user_sgpr_kernarg_segment_ptr 1
		.amdhsa_user_sgpr_dispatch_id 0
		.amdhsa_user_sgpr_kernarg_preload_length 0
		.amdhsa_user_sgpr_kernarg_preload_offset 0
		.amdhsa_user_sgpr_private_segment_size 0
		.amdhsa_wavefront_size32 1
		.amdhsa_uses_dynamic_stack 0
		.amdhsa_enable_private_segment 0
		.amdhsa_system_sgpr_workgroup_id_x 1
		.amdhsa_system_sgpr_workgroup_id_y 0
		.amdhsa_system_sgpr_workgroup_id_z 0
		.amdhsa_system_sgpr_workgroup_info 0
		.amdhsa_system_vgpr_workitem_id 0
		.amdhsa_next_free_vgpr 1
		.amdhsa_next_free_sgpr 1
		.amdhsa_named_barrier_count 0
		.amdhsa_reserve_vcc 0
		.amdhsa_float_round_mode_32 0
		.amdhsa_float_round_mode_16_64 0
		.amdhsa_float_denorm_mode_32 3
		.amdhsa_float_denorm_mode_16_64 3
		.amdhsa_fp16_overflow 0
		.amdhsa_memory_ordered 1
		.amdhsa_forward_progress 1
		.amdhsa_inst_pref_size 0
		.amdhsa_round_robin_scheduling 0
		.amdhsa_exception_fp_ieee_invalid_op 0
		.amdhsa_exception_fp_denorm_src 0
		.amdhsa_exception_fp_ieee_div_zero 0
		.amdhsa_exception_fp_ieee_overflow 0
		.amdhsa_exception_fp_ieee_underflow 0
		.amdhsa_exception_fp_ieee_inexact 0
		.amdhsa_exception_int_div_zero 0
	.end_amdhsa_kernel
	.section	.text._ZN7rocprim17ROCPRIM_400000_NS6detail17trampoline_kernelINS0_14default_configENS1_27upper_bound_config_selectorIilEEZNS1_14transform_implILb0ES3_S5_N6thrust23THRUST_200600_302600_NS6detail15normal_iteratorINS8_7pointerIiNS8_11hip_rocprim3tagENS8_11use_defaultESE_EEEENSA_INSB_IlSD_SE_SE_EEEEZNS1_13binary_searchIS3_S5_NSA_INS8_10device_ptrIiEEEESG_SI_NS1_21upper_bound_search_opENS9_16wrapped_functionINS8_7greaterIiEEbEEEE10hipError_tPvRmT1_T2_T3_mmT4_T5_P12ihipStream_tbEUlRKiE_EESS_SW_SX_mSY_S11_bEUlT_E_NS1_11comp_targetILNS1_3genE5ELNS1_11target_archE942ELNS1_3gpuE9ELNS1_3repE0EEENS1_30default_config_static_selectorELNS0_4arch9wavefront6targetE0EEEvSV_,"axG",@progbits,_ZN7rocprim17ROCPRIM_400000_NS6detail17trampoline_kernelINS0_14default_configENS1_27upper_bound_config_selectorIilEEZNS1_14transform_implILb0ES3_S5_N6thrust23THRUST_200600_302600_NS6detail15normal_iteratorINS8_7pointerIiNS8_11hip_rocprim3tagENS8_11use_defaultESE_EEEENSA_INSB_IlSD_SE_SE_EEEEZNS1_13binary_searchIS3_S5_NSA_INS8_10device_ptrIiEEEESG_SI_NS1_21upper_bound_search_opENS9_16wrapped_functionINS8_7greaterIiEEbEEEE10hipError_tPvRmT1_T2_T3_mmT4_T5_P12ihipStream_tbEUlRKiE_EESS_SW_SX_mSY_S11_bEUlT_E_NS1_11comp_targetILNS1_3genE5ELNS1_11target_archE942ELNS1_3gpuE9ELNS1_3repE0EEENS1_30default_config_static_selectorELNS0_4arch9wavefront6targetE0EEEvSV_,comdat
.Lfunc_end96:
	.size	_ZN7rocprim17ROCPRIM_400000_NS6detail17trampoline_kernelINS0_14default_configENS1_27upper_bound_config_selectorIilEEZNS1_14transform_implILb0ES3_S5_N6thrust23THRUST_200600_302600_NS6detail15normal_iteratorINS8_7pointerIiNS8_11hip_rocprim3tagENS8_11use_defaultESE_EEEENSA_INSB_IlSD_SE_SE_EEEEZNS1_13binary_searchIS3_S5_NSA_INS8_10device_ptrIiEEEESG_SI_NS1_21upper_bound_search_opENS9_16wrapped_functionINS8_7greaterIiEEbEEEE10hipError_tPvRmT1_T2_T3_mmT4_T5_P12ihipStream_tbEUlRKiE_EESS_SW_SX_mSY_S11_bEUlT_E_NS1_11comp_targetILNS1_3genE5ELNS1_11target_archE942ELNS1_3gpuE9ELNS1_3repE0EEENS1_30default_config_static_selectorELNS0_4arch9wavefront6targetE0EEEvSV_, .Lfunc_end96-_ZN7rocprim17ROCPRIM_400000_NS6detail17trampoline_kernelINS0_14default_configENS1_27upper_bound_config_selectorIilEEZNS1_14transform_implILb0ES3_S5_N6thrust23THRUST_200600_302600_NS6detail15normal_iteratorINS8_7pointerIiNS8_11hip_rocprim3tagENS8_11use_defaultESE_EEEENSA_INSB_IlSD_SE_SE_EEEEZNS1_13binary_searchIS3_S5_NSA_INS8_10device_ptrIiEEEESG_SI_NS1_21upper_bound_search_opENS9_16wrapped_functionINS8_7greaterIiEEbEEEE10hipError_tPvRmT1_T2_T3_mmT4_T5_P12ihipStream_tbEUlRKiE_EESS_SW_SX_mSY_S11_bEUlT_E_NS1_11comp_targetILNS1_3genE5ELNS1_11target_archE942ELNS1_3gpuE9ELNS1_3repE0EEENS1_30default_config_static_selectorELNS0_4arch9wavefront6targetE0EEEvSV_
                                        ; -- End function
	.set _ZN7rocprim17ROCPRIM_400000_NS6detail17trampoline_kernelINS0_14default_configENS1_27upper_bound_config_selectorIilEEZNS1_14transform_implILb0ES3_S5_N6thrust23THRUST_200600_302600_NS6detail15normal_iteratorINS8_7pointerIiNS8_11hip_rocprim3tagENS8_11use_defaultESE_EEEENSA_INSB_IlSD_SE_SE_EEEEZNS1_13binary_searchIS3_S5_NSA_INS8_10device_ptrIiEEEESG_SI_NS1_21upper_bound_search_opENS9_16wrapped_functionINS8_7greaterIiEEbEEEE10hipError_tPvRmT1_T2_T3_mmT4_T5_P12ihipStream_tbEUlRKiE_EESS_SW_SX_mSY_S11_bEUlT_E_NS1_11comp_targetILNS1_3genE5ELNS1_11target_archE942ELNS1_3gpuE9ELNS1_3repE0EEENS1_30default_config_static_selectorELNS0_4arch9wavefront6targetE0EEEvSV_.num_vgpr, 0
	.set _ZN7rocprim17ROCPRIM_400000_NS6detail17trampoline_kernelINS0_14default_configENS1_27upper_bound_config_selectorIilEEZNS1_14transform_implILb0ES3_S5_N6thrust23THRUST_200600_302600_NS6detail15normal_iteratorINS8_7pointerIiNS8_11hip_rocprim3tagENS8_11use_defaultESE_EEEENSA_INSB_IlSD_SE_SE_EEEEZNS1_13binary_searchIS3_S5_NSA_INS8_10device_ptrIiEEEESG_SI_NS1_21upper_bound_search_opENS9_16wrapped_functionINS8_7greaterIiEEbEEEE10hipError_tPvRmT1_T2_T3_mmT4_T5_P12ihipStream_tbEUlRKiE_EESS_SW_SX_mSY_S11_bEUlT_E_NS1_11comp_targetILNS1_3genE5ELNS1_11target_archE942ELNS1_3gpuE9ELNS1_3repE0EEENS1_30default_config_static_selectorELNS0_4arch9wavefront6targetE0EEEvSV_.num_agpr, 0
	.set _ZN7rocprim17ROCPRIM_400000_NS6detail17trampoline_kernelINS0_14default_configENS1_27upper_bound_config_selectorIilEEZNS1_14transform_implILb0ES3_S5_N6thrust23THRUST_200600_302600_NS6detail15normal_iteratorINS8_7pointerIiNS8_11hip_rocprim3tagENS8_11use_defaultESE_EEEENSA_INSB_IlSD_SE_SE_EEEEZNS1_13binary_searchIS3_S5_NSA_INS8_10device_ptrIiEEEESG_SI_NS1_21upper_bound_search_opENS9_16wrapped_functionINS8_7greaterIiEEbEEEE10hipError_tPvRmT1_T2_T3_mmT4_T5_P12ihipStream_tbEUlRKiE_EESS_SW_SX_mSY_S11_bEUlT_E_NS1_11comp_targetILNS1_3genE5ELNS1_11target_archE942ELNS1_3gpuE9ELNS1_3repE0EEENS1_30default_config_static_selectorELNS0_4arch9wavefront6targetE0EEEvSV_.numbered_sgpr, 0
	.set _ZN7rocprim17ROCPRIM_400000_NS6detail17trampoline_kernelINS0_14default_configENS1_27upper_bound_config_selectorIilEEZNS1_14transform_implILb0ES3_S5_N6thrust23THRUST_200600_302600_NS6detail15normal_iteratorINS8_7pointerIiNS8_11hip_rocprim3tagENS8_11use_defaultESE_EEEENSA_INSB_IlSD_SE_SE_EEEEZNS1_13binary_searchIS3_S5_NSA_INS8_10device_ptrIiEEEESG_SI_NS1_21upper_bound_search_opENS9_16wrapped_functionINS8_7greaterIiEEbEEEE10hipError_tPvRmT1_T2_T3_mmT4_T5_P12ihipStream_tbEUlRKiE_EESS_SW_SX_mSY_S11_bEUlT_E_NS1_11comp_targetILNS1_3genE5ELNS1_11target_archE942ELNS1_3gpuE9ELNS1_3repE0EEENS1_30default_config_static_selectorELNS0_4arch9wavefront6targetE0EEEvSV_.num_named_barrier, 0
	.set _ZN7rocprim17ROCPRIM_400000_NS6detail17trampoline_kernelINS0_14default_configENS1_27upper_bound_config_selectorIilEEZNS1_14transform_implILb0ES3_S5_N6thrust23THRUST_200600_302600_NS6detail15normal_iteratorINS8_7pointerIiNS8_11hip_rocprim3tagENS8_11use_defaultESE_EEEENSA_INSB_IlSD_SE_SE_EEEEZNS1_13binary_searchIS3_S5_NSA_INS8_10device_ptrIiEEEESG_SI_NS1_21upper_bound_search_opENS9_16wrapped_functionINS8_7greaterIiEEbEEEE10hipError_tPvRmT1_T2_T3_mmT4_T5_P12ihipStream_tbEUlRKiE_EESS_SW_SX_mSY_S11_bEUlT_E_NS1_11comp_targetILNS1_3genE5ELNS1_11target_archE942ELNS1_3gpuE9ELNS1_3repE0EEENS1_30default_config_static_selectorELNS0_4arch9wavefront6targetE0EEEvSV_.private_seg_size, 0
	.set _ZN7rocprim17ROCPRIM_400000_NS6detail17trampoline_kernelINS0_14default_configENS1_27upper_bound_config_selectorIilEEZNS1_14transform_implILb0ES3_S5_N6thrust23THRUST_200600_302600_NS6detail15normal_iteratorINS8_7pointerIiNS8_11hip_rocprim3tagENS8_11use_defaultESE_EEEENSA_INSB_IlSD_SE_SE_EEEEZNS1_13binary_searchIS3_S5_NSA_INS8_10device_ptrIiEEEESG_SI_NS1_21upper_bound_search_opENS9_16wrapped_functionINS8_7greaterIiEEbEEEE10hipError_tPvRmT1_T2_T3_mmT4_T5_P12ihipStream_tbEUlRKiE_EESS_SW_SX_mSY_S11_bEUlT_E_NS1_11comp_targetILNS1_3genE5ELNS1_11target_archE942ELNS1_3gpuE9ELNS1_3repE0EEENS1_30default_config_static_selectorELNS0_4arch9wavefront6targetE0EEEvSV_.uses_vcc, 0
	.set _ZN7rocprim17ROCPRIM_400000_NS6detail17trampoline_kernelINS0_14default_configENS1_27upper_bound_config_selectorIilEEZNS1_14transform_implILb0ES3_S5_N6thrust23THRUST_200600_302600_NS6detail15normal_iteratorINS8_7pointerIiNS8_11hip_rocprim3tagENS8_11use_defaultESE_EEEENSA_INSB_IlSD_SE_SE_EEEEZNS1_13binary_searchIS3_S5_NSA_INS8_10device_ptrIiEEEESG_SI_NS1_21upper_bound_search_opENS9_16wrapped_functionINS8_7greaterIiEEbEEEE10hipError_tPvRmT1_T2_T3_mmT4_T5_P12ihipStream_tbEUlRKiE_EESS_SW_SX_mSY_S11_bEUlT_E_NS1_11comp_targetILNS1_3genE5ELNS1_11target_archE942ELNS1_3gpuE9ELNS1_3repE0EEENS1_30default_config_static_selectorELNS0_4arch9wavefront6targetE0EEEvSV_.uses_flat_scratch, 0
	.set _ZN7rocprim17ROCPRIM_400000_NS6detail17trampoline_kernelINS0_14default_configENS1_27upper_bound_config_selectorIilEEZNS1_14transform_implILb0ES3_S5_N6thrust23THRUST_200600_302600_NS6detail15normal_iteratorINS8_7pointerIiNS8_11hip_rocprim3tagENS8_11use_defaultESE_EEEENSA_INSB_IlSD_SE_SE_EEEEZNS1_13binary_searchIS3_S5_NSA_INS8_10device_ptrIiEEEESG_SI_NS1_21upper_bound_search_opENS9_16wrapped_functionINS8_7greaterIiEEbEEEE10hipError_tPvRmT1_T2_T3_mmT4_T5_P12ihipStream_tbEUlRKiE_EESS_SW_SX_mSY_S11_bEUlT_E_NS1_11comp_targetILNS1_3genE5ELNS1_11target_archE942ELNS1_3gpuE9ELNS1_3repE0EEENS1_30default_config_static_selectorELNS0_4arch9wavefront6targetE0EEEvSV_.has_dyn_sized_stack, 0
	.set _ZN7rocprim17ROCPRIM_400000_NS6detail17trampoline_kernelINS0_14default_configENS1_27upper_bound_config_selectorIilEEZNS1_14transform_implILb0ES3_S5_N6thrust23THRUST_200600_302600_NS6detail15normal_iteratorINS8_7pointerIiNS8_11hip_rocprim3tagENS8_11use_defaultESE_EEEENSA_INSB_IlSD_SE_SE_EEEEZNS1_13binary_searchIS3_S5_NSA_INS8_10device_ptrIiEEEESG_SI_NS1_21upper_bound_search_opENS9_16wrapped_functionINS8_7greaterIiEEbEEEE10hipError_tPvRmT1_T2_T3_mmT4_T5_P12ihipStream_tbEUlRKiE_EESS_SW_SX_mSY_S11_bEUlT_E_NS1_11comp_targetILNS1_3genE5ELNS1_11target_archE942ELNS1_3gpuE9ELNS1_3repE0EEENS1_30default_config_static_selectorELNS0_4arch9wavefront6targetE0EEEvSV_.has_recursion, 0
	.set _ZN7rocprim17ROCPRIM_400000_NS6detail17trampoline_kernelINS0_14default_configENS1_27upper_bound_config_selectorIilEEZNS1_14transform_implILb0ES3_S5_N6thrust23THRUST_200600_302600_NS6detail15normal_iteratorINS8_7pointerIiNS8_11hip_rocprim3tagENS8_11use_defaultESE_EEEENSA_INSB_IlSD_SE_SE_EEEEZNS1_13binary_searchIS3_S5_NSA_INS8_10device_ptrIiEEEESG_SI_NS1_21upper_bound_search_opENS9_16wrapped_functionINS8_7greaterIiEEbEEEE10hipError_tPvRmT1_T2_T3_mmT4_T5_P12ihipStream_tbEUlRKiE_EESS_SW_SX_mSY_S11_bEUlT_E_NS1_11comp_targetILNS1_3genE5ELNS1_11target_archE942ELNS1_3gpuE9ELNS1_3repE0EEENS1_30default_config_static_selectorELNS0_4arch9wavefront6targetE0EEEvSV_.has_indirect_call, 0
	.section	.AMDGPU.csdata,"",@progbits
; Kernel info:
; codeLenInByte = 0
; TotalNumSgprs: 0
; NumVgprs: 0
; ScratchSize: 0
; MemoryBound: 0
; FloatMode: 240
; IeeeMode: 1
; LDSByteSize: 0 bytes/workgroup (compile time only)
; SGPRBlocks: 0
; VGPRBlocks: 0
; NumSGPRsForWavesPerEU: 1
; NumVGPRsForWavesPerEU: 1
; NamedBarCnt: 0
; Occupancy: 16
; WaveLimiterHint : 0
; COMPUTE_PGM_RSRC2:SCRATCH_EN: 0
; COMPUTE_PGM_RSRC2:USER_SGPR: 2
; COMPUTE_PGM_RSRC2:TRAP_HANDLER: 0
; COMPUTE_PGM_RSRC2:TGID_X_EN: 1
; COMPUTE_PGM_RSRC2:TGID_Y_EN: 0
; COMPUTE_PGM_RSRC2:TGID_Z_EN: 0
; COMPUTE_PGM_RSRC2:TIDIG_COMP_CNT: 0
	.section	.text._ZN7rocprim17ROCPRIM_400000_NS6detail17trampoline_kernelINS0_14default_configENS1_27upper_bound_config_selectorIilEEZNS1_14transform_implILb0ES3_S5_N6thrust23THRUST_200600_302600_NS6detail15normal_iteratorINS8_7pointerIiNS8_11hip_rocprim3tagENS8_11use_defaultESE_EEEENSA_INSB_IlSD_SE_SE_EEEEZNS1_13binary_searchIS3_S5_NSA_INS8_10device_ptrIiEEEESG_SI_NS1_21upper_bound_search_opENS9_16wrapped_functionINS8_7greaterIiEEbEEEE10hipError_tPvRmT1_T2_T3_mmT4_T5_P12ihipStream_tbEUlRKiE_EESS_SW_SX_mSY_S11_bEUlT_E_NS1_11comp_targetILNS1_3genE4ELNS1_11target_archE910ELNS1_3gpuE8ELNS1_3repE0EEENS1_30default_config_static_selectorELNS0_4arch9wavefront6targetE0EEEvSV_,"axG",@progbits,_ZN7rocprim17ROCPRIM_400000_NS6detail17trampoline_kernelINS0_14default_configENS1_27upper_bound_config_selectorIilEEZNS1_14transform_implILb0ES3_S5_N6thrust23THRUST_200600_302600_NS6detail15normal_iteratorINS8_7pointerIiNS8_11hip_rocprim3tagENS8_11use_defaultESE_EEEENSA_INSB_IlSD_SE_SE_EEEEZNS1_13binary_searchIS3_S5_NSA_INS8_10device_ptrIiEEEESG_SI_NS1_21upper_bound_search_opENS9_16wrapped_functionINS8_7greaterIiEEbEEEE10hipError_tPvRmT1_T2_T3_mmT4_T5_P12ihipStream_tbEUlRKiE_EESS_SW_SX_mSY_S11_bEUlT_E_NS1_11comp_targetILNS1_3genE4ELNS1_11target_archE910ELNS1_3gpuE8ELNS1_3repE0EEENS1_30default_config_static_selectorELNS0_4arch9wavefront6targetE0EEEvSV_,comdat
	.protected	_ZN7rocprim17ROCPRIM_400000_NS6detail17trampoline_kernelINS0_14default_configENS1_27upper_bound_config_selectorIilEEZNS1_14transform_implILb0ES3_S5_N6thrust23THRUST_200600_302600_NS6detail15normal_iteratorINS8_7pointerIiNS8_11hip_rocprim3tagENS8_11use_defaultESE_EEEENSA_INSB_IlSD_SE_SE_EEEEZNS1_13binary_searchIS3_S5_NSA_INS8_10device_ptrIiEEEESG_SI_NS1_21upper_bound_search_opENS9_16wrapped_functionINS8_7greaterIiEEbEEEE10hipError_tPvRmT1_T2_T3_mmT4_T5_P12ihipStream_tbEUlRKiE_EESS_SW_SX_mSY_S11_bEUlT_E_NS1_11comp_targetILNS1_3genE4ELNS1_11target_archE910ELNS1_3gpuE8ELNS1_3repE0EEENS1_30default_config_static_selectorELNS0_4arch9wavefront6targetE0EEEvSV_ ; -- Begin function _ZN7rocprim17ROCPRIM_400000_NS6detail17trampoline_kernelINS0_14default_configENS1_27upper_bound_config_selectorIilEEZNS1_14transform_implILb0ES3_S5_N6thrust23THRUST_200600_302600_NS6detail15normal_iteratorINS8_7pointerIiNS8_11hip_rocprim3tagENS8_11use_defaultESE_EEEENSA_INSB_IlSD_SE_SE_EEEEZNS1_13binary_searchIS3_S5_NSA_INS8_10device_ptrIiEEEESG_SI_NS1_21upper_bound_search_opENS9_16wrapped_functionINS8_7greaterIiEEbEEEE10hipError_tPvRmT1_T2_T3_mmT4_T5_P12ihipStream_tbEUlRKiE_EESS_SW_SX_mSY_S11_bEUlT_E_NS1_11comp_targetILNS1_3genE4ELNS1_11target_archE910ELNS1_3gpuE8ELNS1_3repE0EEENS1_30default_config_static_selectorELNS0_4arch9wavefront6targetE0EEEvSV_
	.globl	_ZN7rocprim17ROCPRIM_400000_NS6detail17trampoline_kernelINS0_14default_configENS1_27upper_bound_config_selectorIilEEZNS1_14transform_implILb0ES3_S5_N6thrust23THRUST_200600_302600_NS6detail15normal_iteratorINS8_7pointerIiNS8_11hip_rocprim3tagENS8_11use_defaultESE_EEEENSA_INSB_IlSD_SE_SE_EEEEZNS1_13binary_searchIS3_S5_NSA_INS8_10device_ptrIiEEEESG_SI_NS1_21upper_bound_search_opENS9_16wrapped_functionINS8_7greaterIiEEbEEEE10hipError_tPvRmT1_T2_T3_mmT4_T5_P12ihipStream_tbEUlRKiE_EESS_SW_SX_mSY_S11_bEUlT_E_NS1_11comp_targetILNS1_3genE4ELNS1_11target_archE910ELNS1_3gpuE8ELNS1_3repE0EEENS1_30default_config_static_selectorELNS0_4arch9wavefront6targetE0EEEvSV_
	.p2align	8
	.type	_ZN7rocprim17ROCPRIM_400000_NS6detail17trampoline_kernelINS0_14default_configENS1_27upper_bound_config_selectorIilEEZNS1_14transform_implILb0ES3_S5_N6thrust23THRUST_200600_302600_NS6detail15normal_iteratorINS8_7pointerIiNS8_11hip_rocprim3tagENS8_11use_defaultESE_EEEENSA_INSB_IlSD_SE_SE_EEEEZNS1_13binary_searchIS3_S5_NSA_INS8_10device_ptrIiEEEESG_SI_NS1_21upper_bound_search_opENS9_16wrapped_functionINS8_7greaterIiEEbEEEE10hipError_tPvRmT1_T2_T3_mmT4_T5_P12ihipStream_tbEUlRKiE_EESS_SW_SX_mSY_S11_bEUlT_E_NS1_11comp_targetILNS1_3genE4ELNS1_11target_archE910ELNS1_3gpuE8ELNS1_3repE0EEENS1_30default_config_static_selectorELNS0_4arch9wavefront6targetE0EEEvSV_,@function
_ZN7rocprim17ROCPRIM_400000_NS6detail17trampoline_kernelINS0_14default_configENS1_27upper_bound_config_selectorIilEEZNS1_14transform_implILb0ES3_S5_N6thrust23THRUST_200600_302600_NS6detail15normal_iteratorINS8_7pointerIiNS8_11hip_rocprim3tagENS8_11use_defaultESE_EEEENSA_INSB_IlSD_SE_SE_EEEEZNS1_13binary_searchIS3_S5_NSA_INS8_10device_ptrIiEEEESG_SI_NS1_21upper_bound_search_opENS9_16wrapped_functionINS8_7greaterIiEEbEEEE10hipError_tPvRmT1_T2_T3_mmT4_T5_P12ihipStream_tbEUlRKiE_EESS_SW_SX_mSY_S11_bEUlT_E_NS1_11comp_targetILNS1_3genE4ELNS1_11target_archE910ELNS1_3gpuE8ELNS1_3repE0EEENS1_30default_config_static_selectorELNS0_4arch9wavefront6targetE0EEEvSV_: ; @_ZN7rocprim17ROCPRIM_400000_NS6detail17trampoline_kernelINS0_14default_configENS1_27upper_bound_config_selectorIilEEZNS1_14transform_implILb0ES3_S5_N6thrust23THRUST_200600_302600_NS6detail15normal_iteratorINS8_7pointerIiNS8_11hip_rocprim3tagENS8_11use_defaultESE_EEEENSA_INSB_IlSD_SE_SE_EEEEZNS1_13binary_searchIS3_S5_NSA_INS8_10device_ptrIiEEEESG_SI_NS1_21upper_bound_search_opENS9_16wrapped_functionINS8_7greaterIiEEbEEEE10hipError_tPvRmT1_T2_T3_mmT4_T5_P12ihipStream_tbEUlRKiE_EESS_SW_SX_mSY_S11_bEUlT_E_NS1_11comp_targetILNS1_3genE4ELNS1_11target_archE910ELNS1_3gpuE8ELNS1_3repE0EEENS1_30default_config_static_selectorELNS0_4arch9wavefront6targetE0EEEvSV_
; %bb.0:
	.section	.rodata,"a",@progbits
	.p2align	6, 0x0
	.amdhsa_kernel _ZN7rocprim17ROCPRIM_400000_NS6detail17trampoline_kernelINS0_14default_configENS1_27upper_bound_config_selectorIilEEZNS1_14transform_implILb0ES3_S5_N6thrust23THRUST_200600_302600_NS6detail15normal_iteratorINS8_7pointerIiNS8_11hip_rocprim3tagENS8_11use_defaultESE_EEEENSA_INSB_IlSD_SE_SE_EEEEZNS1_13binary_searchIS3_S5_NSA_INS8_10device_ptrIiEEEESG_SI_NS1_21upper_bound_search_opENS9_16wrapped_functionINS8_7greaterIiEEbEEEE10hipError_tPvRmT1_T2_T3_mmT4_T5_P12ihipStream_tbEUlRKiE_EESS_SW_SX_mSY_S11_bEUlT_E_NS1_11comp_targetILNS1_3genE4ELNS1_11target_archE910ELNS1_3gpuE8ELNS1_3repE0EEENS1_30default_config_static_selectorELNS0_4arch9wavefront6targetE0EEEvSV_
		.amdhsa_group_segment_fixed_size 0
		.amdhsa_private_segment_fixed_size 0
		.amdhsa_kernarg_size 56
		.amdhsa_user_sgpr_count 2
		.amdhsa_user_sgpr_dispatch_ptr 0
		.amdhsa_user_sgpr_queue_ptr 0
		.amdhsa_user_sgpr_kernarg_segment_ptr 1
		.amdhsa_user_sgpr_dispatch_id 0
		.amdhsa_user_sgpr_kernarg_preload_length 0
		.amdhsa_user_sgpr_kernarg_preload_offset 0
		.amdhsa_user_sgpr_private_segment_size 0
		.amdhsa_wavefront_size32 1
		.amdhsa_uses_dynamic_stack 0
		.amdhsa_enable_private_segment 0
		.amdhsa_system_sgpr_workgroup_id_x 1
		.amdhsa_system_sgpr_workgroup_id_y 0
		.amdhsa_system_sgpr_workgroup_id_z 0
		.amdhsa_system_sgpr_workgroup_info 0
		.amdhsa_system_vgpr_workitem_id 0
		.amdhsa_next_free_vgpr 1
		.amdhsa_next_free_sgpr 1
		.amdhsa_named_barrier_count 0
		.amdhsa_reserve_vcc 0
		.amdhsa_float_round_mode_32 0
		.amdhsa_float_round_mode_16_64 0
		.amdhsa_float_denorm_mode_32 3
		.amdhsa_float_denorm_mode_16_64 3
		.amdhsa_fp16_overflow 0
		.amdhsa_memory_ordered 1
		.amdhsa_forward_progress 1
		.amdhsa_inst_pref_size 0
		.amdhsa_round_robin_scheduling 0
		.amdhsa_exception_fp_ieee_invalid_op 0
		.amdhsa_exception_fp_denorm_src 0
		.amdhsa_exception_fp_ieee_div_zero 0
		.amdhsa_exception_fp_ieee_overflow 0
		.amdhsa_exception_fp_ieee_underflow 0
		.amdhsa_exception_fp_ieee_inexact 0
		.amdhsa_exception_int_div_zero 0
	.end_amdhsa_kernel
	.section	.text._ZN7rocprim17ROCPRIM_400000_NS6detail17trampoline_kernelINS0_14default_configENS1_27upper_bound_config_selectorIilEEZNS1_14transform_implILb0ES3_S5_N6thrust23THRUST_200600_302600_NS6detail15normal_iteratorINS8_7pointerIiNS8_11hip_rocprim3tagENS8_11use_defaultESE_EEEENSA_INSB_IlSD_SE_SE_EEEEZNS1_13binary_searchIS3_S5_NSA_INS8_10device_ptrIiEEEESG_SI_NS1_21upper_bound_search_opENS9_16wrapped_functionINS8_7greaterIiEEbEEEE10hipError_tPvRmT1_T2_T3_mmT4_T5_P12ihipStream_tbEUlRKiE_EESS_SW_SX_mSY_S11_bEUlT_E_NS1_11comp_targetILNS1_3genE4ELNS1_11target_archE910ELNS1_3gpuE8ELNS1_3repE0EEENS1_30default_config_static_selectorELNS0_4arch9wavefront6targetE0EEEvSV_,"axG",@progbits,_ZN7rocprim17ROCPRIM_400000_NS6detail17trampoline_kernelINS0_14default_configENS1_27upper_bound_config_selectorIilEEZNS1_14transform_implILb0ES3_S5_N6thrust23THRUST_200600_302600_NS6detail15normal_iteratorINS8_7pointerIiNS8_11hip_rocprim3tagENS8_11use_defaultESE_EEEENSA_INSB_IlSD_SE_SE_EEEEZNS1_13binary_searchIS3_S5_NSA_INS8_10device_ptrIiEEEESG_SI_NS1_21upper_bound_search_opENS9_16wrapped_functionINS8_7greaterIiEEbEEEE10hipError_tPvRmT1_T2_T3_mmT4_T5_P12ihipStream_tbEUlRKiE_EESS_SW_SX_mSY_S11_bEUlT_E_NS1_11comp_targetILNS1_3genE4ELNS1_11target_archE910ELNS1_3gpuE8ELNS1_3repE0EEENS1_30default_config_static_selectorELNS0_4arch9wavefront6targetE0EEEvSV_,comdat
.Lfunc_end97:
	.size	_ZN7rocprim17ROCPRIM_400000_NS6detail17trampoline_kernelINS0_14default_configENS1_27upper_bound_config_selectorIilEEZNS1_14transform_implILb0ES3_S5_N6thrust23THRUST_200600_302600_NS6detail15normal_iteratorINS8_7pointerIiNS8_11hip_rocprim3tagENS8_11use_defaultESE_EEEENSA_INSB_IlSD_SE_SE_EEEEZNS1_13binary_searchIS3_S5_NSA_INS8_10device_ptrIiEEEESG_SI_NS1_21upper_bound_search_opENS9_16wrapped_functionINS8_7greaterIiEEbEEEE10hipError_tPvRmT1_T2_T3_mmT4_T5_P12ihipStream_tbEUlRKiE_EESS_SW_SX_mSY_S11_bEUlT_E_NS1_11comp_targetILNS1_3genE4ELNS1_11target_archE910ELNS1_3gpuE8ELNS1_3repE0EEENS1_30default_config_static_selectorELNS0_4arch9wavefront6targetE0EEEvSV_, .Lfunc_end97-_ZN7rocprim17ROCPRIM_400000_NS6detail17trampoline_kernelINS0_14default_configENS1_27upper_bound_config_selectorIilEEZNS1_14transform_implILb0ES3_S5_N6thrust23THRUST_200600_302600_NS6detail15normal_iteratorINS8_7pointerIiNS8_11hip_rocprim3tagENS8_11use_defaultESE_EEEENSA_INSB_IlSD_SE_SE_EEEEZNS1_13binary_searchIS3_S5_NSA_INS8_10device_ptrIiEEEESG_SI_NS1_21upper_bound_search_opENS9_16wrapped_functionINS8_7greaterIiEEbEEEE10hipError_tPvRmT1_T2_T3_mmT4_T5_P12ihipStream_tbEUlRKiE_EESS_SW_SX_mSY_S11_bEUlT_E_NS1_11comp_targetILNS1_3genE4ELNS1_11target_archE910ELNS1_3gpuE8ELNS1_3repE0EEENS1_30default_config_static_selectorELNS0_4arch9wavefront6targetE0EEEvSV_
                                        ; -- End function
	.set _ZN7rocprim17ROCPRIM_400000_NS6detail17trampoline_kernelINS0_14default_configENS1_27upper_bound_config_selectorIilEEZNS1_14transform_implILb0ES3_S5_N6thrust23THRUST_200600_302600_NS6detail15normal_iteratorINS8_7pointerIiNS8_11hip_rocprim3tagENS8_11use_defaultESE_EEEENSA_INSB_IlSD_SE_SE_EEEEZNS1_13binary_searchIS3_S5_NSA_INS8_10device_ptrIiEEEESG_SI_NS1_21upper_bound_search_opENS9_16wrapped_functionINS8_7greaterIiEEbEEEE10hipError_tPvRmT1_T2_T3_mmT4_T5_P12ihipStream_tbEUlRKiE_EESS_SW_SX_mSY_S11_bEUlT_E_NS1_11comp_targetILNS1_3genE4ELNS1_11target_archE910ELNS1_3gpuE8ELNS1_3repE0EEENS1_30default_config_static_selectorELNS0_4arch9wavefront6targetE0EEEvSV_.num_vgpr, 0
	.set _ZN7rocprim17ROCPRIM_400000_NS6detail17trampoline_kernelINS0_14default_configENS1_27upper_bound_config_selectorIilEEZNS1_14transform_implILb0ES3_S5_N6thrust23THRUST_200600_302600_NS6detail15normal_iteratorINS8_7pointerIiNS8_11hip_rocprim3tagENS8_11use_defaultESE_EEEENSA_INSB_IlSD_SE_SE_EEEEZNS1_13binary_searchIS3_S5_NSA_INS8_10device_ptrIiEEEESG_SI_NS1_21upper_bound_search_opENS9_16wrapped_functionINS8_7greaterIiEEbEEEE10hipError_tPvRmT1_T2_T3_mmT4_T5_P12ihipStream_tbEUlRKiE_EESS_SW_SX_mSY_S11_bEUlT_E_NS1_11comp_targetILNS1_3genE4ELNS1_11target_archE910ELNS1_3gpuE8ELNS1_3repE0EEENS1_30default_config_static_selectorELNS0_4arch9wavefront6targetE0EEEvSV_.num_agpr, 0
	.set _ZN7rocprim17ROCPRIM_400000_NS6detail17trampoline_kernelINS0_14default_configENS1_27upper_bound_config_selectorIilEEZNS1_14transform_implILb0ES3_S5_N6thrust23THRUST_200600_302600_NS6detail15normal_iteratorINS8_7pointerIiNS8_11hip_rocprim3tagENS8_11use_defaultESE_EEEENSA_INSB_IlSD_SE_SE_EEEEZNS1_13binary_searchIS3_S5_NSA_INS8_10device_ptrIiEEEESG_SI_NS1_21upper_bound_search_opENS9_16wrapped_functionINS8_7greaterIiEEbEEEE10hipError_tPvRmT1_T2_T3_mmT4_T5_P12ihipStream_tbEUlRKiE_EESS_SW_SX_mSY_S11_bEUlT_E_NS1_11comp_targetILNS1_3genE4ELNS1_11target_archE910ELNS1_3gpuE8ELNS1_3repE0EEENS1_30default_config_static_selectorELNS0_4arch9wavefront6targetE0EEEvSV_.numbered_sgpr, 0
	.set _ZN7rocprim17ROCPRIM_400000_NS6detail17trampoline_kernelINS0_14default_configENS1_27upper_bound_config_selectorIilEEZNS1_14transform_implILb0ES3_S5_N6thrust23THRUST_200600_302600_NS6detail15normal_iteratorINS8_7pointerIiNS8_11hip_rocprim3tagENS8_11use_defaultESE_EEEENSA_INSB_IlSD_SE_SE_EEEEZNS1_13binary_searchIS3_S5_NSA_INS8_10device_ptrIiEEEESG_SI_NS1_21upper_bound_search_opENS9_16wrapped_functionINS8_7greaterIiEEbEEEE10hipError_tPvRmT1_T2_T3_mmT4_T5_P12ihipStream_tbEUlRKiE_EESS_SW_SX_mSY_S11_bEUlT_E_NS1_11comp_targetILNS1_3genE4ELNS1_11target_archE910ELNS1_3gpuE8ELNS1_3repE0EEENS1_30default_config_static_selectorELNS0_4arch9wavefront6targetE0EEEvSV_.num_named_barrier, 0
	.set _ZN7rocprim17ROCPRIM_400000_NS6detail17trampoline_kernelINS0_14default_configENS1_27upper_bound_config_selectorIilEEZNS1_14transform_implILb0ES3_S5_N6thrust23THRUST_200600_302600_NS6detail15normal_iteratorINS8_7pointerIiNS8_11hip_rocprim3tagENS8_11use_defaultESE_EEEENSA_INSB_IlSD_SE_SE_EEEEZNS1_13binary_searchIS3_S5_NSA_INS8_10device_ptrIiEEEESG_SI_NS1_21upper_bound_search_opENS9_16wrapped_functionINS8_7greaterIiEEbEEEE10hipError_tPvRmT1_T2_T3_mmT4_T5_P12ihipStream_tbEUlRKiE_EESS_SW_SX_mSY_S11_bEUlT_E_NS1_11comp_targetILNS1_3genE4ELNS1_11target_archE910ELNS1_3gpuE8ELNS1_3repE0EEENS1_30default_config_static_selectorELNS0_4arch9wavefront6targetE0EEEvSV_.private_seg_size, 0
	.set _ZN7rocprim17ROCPRIM_400000_NS6detail17trampoline_kernelINS0_14default_configENS1_27upper_bound_config_selectorIilEEZNS1_14transform_implILb0ES3_S5_N6thrust23THRUST_200600_302600_NS6detail15normal_iteratorINS8_7pointerIiNS8_11hip_rocprim3tagENS8_11use_defaultESE_EEEENSA_INSB_IlSD_SE_SE_EEEEZNS1_13binary_searchIS3_S5_NSA_INS8_10device_ptrIiEEEESG_SI_NS1_21upper_bound_search_opENS9_16wrapped_functionINS8_7greaterIiEEbEEEE10hipError_tPvRmT1_T2_T3_mmT4_T5_P12ihipStream_tbEUlRKiE_EESS_SW_SX_mSY_S11_bEUlT_E_NS1_11comp_targetILNS1_3genE4ELNS1_11target_archE910ELNS1_3gpuE8ELNS1_3repE0EEENS1_30default_config_static_selectorELNS0_4arch9wavefront6targetE0EEEvSV_.uses_vcc, 0
	.set _ZN7rocprim17ROCPRIM_400000_NS6detail17trampoline_kernelINS0_14default_configENS1_27upper_bound_config_selectorIilEEZNS1_14transform_implILb0ES3_S5_N6thrust23THRUST_200600_302600_NS6detail15normal_iteratorINS8_7pointerIiNS8_11hip_rocprim3tagENS8_11use_defaultESE_EEEENSA_INSB_IlSD_SE_SE_EEEEZNS1_13binary_searchIS3_S5_NSA_INS8_10device_ptrIiEEEESG_SI_NS1_21upper_bound_search_opENS9_16wrapped_functionINS8_7greaterIiEEbEEEE10hipError_tPvRmT1_T2_T3_mmT4_T5_P12ihipStream_tbEUlRKiE_EESS_SW_SX_mSY_S11_bEUlT_E_NS1_11comp_targetILNS1_3genE4ELNS1_11target_archE910ELNS1_3gpuE8ELNS1_3repE0EEENS1_30default_config_static_selectorELNS0_4arch9wavefront6targetE0EEEvSV_.uses_flat_scratch, 0
	.set _ZN7rocprim17ROCPRIM_400000_NS6detail17trampoline_kernelINS0_14default_configENS1_27upper_bound_config_selectorIilEEZNS1_14transform_implILb0ES3_S5_N6thrust23THRUST_200600_302600_NS6detail15normal_iteratorINS8_7pointerIiNS8_11hip_rocprim3tagENS8_11use_defaultESE_EEEENSA_INSB_IlSD_SE_SE_EEEEZNS1_13binary_searchIS3_S5_NSA_INS8_10device_ptrIiEEEESG_SI_NS1_21upper_bound_search_opENS9_16wrapped_functionINS8_7greaterIiEEbEEEE10hipError_tPvRmT1_T2_T3_mmT4_T5_P12ihipStream_tbEUlRKiE_EESS_SW_SX_mSY_S11_bEUlT_E_NS1_11comp_targetILNS1_3genE4ELNS1_11target_archE910ELNS1_3gpuE8ELNS1_3repE0EEENS1_30default_config_static_selectorELNS0_4arch9wavefront6targetE0EEEvSV_.has_dyn_sized_stack, 0
	.set _ZN7rocprim17ROCPRIM_400000_NS6detail17trampoline_kernelINS0_14default_configENS1_27upper_bound_config_selectorIilEEZNS1_14transform_implILb0ES3_S5_N6thrust23THRUST_200600_302600_NS6detail15normal_iteratorINS8_7pointerIiNS8_11hip_rocprim3tagENS8_11use_defaultESE_EEEENSA_INSB_IlSD_SE_SE_EEEEZNS1_13binary_searchIS3_S5_NSA_INS8_10device_ptrIiEEEESG_SI_NS1_21upper_bound_search_opENS9_16wrapped_functionINS8_7greaterIiEEbEEEE10hipError_tPvRmT1_T2_T3_mmT4_T5_P12ihipStream_tbEUlRKiE_EESS_SW_SX_mSY_S11_bEUlT_E_NS1_11comp_targetILNS1_3genE4ELNS1_11target_archE910ELNS1_3gpuE8ELNS1_3repE0EEENS1_30default_config_static_selectorELNS0_4arch9wavefront6targetE0EEEvSV_.has_recursion, 0
	.set _ZN7rocprim17ROCPRIM_400000_NS6detail17trampoline_kernelINS0_14default_configENS1_27upper_bound_config_selectorIilEEZNS1_14transform_implILb0ES3_S5_N6thrust23THRUST_200600_302600_NS6detail15normal_iteratorINS8_7pointerIiNS8_11hip_rocprim3tagENS8_11use_defaultESE_EEEENSA_INSB_IlSD_SE_SE_EEEEZNS1_13binary_searchIS3_S5_NSA_INS8_10device_ptrIiEEEESG_SI_NS1_21upper_bound_search_opENS9_16wrapped_functionINS8_7greaterIiEEbEEEE10hipError_tPvRmT1_T2_T3_mmT4_T5_P12ihipStream_tbEUlRKiE_EESS_SW_SX_mSY_S11_bEUlT_E_NS1_11comp_targetILNS1_3genE4ELNS1_11target_archE910ELNS1_3gpuE8ELNS1_3repE0EEENS1_30default_config_static_selectorELNS0_4arch9wavefront6targetE0EEEvSV_.has_indirect_call, 0
	.section	.AMDGPU.csdata,"",@progbits
; Kernel info:
; codeLenInByte = 0
; TotalNumSgprs: 0
; NumVgprs: 0
; ScratchSize: 0
; MemoryBound: 0
; FloatMode: 240
; IeeeMode: 1
; LDSByteSize: 0 bytes/workgroup (compile time only)
; SGPRBlocks: 0
; VGPRBlocks: 0
; NumSGPRsForWavesPerEU: 1
; NumVGPRsForWavesPerEU: 1
; NamedBarCnt: 0
; Occupancy: 16
; WaveLimiterHint : 0
; COMPUTE_PGM_RSRC2:SCRATCH_EN: 0
; COMPUTE_PGM_RSRC2:USER_SGPR: 2
; COMPUTE_PGM_RSRC2:TRAP_HANDLER: 0
; COMPUTE_PGM_RSRC2:TGID_X_EN: 1
; COMPUTE_PGM_RSRC2:TGID_Y_EN: 0
; COMPUTE_PGM_RSRC2:TGID_Z_EN: 0
; COMPUTE_PGM_RSRC2:TIDIG_COMP_CNT: 0
	.section	.text._ZN7rocprim17ROCPRIM_400000_NS6detail17trampoline_kernelINS0_14default_configENS1_27upper_bound_config_selectorIilEEZNS1_14transform_implILb0ES3_S5_N6thrust23THRUST_200600_302600_NS6detail15normal_iteratorINS8_7pointerIiNS8_11hip_rocprim3tagENS8_11use_defaultESE_EEEENSA_INSB_IlSD_SE_SE_EEEEZNS1_13binary_searchIS3_S5_NSA_INS8_10device_ptrIiEEEESG_SI_NS1_21upper_bound_search_opENS9_16wrapped_functionINS8_7greaterIiEEbEEEE10hipError_tPvRmT1_T2_T3_mmT4_T5_P12ihipStream_tbEUlRKiE_EESS_SW_SX_mSY_S11_bEUlT_E_NS1_11comp_targetILNS1_3genE3ELNS1_11target_archE908ELNS1_3gpuE7ELNS1_3repE0EEENS1_30default_config_static_selectorELNS0_4arch9wavefront6targetE0EEEvSV_,"axG",@progbits,_ZN7rocprim17ROCPRIM_400000_NS6detail17trampoline_kernelINS0_14default_configENS1_27upper_bound_config_selectorIilEEZNS1_14transform_implILb0ES3_S5_N6thrust23THRUST_200600_302600_NS6detail15normal_iteratorINS8_7pointerIiNS8_11hip_rocprim3tagENS8_11use_defaultESE_EEEENSA_INSB_IlSD_SE_SE_EEEEZNS1_13binary_searchIS3_S5_NSA_INS8_10device_ptrIiEEEESG_SI_NS1_21upper_bound_search_opENS9_16wrapped_functionINS8_7greaterIiEEbEEEE10hipError_tPvRmT1_T2_T3_mmT4_T5_P12ihipStream_tbEUlRKiE_EESS_SW_SX_mSY_S11_bEUlT_E_NS1_11comp_targetILNS1_3genE3ELNS1_11target_archE908ELNS1_3gpuE7ELNS1_3repE0EEENS1_30default_config_static_selectorELNS0_4arch9wavefront6targetE0EEEvSV_,comdat
	.protected	_ZN7rocprim17ROCPRIM_400000_NS6detail17trampoline_kernelINS0_14default_configENS1_27upper_bound_config_selectorIilEEZNS1_14transform_implILb0ES3_S5_N6thrust23THRUST_200600_302600_NS6detail15normal_iteratorINS8_7pointerIiNS8_11hip_rocprim3tagENS8_11use_defaultESE_EEEENSA_INSB_IlSD_SE_SE_EEEEZNS1_13binary_searchIS3_S5_NSA_INS8_10device_ptrIiEEEESG_SI_NS1_21upper_bound_search_opENS9_16wrapped_functionINS8_7greaterIiEEbEEEE10hipError_tPvRmT1_T2_T3_mmT4_T5_P12ihipStream_tbEUlRKiE_EESS_SW_SX_mSY_S11_bEUlT_E_NS1_11comp_targetILNS1_3genE3ELNS1_11target_archE908ELNS1_3gpuE7ELNS1_3repE0EEENS1_30default_config_static_selectorELNS0_4arch9wavefront6targetE0EEEvSV_ ; -- Begin function _ZN7rocprim17ROCPRIM_400000_NS6detail17trampoline_kernelINS0_14default_configENS1_27upper_bound_config_selectorIilEEZNS1_14transform_implILb0ES3_S5_N6thrust23THRUST_200600_302600_NS6detail15normal_iteratorINS8_7pointerIiNS8_11hip_rocprim3tagENS8_11use_defaultESE_EEEENSA_INSB_IlSD_SE_SE_EEEEZNS1_13binary_searchIS3_S5_NSA_INS8_10device_ptrIiEEEESG_SI_NS1_21upper_bound_search_opENS9_16wrapped_functionINS8_7greaterIiEEbEEEE10hipError_tPvRmT1_T2_T3_mmT4_T5_P12ihipStream_tbEUlRKiE_EESS_SW_SX_mSY_S11_bEUlT_E_NS1_11comp_targetILNS1_3genE3ELNS1_11target_archE908ELNS1_3gpuE7ELNS1_3repE0EEENS1_30default_config_static_selectorELNS0_4arch9wavefront6targetE0EEEvSV_
	.globl	_ZN7rocprim17ROCPRIM_400000_NS6detail17trampoline_kernelINS0_14default_configENS1_27upper_bound_config_selectorIilEEZNS1_14transform_implILb0ES3_S5_N6thrust23THRUST_200600_302600_NS6detail15normal_iteratorINS8_7pointerIiNS8_11hip_rocprim3tagENS8_11use_defaultESE_EEEENSA_INSB_IlSD_SE_SE_EEEEZNS1_13binary_searchIS3_S5_NSA_INS8_10device_ptrIiEEEESG_SI_NS1_21upper_bound_search_opENS9_16wrapped_functionINS8_7greaterIiEEbEEEE10hipError_tPvRmT1_T2_T3_mmT4_T5_P12ihipStream_tbEUlRKiE_EESS_SW_SX_mSY_S11_bEUlT_E_NS1_11comp_targetILNS1_3genE3ELNS1_11target_archE908ELNS1_3gpuE7ELNS1_3repE0EEENS1_30default_config_static_selectorELNS0_4arch9wavefront6targetE0EEEvSV_
	.p2align	8
	.type	_ZN7rocprim17ROCPRIM_400000_NS6detail17trampoline_kernelINS0_14default_configENS1_27upper_bound_config_selectorIilEEZNS1_14transform_implILb0ES3_S5_N6thrust23THRUST_200600_302600_NS6detail15normal_iteratorINS8_7pointerIiNS8_11hip_rocprim3tagENS8_11use_defaultESE_EEEENSA_INSB_IlSD_SE_SE_EEEEZNS1_13binary_searchIS3_S5_NSA_INS8_10device_ptrIiEEEESG_SI_NS1_21upper_bound_search_opENS9_16wrapped_functionINS8_7greaterIiEEbEEEE10hipError_tPvRmT1_T2_T3_mmT4_T5_P12ihipStream_tbEUlRKiE_EESS_SW_SX_mSY_S11_bEUlT_E_NS1_11comp_targetILNS1_3genE3ELNS1_11target_archE908ELNS1_3gpuE7ELNS1_3repE0EEENS1_30default_config_static_selectorELNS0_4arch9wavefront6targetE0EEEvSV_,@function
_ZN7rocprim17ROCPRIM_400000_NS6detail17trampoline_kernelINS0_14default_configENS1_27upper_bound_config_selectorIilEEZNS1_14transform_implILb0ES3_S5_N6thrust23THRUST_200600_302600_NS6detail15normal_iteratorINS8_7pointerIiNS8_11hip_rocprim3tagENS8_11use_defaultESE_EEEENSA_INSB_IlSD_SE_SE_EEEEZNS1_13binary_searchIS3_S5_NSA_INS8_10device_ptrIiEEEESG_SI_NS1_21upper_bound_search_opENS9_16wrapped_functionINS8_7greaterIiEEbEEEE10hipError_tPvRmT1_T2_T3_mmT4_T5_P12ihipStream_tbEUlRKiE_EESS_SW_SX_mSY_S11_bEUlT_E_NS1_11comp_targetILNS1_3genE3ELNS1_11target_archE908ELNS1_3gpuE7ELNS1_3repE0EEENS1_30default_config_static_selectorELNS0_4arch9wavefront6targetE0EEEvSV_: ; @_ZN7rocprim17ROCPRIM_400000_NS6detail17trampoline_kernelINS0_14default_configENS1_27upper_bound_config_selectorIilEEZNS1_14transform_implILb0ES3_S5_N6thrust23THRUST_200600_302600_NS6detail15normal_iteratorINS8_7pointerIiNS8_11hip_rocprim3tagENS8_11use_defaultESE_EEEENSA_INSB_IlSD_SE_SE_EEEEZNS1_13binary_searchIS3_S5_NSA_INS8_10device_ptrIiEEEESG_SI_NS1_21upper_bound_search_opENS9_16wrapped_functionINS8_7greaterIiEEbEEEE10hipError_tPvRmT1_T2_T3_mmT4_T5_P12ihipStream_tbEUlRKiE_EESS_SW_SX_mSY_S11_bEUlT_E_NS1_11comp_targetILNS1_3genE3ELNS1_11target_archE908ELNS1_3gpuE7ELNS1_3repE0EEENS1_30default_config_static_selectorELNS0_4arch9wavefront6targetE0EEEvSV_
; %bb.0:
	.section	.rodata,"a",@progbits
	.p2align	6, 0x0
	.amdhsa_kernel _ZN7rocprim17ROCPRIM_400000_NS6detail17trampoline_kernelINS0_14default_configENS1_27upper_bound_config_selectorIilEEZNS1_14transform_implILb0ES3_S5_N6thrust23THRUST_200600_302600_NS6detail15normal_iteratorINS8_7pointerIiNS8_11hip_rocprim3tagENS8_11use_defaultESE_EEEENSA_INSB_IlSD_SE_SE_EEEEZNS1_13binary_searchIS3_S5_NSA_INS8_10device_ptrIiEEEESG_SI_NS1_21upper_bound_search_opENS9_16wrapped_functionINS8_7greaterIiEEbEEEE10hipError_tPvRmT1_T2_T3_mmT4_T5_P12ihipStream_tbEUlRKiE_EESS_SW_SX_mSY_S11_bEUlT_E_NS1_11comp_targetILNS1_3genE3ELNS1_11target_archE908ELNS1_3gpuE7ELNS1_3repE0EEENS1_30default_config_static_selectorELNS0_4arch9wavefront6targetE0EEEvSV_
		.amdhsa_group_segment_fixed_size 0
		.amdhsa_private_segment_fixed_size 0
		.amdhsa_kernarg_size 56
		.amdhsa_user_sgpr_count 2
		.amdhsa_user_sgpr_dispatch_ptr 0
		.amdhsa_user_sgpr_queue_ptr 0
		.amdhsa_user_sgpr_kernarg_segment_ptr 1
		.amdhsa_user_sgpr_dispatch_id 0
		.amdhsa_user_sgpr_kernarg_preload_length 0
		.amdhsa_user_sgpr_kernarg_preload_offset 0
		.amdhsa_user_sgpr_private_segment_size 0
		.amdhsa_wavefront_size32 1
		.amdhsa_uses_dynamic_stack 0
		.amdhsa_enable_private_segment 0
		.amdhsa_system_sgpr_workgroup_id_x 1
		.amdhsa_system_sgpr_workgroup_id_y 0
		.amdhsa_system_sgpr_workgroup_id_z 0
		.amdhsa_system_sgpr_workgroup_info 0
		.amdhsa_system_vgpr_workitem_id 0
		.amdhsa_next_free_vgpr 1
		.amdhsa_next_free_sgpr 1
		.amdhsa_named_barrier_count 0
		.amdhsa_reserve_vcc 0
		.amdhsa_float_round_mode_32 0
		.amdhsa_float_round_mode_16_64 0
		.amdhsa_float_denorm_mode_32 3
		.amdhsa_float_denorm_mode_16_64 3
		.amdhsa_fp16_overflow 0
		.amdhsa_memory_ordered 1
		.amdhsa_forward_progress 1
		.amdhsa_inst_pref_size 0
		.amdhsa_round_robin_scheduling 0
		.amdhsa_exception_fp_ieee_invalid_op 0
		.amdhsa_exception_fp_denorm_src 0
		.amdhsa_exception_fp_ieee_div_zero 0
		.amdhsa_exception_fp_ieee_overflow 0
		.amdhsa_exception_fp_ieee_underflow 0
		.amdhsa_exception_fp_ieee_inexact 0
		.amdhsa_exception_int_div_zero 0
	.end_amdhsa_kernel
	.section	.text._ZN7rocprim17ROCPRIM_400000_NS6detail17trampoline_kernelINS0_14default_configENS1_27upper_bound_config_selectorIilEEZNS1_14transform_implILb0ES3_S5_N6thrust23THRUST_200600_302600_NS6detail15normal_iteratorINS8_7pointerIiNS8_11hip_rocprim3tagENS8_11use_defaultESE_EEEENSA_INSB_IlSD_SE_SE_EEEEZNS1_13binary_searchIS3_S5_NSA_INS8_10device_ptrIiEEEESG_SI_NS1_21upper_bound_search_opENS9_16wrapped_functionINS8_7greaterIiEEbEEEE10hipError_tPvRmT1_T2_T3_mmT4_T5_P12ihipStream_tbEUlRKiE_EESS_SW_SX_mSY_S11_bEUlT_E_NS1_11comp_targetILNS1_3genE3ELNS1_11target_archE908ELNS1_3gpuE7ELNS1_3repE0EEENS1_30default_config_static_selectorELNS0_4arch9wavefront6targetE0EEEvSV_,"axG",@progbits,_ZN7rocprim17ROCPRIM_400000_NS6detail17trampoline_kernelINS0_14default_configENS1_27upper_bound_config_selectorIilEEZNS1_14transform_implILb0ES3_S5_N6thrust23THRUST_200600_302600_NS6detail15normal_iteratorINS8_7pointerIiNS8_11hip_rocprim3tagENS8_11use_defaultESE_EEEENSA_INSB_IlSD_SE_SE_EEEEZNS1_13binary_searchIS3_S5_NSA_INS8_10device_ptrIiEEEESG_SI_NS1_21upper_bound_search_opENS9_16wrapped_functionINS8_7greaterIiEEbEEEE10hipError_tPvRmT1_T2_T3_mmT4_T5_P12ihipStream_tbEUlRKiE_EESS_SW_SX_mSY_S11_bEUlT_E_NS1_11comp_targetILNS1_3genE3ELNS1_11target_archE908ELNS1_3gpuE7ELNS1_3repE0EEENS1_30default_config_static_selectorELNS0_4arch9wavefront6targetE0EEEvSV_,comdat
.Lfunc_end98:
	.size	_ZN7rocprim17ROCPRIM_400000_NS6detail17trampoline_kernelINS0_14default_configENS1_27upper_bound_config_selectorIilEEZNS1_14transform_implILb0ES3_S5_N6thrust23THRUST_200600_302600_NS6detail15normal_iteratorINS8_7pointerIiNS8_11hip_rocprim3tagENS8_11use_defaultESE_EEEENSA_INSB_IlSD_SE_SE_EEEEZNS1_13binary_searchIS3_S5_NSA_INS8_10device_ptrIiEEEESG_SI_NS1_21upper_bound_search_opENS9_16wrapped_functionINS8_7greaterIiEEbEEEE10hipError_tPvRmT1_T2_T3_mmT4_T5_P12ihipStream_tbEUlRKiE_EESS_SW_SX_mSY_S11_bEUlT_E_NS1_11comp_targetILNS1_3genE3ELNS1_11target_archE908ELNS1_3gpuE7ELNS1_3repE0EEENS1_30default_config_static_selectorELNS0_4arch9wavefront6targetE0EEEvSV_, .Lfunc_end98-_ZN7rocprim17ROCPRIM_400000_NS6detail17trampoline_kernelINS0_14default_configENS1_27upper_bound_config_selectorIilEEZNS1_14transform_implILb0ES3_S5_N6thrust23THRUST_200600_302600_NS6detail15normal_iteratorINS8_7pointerIiNS8_11hip_rocprim3tagENS8_11use_defaultESE_EEEENSA_INSB_IlSD_SE_SE_EEEEZNS1_13binary_searchIS3_S5_NSA_INS8_10device_ptrIiEEEESG_SI_NS1_21upper_bound_search_opENS9_16wrapped_functionINS8_7greaterIiEEbEEEE10hipError_tPvRmT1_T2_T3_mmT4_T5_P12ihipStream_tbEUlRKiE_EESS_SW_SX_mSY_S11_bEUlT_E_NS1_11comp_targetILNS1_3genE3ELNS1_11target_archE908ELNS1_3gpuE7ELNS1_3repE0EEENS1_30default_config_static_selectorELNS0_4arch9wavefront6targetE0EEEvSV_
                                        ; -- End function
	.set _ZN7rocprim17ROCPRIM_400000_NS6detail17trampoline_kernelINS0_14default_configENS1_27upper_bound_config_selectorIilEEZNS1_14transform_implILb0ES3_S5_N6thrust23THRUST_200600_302600_NS6detail15normal_iteratorINS8_7pointerIiNS8_11hip_rocprim3tagENS8_11use_defaultESE_EEEENSA_INSB_IlSD_SE_SE_EEEEZNS1_13binary_searchIS3_S5_NSA_INS8_10device_ptrIiEEEESG_SI_NS1_21upper_bound_search_opENS9_16wrapped_functionINS8_7greaterIiEEbEEEE10hipError_tPvRmT1_T2_T3_mmT4_T5_P12ihipStream_tbEUlRKiE_EESS_SW_SX_mSY_S11_bEUlT_E_NS1_11comp_targetILNS1_3genE3ELNS1_11target_archE908ELNS1_3gpuE7ELNS1_3repE0EEENS1_30default_config_static_selectorELNS0_4arch9wavefront6targetE0EEEvSV_.num_vgpr, 0
	.set _ZN7rocprim17ROCPRIM_400000_NS6detail17trampoline_kernelINS0_14default_configENS1_27upper_bound_config_selectorIilEEZNS1_14transform_implILb0ES3_S5_N6thrust23THRUST_200600_302600_NS6detail15normal_iteratorINS8_7pointerIiNS8_11hip_rocprim3tagENS8_11use_defaultESE_EEEENSA_INSB_IlSD_SE_SE_EEEEZNS1_13binary_searchIS3_S5_NSA_INS8_10device_ptrIiEEEESG_SI_NS1_21upper_bound_search_opENS9_16wrapped_functionINS8_7greaterIiEEbEEEE10hipError_tPvRmT1_T2_T3_mmT4_T5_P12ihipStream_tbEUlRKiE_EESS_SW_SX_mSY_S11_bEUlT_E_NS1_11comp_targetILNS1_3genE3ELNS1_11target_archE908ELNS1_3gpuE7ELNS1_3repE0EEENS1_30default_config_static_selectorELNS0_4arch9wavefront6targetE0EEEvSV_.num_agpr, 0
	.set _ZN7rocprim17ROCPRIM_400000_NS6detail17trampoline_kernelINS0_14default_configENS1_27upper_bound_config_selectorIilEEZNS1_14transform_implILb0ES3_S5_N6thrust23THRUST_200600_302600_NS6detail15normal_iteratorINS8_7pointerIiNS8_11hip_rocprim3tagENS8_11use_defaultESE_EEEENSA_INSB_IlSD_SE_SE_EEEEZNS1_13binary_searchIS3_S5_NSA_INS8_10device_ptrIiEEEESG_SI_NS1_21upper_bound_search_opENS9_16wrapped_functionINS8_7greaterIiEEbEEEE10hipError_tPvRmT1_T2_T3_mmT4_T5_P12ihipStream_tbEUlRKiE_EESS_SW_SX_mSY_S11_bEUlT_E_NS1_11comp_targetILNS1_3genE3ELNS1_11target_archE908ELNS1_3gpuE7ELNS1_3repE0EEENS1_30default_config_static_selectorELNS0_4arch9wavefront6targetE0EEEvSV_.numbered_sgpr, 0
	.set _ZN7rocprim17ROCPRIM_400000_NS6detail17trampoline_kernelINS0_14default_configENS1_27upper_bound_config_selectorIilEEZNS1_14transform_implILb0ES3_S5_N6thrust23THRUST_200600_302600_NS6detail15normal_iteratorINS8_7pointerIiNS8_11hip_rocprim3tagENS8_11use_defaultESE_EEEENSA_INSB_IlSD_SE_SE_EEEEZNS1_13binary_searchIS3_S5_NSA_INS8_10device_ptrIiEEEESG_SI_NS1_21upper_bound_search_opENS9_16wrapped_functionINS8_7greaterIiEEbEEEE10hipError_tPvRmT1_T2_T3_mmT4_T5_P12ihipStream_tbEUlRKiE_EESS_SW_SX_mSY_S11_bEUlT_E_NS1_11comp_targetILNS1_3genE3ELNS1_11target_archE908ELNS1_3gpuE7ELNS1_3repE0EEENS1_30default_config_static_selectorELNS0_4arch9wavefront6targetE0EEEvSV_.num_named_barrier, 0
	.set _ZN7rocprim17ROCPRIM_400000_NS6detail17trampoline_kernelINS0_14default_configENS1_27upper_bound_config_selectorIilEEZNS1_14transform_implILb0ES3_S5_N6thrust23THRUST_200600_302600_NS6detail15normal_iteratorINS8_7pointerIiNS8_11hip_rocprim3tagENS8_11use_defaultESE_EEEENSA_INSB_IlSD_SE_SE_EEEEZNS1_13binary_searchIS3_S5_NSA_INS8_10device_ptrIiEEEESG_SI_NS1_21upper_bound_search_opENS9_16wrapped_functionINS8_7greaterIiEEbEEEE10hipError_tPvRmT1_T2_T3_mmT4_T5_P12ihipStream_tbEUlRKiE_EESS_SW_SX_mSY_S11_bEUlT_E_NS1_11comp_targetILNS1_3genE3ELNS1_11target_archE908ELNS1_3gpuE7ELNS1_3repE0EEENS1_30default_config_static_selectorELNS0_4arch9wavefront6targetE0EEEvSV_.private_seg_size, 0
	.set _ZN7rocprim17ROCPRIM_400000_NS6detail17trampoline_kernelINS0_14default_configENS1_27upper_bound_config_selectorIilEEZNS1_14transform_implILb0ES3_S5_N6thrust23THRUST_200600_302600_NS6detail15normal_iteratorINS8_7pointerIiNS8_11hip_rocprim3tagENS8_11use_defaultESE_EEEENSA_INSB_IlSD_SE_SE_EEEEZNS1_13binary_searchIS3_S5_NSA_INS8_10device_ptrIiEEEESG_SI_NS1_21upper_bound_search_opENS9_16wrapped_functionINS8_7greaterIiEEbEEEE10hipError_tPvRmT1_T2_T3_mmT4_T5_P12ihipStream_tbEUlRKiE_EESS_SW_SX_mSY_S11_bEUlT_E_NS1_11comp_targetILNS1_3genE3ELNS1_11target_archE908ELNS1_3gpuE7ELNS1_3repE0EEENS1_30default_config_static_selectorELNS0_4arch9wavefront6targetE0EEEvSV_.uses_vcc, 0
	.set _ZN7rocprim17ROCPRIM_400000_NS6detail17trampoline_kernelINS0_14default_configENS1_27upper_bound_config_selectorIilEEZNS1_14transform_implILb0ES3_S5_N6thrust23THRUST_200600_302600_NS6detail15normal_iteratorINS8_7pointerIiNS8_11hip_rocprim3tagENS8_11use_defaultESE_EEEENSA_INSB_IlSD_SE_SE_EEEEZNS1_13binary_searchIS3_S5_NSA_INS8_10device_ptrIiEEEESG_SI_NS1_21upper_bound_search_opENS9_16wrapped_functionINS8_7greaterIiEEbEEEE10hipError_tPvRmT1_T2_T3_mmT4_T5_P12ihipStream_tbEUlRKiE_EESS_SW_SX_mSY_S11_bEUlT_E_NS1_11comp_targetILNS1_3genE3ELNS1_11target_archE908ELNS1_3gpuE7ELNS1_3repE0EEENS1_30default_config_static_selectorELNS0_4arch9wavefront6targetE0EEEvSV_.uses_flat_scratch, 0
	.set _ZN7rocprim17ROCPRIM_400000_NS6detail17trampoline_kernelINS0_14default_configENS1_27upper_bound_config_selectorIilEEZNS1_14transform_implILb0ES3_S5_N6thrust23THRUST_200600_302600_NS6detail15normal_iteratorINS8_7pointerIiNS8_11hip_rocprim3tagENS8_11use_defaultESE_EEEENSA_INSB_IlSD_SE_SE_EEEEZNS1_13binary_searchIS3_S5_NSA_INS8_10device_ptrIiEEEESG_SI_NS1_21upper_bound_search_opENS9_16wrapped_functionINS8_7greaterIiEEbEEEE10hipError_tPvRmT1_T2_T3_mmT4_T5_P12ihipStream_tbEUlRKiE_EESS_SW_SX_mSY_S11_bEUlT_E_NS1_11comp_targetILNS1_3genE3ELNS1_11target_archE908ELNS1_3gpuE7ELNS1_3repE0EEENS1_30default_config_static_selectorELNS0_4arch9wavefront6targetE0EEEvSV_.has_dyn_sized_stack, 0
	.set _ZN7rocprim17ROCPRIM_400000_NS6detail17trampoline_kernelINS0_14default_configENS1_27upper_bound_config_selectorIilEEZNS1_14transform_implILb0ES3_S5_N6thrust23THRUST_200600_302600_NS6detail15normal_iteratorINS8_7pointerIiNS8_11hip_rocprim3tagENS8_11use_defaultESE_EEEENSA_INSB_IlSD_SE_SE_EEEEZNS1_13binary_searchIS3_S5_NSA_INS8_10device_ptrIiEEEESG_SI_NS1_21upper_bound_search_opENS9_16wrapped_functionINS8_7greaterIiEEbEEEE10hipError_tPvRmT1_T2_T3_mmT4_T5_P12ihipStream_tbEUlRKiE_EESS_SW_SX_mSY_S11_bEUlT_E_NS1_11comp_targetILNS1_3genE3ELNS1_11target_archE908ELNS1_3gpuE7ELNS1_3repE0EEENS1_30default_config_static_selectorELNS0_4arch9wavefront6targetE0EEEvSV_.has_recursion, 0
	.set _ZN7rocprim17ROCPRIM_400000_NS6detail17trampoline_kernelINS0_14default_configENS1_27upper_bound_config_selectorIilEEZNS1_14transform_implILb0ES3_S5_N6thrust23THRUST_200600_302600_NS6detail15normal_iteratorINS8_7pointerIiNS8_11hip_rocprim3tagENS8_11use_defaultESE_EEEENSA_INSB_IlSD_SE_SE_EEEEZNS1_13binary_searchIS3_S5_NSA_INS8_10device_ptrIiEEEESG_SI_NS1_21upper_bound_search_opENS9_16wrapped_functionINS8_7greaterIiEEbEEEE10hipError_tPvRmT1_T2_T3_mmT4_T5_P12ihipStream_tbEUlRKiE_EESS_SW_SX_mSY_S11_bEUlT_E_NS1_11comp_targetILNS1_3genE3ELNS1_11target_archE908ELNS1_3gpuE7ELNS1_3repE0EEENS1_30default_config_static_selectorELNS0_4arch9wavefront6targetE0EEEvSV_.has_indirect_call, 0
	.section	.AMDGPU.csdata,"",@progbits
; Kernel info:
; codeLenInByte = 0
; TotalNumSgprs: 0
; NumVgprs: 0
; ScratchSize: 0
; MemoryBound: 0
; FloatMode: 240
; IeeeMode: 1
; LDSByteSize: 0 bytes/workgroup (compile time only)
; SGPRBlocks: 0
; VGPRBlocks: 0
; NumSGPRsForWavesPerEU: 1
; NumVGPRsForWavesPerEU: 1
; NamedBarCnt: 0
; Occupancy: 16
; WaveLimiterHint : 0
; COMPUTE_PGM_RSRC2:SCRATCH_EN: 0
; COMPUTE_PGM_RSRC2:USER_SGPR: 2
; COMPUTE_PGM_RSRC2:TRAP_HANDLER: 0
; COMPUTE_PGM_RSRC2:TGID_X_EN: 1
; COMPUTE_PGM_RSRC2:TGID_Y_EN: 0
; COMPUTE_PGM_RSRC2:TGID_Z_EN: 0
; COMPUTE_PGM_RSRC2:TIDIG_COMP_CNT: 0
	.section	.text._ZN7rocprim17ROCPRIM_400000_NS6detail17trampoline_kernelINS0_14default_configENS1_27upper_bound_config_selectorIilEEZNS1_14transform_implILb0ES3_S5_N6thrust23THRUST_200600_302600_NS6detail15normal_iteratorINS8_7pointerIiNS8_11hip_rocprim3tagENS8_11use_defaultESE_EEEENSA_INSB_IlSD_SE_SE_EEEEZNS1_13binary_searchIS3_S5_NSA_INS8_10device_ptrIiEEEESG_SI_NS1_21upper_bound_search_opENS9_16wrapped_functionINS8_7greaterIiEEbEEEE10hipError_tPvRmT1_T2_T3_mmT4_T5_P12ihipStream_tbEUlRKiE_EESS_SW_SX_mSY_S11_bEUlT_E_NS1_11comp_targetILNS1_3genE2ELNS1_11target_archE906ELNS1_3gpuE6ELNS1_3repE0EEENS1_30default_config_static_selectorELNS0_4arch9wavefront6targetE0EEEvSV_,"axG",@progbits,_ZN7rocprim17ROCPRIM_400000_NS6detail17trampoline_kernelINS0_14default_configENS1_27upper_bound_config_selectorIilEEZNS1_14transform_implILb0ES3_S5_N6thrust23THRUST_200600_302600_NS6detail15normal_iteratorINS8_7pointerIiNS8_11hip_rocprim3tagENS8_11use_defaultESE_EEEENSA_INSB_IlSD_SE_SE_EEEEZNS1_13binary_searchIS3_S5_NSA_INS8_10device_ptrIiEEEESG_SI_NS1_21upper_bound_search_opENS9_16wrapped_functionINS8_7greaterIiEEbEEEE10hipError_tPvRmT1_T2_T3_mmT4_T5_P12ihipStream_tbEUlRKiE_EESS_SW_SX_mSY_S11_bEUlT_E_NS1_11comp_targetILNS1_3genE2ELNS1_11target_archE906ELNS1_3gpuE6ELNS1_3repE0EEENS1_30default_config_static_selectorELNS0_4arch9wavefront6targetE0EEEvSV_,comdat
	.protected	_ZN7rocprim17ROCPRIM_400000_NS6detail17trampoline_kernelINS0_14default_configENS1_27upper_bound_config_selectorIilEEZNS1_14transform_implILb0ES3_S5_N6thrust23THRUST_200600_302600_NS6detail15normal_iteratorINS8_7pointerIiNS8_11hip_rocprim3tagENS8_11use_defaultESE_EEEENSA_INSB_IlSD_SE_SE_EEEEZNS1_13binary_searchIS3_S5_NSA_INS8_10device_ptrIiEEEESG_SI_NS1_21upper_bound_search_opENS9_16wrapped_functionINS8_7greaterIiEEbEEEE10hipError_tPvRmT1_T2_T3_mmT4_T5_P12ihipStream_tbEUlRKiE_EESS_SW_SX_mSY_S11_bEUlT_E_NS1_11comp_targetILNS1_3genE2ELNS1_11target_archE906ELNS1_3gpuE6ELNS1_3repE0EEENS1_30default_config_static_selectorELNS0_4arch9wavefront6targetE0EEEvSV_ ; -- Begin function _ZN7rocprim17ROCPRIM_400000_NS6detail17trampoline_kernelINS0_14default_configENS1_27upper_bound_config_selectorIilEEZNS1_14transform_implILb0ES3_S5_N6thrust23THRUST_200600_302600_NS6detail15normal_iteratorINS8_7pointerIiNS8_11hip_rocprim3tagENS8_11use_defaultESE_EEEENSA_INSB_IlSD_SE_SE_EEEEZNS1_13binary_searchIS3_S5_NSA_INS8_10device_ptrIiEEEESG_SI_NS1_21upper_bound_search_opENS9_16wrapped_functionINS8_7greaterIiEEbEEEE10hipError_tPvRmT1_T2_T3_mmT4_T5_P12ihipStream_tbEUlRKiE_EESS_SW_SX_mSY_S11_bEUlT_E_NS1_11comp_targetILNS1_3genE2ELNS1_11target_archE906ELNS1_3gpuE6ELNS1_3repE0EEENS1_30default_config_static_selectorELNS0_4arch9wavefront6targetE0EEEvSV_
	.globl	_ZN7rocprim17ROCPRIM_400000_NS6detail17trampoline_kernelINS0_14default_configENS1_27upper_bound_config_selectorIilEEZNS1_14transform_implILb0ES3_S5_N6thrust23THRUST_200600_302600_NS6detail15normal_iteratorINS8_7pointerIiNS8_11hip_rocprim3tagENS8_11use_defaultESE_EEEENSA_INSB_IlSD_SE_SE_EEEEZNS1_13binary_searchIS3_S5_NSA_INS8_10device_ptrIiEEEESG_SI_NS1_21upper_bound_search_opENS9_16wrapped_functionINS8_7greaterIiEEbEEEE10hipError_tPvRmT1_T2_T3_mmT4_T5_P12ihipStream_tbEUlRKiE_EESS_SW_SX_mSY_S11_bEUlT_E_NS1_11comp_targetILNS1_3genE2ELNS1_11target_archE906ELNS1_3gpuE6ELNS1_3repE0EEENS1_30default_config_static_selectorELNS0_4arch9wavefront6targetE0EEEvSV_
	.p2align	8
	.type	_ZN7rocprim17ROCPRIM_400000_NS6detail17trampoline_kernelINS0_14default_configENS1_27upper_bound_config_selectorIilEEZNS1_14transform_implILb0ES3_S5_N6thrust23THRUST_200600_302600_NS6detail15normal_iteratorINS8_7pointerIiNS8_11hip_rocprim3tagENS8_11use_defaultESE_EEEENSA_INSB_IlSD_SE_SE_EEEEZNS1_13binary_searchIS3_S5_NSA_INS8_10device_ptrIiEEEESG_SI_NS1_21upper_bound_search_opENS9_16wrapped_functionINS8_7greaterIiEEbEEEE10hipError_tPvRmT1_T2_T3_mmT4_T5_P12ihipStream_tbEUlRKiE_EESS_SW_SX_mSY_S11_bEUlT_E_NS1_11comp_targetILNS1_3genE2ELNS1_11target_archE906ELNS1_3gpuE6ELNS1_3repE0EEENS1_30default_config_static_selectorELNS0_4arch9wavefront6targetE0EEEvSV_,@function
_ZN7rocprim17ROCPRIM_400000_NS6detail17trampoline_kernelINS0_14default_configENS1_27upper_bound_config_selectorIilEEZNS1_14transform_implILb0ES3_S5_N6thrust23THRUST_200600_302600_NS6detail15normal_iteratorINS8_7pointerIiNS8_11hip_rocprim3tagENS8_11use_defaultESE_EEEENSA_INSB_IlSD_SE_SE_EEEEZNS1_13binary_searchIS3_S5_NSA_INS8_10device_ptrIiEEEESG_SI_NS1_21upper_bound_search_opENS9_16wrapped_functionINS8_7greaterIiEEbEEEE10hipError_tPvRmT1_T2_T3_mmT4_T5_P12ihipStream_tbEUlRKiE_EESS_SW_SX_mSY_S11_bEUlT_E_NS1_11comp_targetILNS1_3genE2ELNS1_11target_archE906ELNS1_3gpuE6ELNS1_3repE0EEENS1_30default_config_static_selectorELNS0_4arch9wavefront6targetE0EEEvSV_: ; @_ZN7rocprim17ROCPRIM_400000_NS6detail17trampoline_kernelINS0_14default_configENS1_27upper_bound_config_selectorIilEEZNS1_14transform_implILb0ES3_S5_N6thrust23THRUST_200600_302600_NS6detail15normal_iteratorINS8_7pointerIiNS8_11hip_rocprim3tagENS8_11use_defaultESE_EEEENSA_INSB_IlSD_SE_SE_EEEEZNS1_13binary_searchIS3_S5_NSA_INS8_10device_ptrIiEEEESG_SI_NS1_21upper_bound_search_opENS9_16wrapped_functionINS8_7greaterIiEEbEEEE10hipError_tPvRmT1_T2_T3_mmT4_T5_P12ihipStream_tbEUlRKiE_EESS_SW_SX_mSY_S11_bEUlT_E_NS1_11comp_targetILNS1_3genE2ELNS1_11target_archE906ELNS1_3gpuE6ELNS1_3repE0EEENS1_30default_config_static_selectorELNS0_4arch9wavefront6targetE0EEEvSV_
; %bb.0:
	.section	.rodata,"a",@progbits
	.p2align	6, 0x0
	.amdhsa_kernel _ZN7rocprim17ROCPRIM_400000_NS6detail17trampoline_kernelINS0_14default_configENS1_27upper_bound_config_selectorIilEEZNS1_14transform_implILb0ES3_S5_N6thrust23THRUST_200600_302600_NS6detail15normal_iteratorINS8_7pointerIiNS8_11hip_rocprim3tagENS8_11use_defaultESE_EEEENSA_INSB_IlSD_SE_SE_EEEEZNS1_13binary_searchIS3_S5_NSA_INS8_10device_ptrIiEEEESG_SI_NS1_21upper_bound_search_opENS9_16wrapped_functionINS8_7greaterIiEEbEEEE10hipError_tPvRmT1_T2_T3_mmT4_T5_P12ihipStream_tbEUlRKiE_EESS_SW_SX_mSY_S11_bEUlT_E_NS1_11comp_targetILNS1_3genE2ELNS1_11target_archE906ELNS1_3gpuE6ELNS1_3repE0EEENS1_30default_config_static_selectorELNS0_4arch9wavefront6targetE0EEEvSV_
		.amdhsa_group_segment_fixed_size 0
		.amdhsa_private_segment_fixed_size 0
		.amdhsa_kernarg_size 56
		.amdhsa_user_sgpr_count 2
		.amdhsa_user_sgpr_dispatch_ptr 0
		.amdhsa_user_sgpr_queue_ptr 0
		.amdhsa_user_sgpr_kernarg_segment_ptr 1
		.amdhsa_user_sgpr_dispatch_id 0
		.amdhsa_user_sgpr_kernarg_preload_length 0
		.amdhsa_user_sgpr_kernarg_preload_offset 0
		.amdhsa_user_sgpr_private_segment_size 0
		.amdhsa_wavefront_size32 1
		.amdhsa_uses_dynamic_stack 0
		.amdhsa_enable_private_segment 0
		.amdhsa_system_sgpr_workgroup_id_x 1
		.amdhsa_system_sgpr_workgroup_id_y 0
		.amdhsa_system_sgpr_workgroup_id_z 0
		.amdhsa_system_sgpr_workgroup_info 0
		.amdhsa_system_vgpr_workitem_id 0
		.amdhsa_next_free_vgpr 1
		.amdhsa_next_free_sgpr 1
		.amdhsa_named_barrier_count 0
		.amdhsa_reserve_vcc 0
		.amdhsa_float_round_mode_32 0
		.amdhsa_float_round_mode_16_64 0
		.amdhsa_float_denorm_mode_32 3
		.amdhsa_float_denorm_mode_16_64 3
		.amdhsa_fp16_overflow 0
		.amdhsa_memory_ordered 1
		.amdhsa_forward_progress 1
		.amdhsa_inst_pref_size 0
		.amdhsa_round_robin_scheduling 0
		.amdhsa_exception_fp_ieee_invalid_op 0
		.amdhsa_exception_fp_denorm_src 0
		.amdhsa_exception_fp_ieee_div_zero 0
		.amdhsa_exception_fp_ieee_overflow 0
		.amdhsa_exception_fp_ieee_underflow 0
		.amdhsa_exception_fp_ieee_inexact 0
		.amdhsa_exception_int_div_zero 0
	.end_amdhsa_kernel
	.section	.text._ZN7rocprim17ROCPRIM_400000_NS6detail17trampoline_kernelINS0_14default_configENS1_27upper_bound_config_selectorIilEEZNS1_14transform_implILb0ES3_S5_N6thrust23THRUST_200600_302600_NS6detail15normal_iteratorINS8_7pointerIiNS8_11hip_rocprim3tagENS8_11use_defaultESE_EEEENSA_INSB_IlSD_SE_SE_EEEEZNS1_13binary_searchIS3_S5_NSA_INS8_10device_ptrIiEEEESG_SI_NS1_21upper_bound_search_opENS9_16wrapped_functionINS8_7greaterIiEEbEEEE10hipError_tPvRmT1_T2_T3_mmT4_T5_P12ihipStream_tbEUlRKiE_EESS_SW_SX_mSY_S11_bEUlT_E_NS1_11comp_targetILNS1_3genE2ELNS1_11target_archE906ELNS1_3gpuE6ELNS1_3repE0EEENS1_30default_config_static_selectorELNS0_4arch9wavefront6targetE0EEEvSV_,"axG",@progbits,_ZN7rocprim17ROCPRIM_400000_NS6detail17trampoline_kernelINS0_14default_configENS1_27upper_bound_config_selectorIilEEZNS1_14transform_implILb0ES3_S5_N6thrust23THRUST_200600_302600_NS6detail15normal_iteratorINS8_7pointerIiNS8_11hip_rocprim3tagENS8_11use_defaultESE_EEEENSA_INSB_IlSD_SE_SE_EEEEZNS1_13binary_searchIS3_S5_NSA_INS8_10device_ptrIiEEEESG_SI_NS1_21upper_bound_search_opENS9_16wrapped_functionINS8_7greaterIiEEbEEEE10hipError_tPvRmT1_T2_T3_mmT4_T5_P12ihipStream_tbEUlRKiE_EESS_SW_SX_mSY_S11_bEUlT_E_NS1_11comp_targetILNS1_3genE2ELNS1_11target_archE906ELNS1_3gpuE6ELNS1_3repE0EEENS1_30default_config_static_selectorELNS0_4arch9wavefront6targetE0EEEvSV_,comdat
.Lfunc_end99:
	.size	_ZN7rocprim17ROCPRIM_400000_NS6detail17trampoline_kernelINS0_14default_configENS1_27upper_bound_config_selectorIilEEZNS1_14transform_implILb0ES3_S5_N6thrust23THRUST_200600_302600_NS6detail15normal_iteratorINS8_7pointerIiNS8_11hip_rocprim3tagENS8_11use_defaultESE_EEEENSA_INSB_IlSD_SE_SE_EEEEZNS1_13binary_searchIS3_S5_NSA_INS8_10device_ptrIiEEEESG_SI_NS1_21upper_bound_search_opENS9_16wrapped_functionINS8_7greaterIiEEbEEEE10hipError_tPvRmT1_T2_T3_mmT4_T5_P12ihipStream_tbEUlRKiE_EESS_SW_SX_mSY_S11_bEUlT_E_NS1_11comp_targetILNS1_3genE2ELNS1_11target_archE906ELNS1_3gpuE6ELNS1_3repE0EEENS1_30default_config_static_selectorELNS0_4arch9wavefront6targetE0EEEvSV_, .Lfunc_end99-_ZN7rocprim17ROCPRIM_400000_NS6detail17trampoline_kernelINS0_14default_configENS1_27upper_bound_config_selectorIilEEZNS1_14transform_implILb0ES3_S5_N6thrust23THRUST_200600_302600_NS6detail15normal_iteratorINS8_7pointerIiNS8_11hip_rocprim3tagENS8_11use_defaultESE_EEEENSA_INSB_IlSD_SE_SE_EEEEZNS1_13binary_searchIS3_S5_NSA_INS8_10device_ptrIiEEEESG_SI_NS1_21upper_bound_search_opENS9_16wrapped_functionINS8_7greaterIiEEbEEEE10hipError_tPvRmT1_T2_T3_mmT4_T5_P12ihipStream_tbEUlRKiE_EESS_SW_SX_mSY_S11_bEUlT_E_NS1_11comp_targetILNS1_3genE2ELNS1_11target_archE906ELNS1_3gpuE6ELNS1_3repE0EEENS1_30default_config_static_selectorELNS0_4arch9wavefront6targetE0EEEvSV_
                                        ; -- End function
	.set _ZN7rocprim17ROCPRIM_400000_NS6detail17trampoline_kernelINS0_14default_configENS1_27upper_bound_config_selectorIilEEZNS1_14transform_implILb0ES3_S5_N6thrust23THRUST_200600_302600_NS6detail15normal_iteratorINS8_7pointerIiNS8_11hip_rocprim3tagENS8_11use_defaultESE_EEEENSA_INSB_IlSD_SE_SE_EEEEZNS1_13binary_searchIS3_S5_NSA_INS8_10device_ptrIiEEEESG_SI_NS1_21upper_bound_search_opENS9_16wrapped_functionINS8_7greaterIiEEbEEEE10hipError_tPvRmT1_T2_T3_mmT4_T5_P12ihipStream_tbEUlRKiE_EESS_SW_SX_mSY_S11_bEUlT_E_NS1_11comp_targetILNS1_3genE2ELNS1_11target_archE906ELNS1_3gpuE6ELNS1_3repE0EEENS1_30default_config_static_selectorELNS0_4arch9wavefront6targetE0EEEvSV_.num_vgpr, 0
	.set _ZN7rocprim17ROCPRIM_400000_NS6detail17trampoline_kernelINS0_14default_configENS1_27upper_bound_config_selectorIilEEZNS1_14transform_implILb0ES3_S5_N6thrust23THRUST_200600_302600_NS6detail15normal_iteratorINS8_7pointerIiNS8_11hip_rocprim3tagENS8_11use_defaultESE_EEEENSA_INSB_IlSD_SE_SE_EEEEZNS1_13binary_searchIS3_S5_NSA_INS8_10device_ptrIiEEEESG_SI_NS1_21upper_bound_search_opENS9_16wrapped_functionINS8_7greaterIiEEbEEEE10hipError_tPvRmT1_T2_T3_mmT4_T5_P12ihipStream_tbEUlRKiE_EESS_SW_SX_mSY_S11_bEUlT_E_NS1_11comp_targetILNS1_3genE2ELNS1_11target_archE906ELNS1_3gpuE6ELNS1_3repE0EEENS1_30default_config_static_selectorELNS0_4arch9wavefront6targetE0EEEvSV_.num_agpr, 0
	.set _ZN7rocprim17ROCPRIM_400000_NS6detail17trampoline_kernelINS0_14default_configENS1_27upper_bound_config_selectorIilEEZNS1_14transform_implILb0ES3_S5_N6thrust23THRUST_200600_302600_NS6detail15normal_iteratorINS8_7pointerIiNS8_11hip_rocprim3tagENS8_11use_defaultESE_EEEENSA_INSB_IlSD_SE_SE_EEEEZNS1_13binary_searchIS3_S5_NSA_INS8_10device_ptrIiEEEESG_SI_NS1_21upper_bound_search_opENS9_16wrapped_functionINS8_7greaterIiEEbEEEE10hipError_tPvRmT1_T2_T3_mmT4_T5_P12ihipStream_tbEUlRKiE_EESS_SW_SX_mSY_S11_bEUlT_E_NS1_11comp_targetILNS1_3genE2ELNS1_11target_archE906ELNS1_3gpuE6ELNS1_3repE0EEENS1_30default_config_static_selectorELNS0_4arch9wavefront6targetE0EEEvSV_.numbered_sgpr, 0
	.set _ZN7rocprim17ROCPRIM_400000_NS6detail17trampoline_kernelINS0_14default_configENS1_27upper_bound_config_selectorIilEEZNS1_14transform_implILb0ES3_S5_N6thrust23THRUST_200600_302600_NS6detail15normal_iteratorINS8_7pointerIiNS8_11hip_rocprim3tagENS8_11use_defaultESE_EEEENSA_INSB_IlSD_SE_SE_EEEEZNS1_13binary_searchIS3_S5_NSA_INS8_10device_ptrIiEEEESG_SI_NS1_21upper_bound_search_opENS9_16wrapped_functionINS8_7greaterIiEEbEEEE10hipError_tPvRmT1_T2_T3_mmT4_T5_P12ihipStream_tbEUlRKiE_EESS_SW_SX_mSY_S11_bEUlT_E_NS1_11comp_targetILNS1_3genE2ELNS1_11target_archE906ELNS1_3gpuE6ELNS1_3repE0EEENS1_30default_config_static_selectorELNS0_4arch9wavefront6targetE0EEEvSV_.num_named_barrier, 0
	.set _ZN7rocprim17ROCPRIM_400000_NS6detail17trampoline_kernelINS0_14default_configENS1_27upper_bound_config_selectorIilEEZNS1_14transform_implILb0ES3_S5_N6thrust23THRUST_200600_302600_NS6detail15normal_iteratorINS8_7pointerIiNS8_11hip_rocprim3tagENS8_11use_defaultESE_EEEENSA_INSB_IlSD_SE_SE_EEEEZNS1_13binary_searchIS3_S5_NSA_INS8_10device_ptrIiEEEESG_SI_NS1_21upper_bound_search_opENS9_16wrapped_functionINS8_7greaterIiEEbEEEE10hipError_tPvRmT1_T2_T3_mmT4_T5_P12ihipStream_tbEUlRKiE_EESS_SW_SX_mSY_S11_bEUlT_E_NS1_11comp_targetILNS1_3genE2ELNS1_11target_archE906ELNS1_3gpuE6ELNS1_3repE0EEENS1_30default_config_static_selectorELNS0_4arch9wavefront6targetE0EEEvSV_.private_seg_size, 0
	.set _ZN7rocprim17ROCPRIM_400000_NS6detail17trampoline_kernelINS0_14default_configENS1_27upper_bound_config_selectorIilEEZNS1_14transform_implILb0ES3_S5_N6thrust23THRUST_200600_302600_NS6detail15normal_iteratorINS8_7pointerIiNS8_11hip_rocprim3tagENS8_11use_defaultESE_EEEENSA_INSB_IlSD_SE_SE_EEEEZNS1_13binary_searchIS3_S5_NSA_INS8_10device_ptrIiEEEESG_SI_NS1_21upper_bound_search_opENS9_16wrapped_functionINS8_7greaterIiEEbEEEE10hipError_tPvRmT1_T2_T3_mmT4_T5_P12ihipStream_tbEUlRKiE_EESS_SW_SX_mSY_S11_bEUlT_E_NS1_11comp_targetILNS1_3genE2ELNS1_11target_archE906ELNS1_3gpuE6ELNS1_3repE0EEENS1_30default_config_static_selectorELNS0_4arch9wavefront6targetE0EEEvSV_.uses_vcc, 0
	.set _ZN7rocprim17ROCPRIM_400000_NS6detail17trampoline_kernelINS0_14default_configENS1_27upper_bound_config_selectorIilEEZNS1_14transform_implILb0ES3_S5_N6thrust23THRUST_200600_302600_NS6detail15normal_iteratorINS8_7pointerIiNS8_11hip_rocprim3tagENS8_11use_defaultESE_EEEENSA_INSB_IlSD_SE_SE_EEEEZNS1_13binary_searchIS3_S5_NSA_INS8_10device_ptrIiEEEESG_SI_NS1_21upper_bound_search_opENS9_16wrapped_functionINS8_7greaterIiEEbEEEE10hipError_tPvRmT1_T2_T3_mmT4_T5_P12ihipStream_tbEUlRKiE_EESS_SW_SX_mSY_S11_bEUlT_E_NS1_11comp_targetILNS1_3genE2ELNS1_11target_archE906ELNS1_3gpuE6ELNS1_3repE0EEENS1_30default_config_static_selectorELNS0_4arch9wavefront6targetE0EEEvSV_.uses_flat_scratch, 0
	.set _ZN7rocprim17ROCPRIM_400000_NS6detail17trampoline_kernelINS0_14default_configENS1_27upper_bound_config_selectorIilEEZNS1_14transform_implILb0ES3_S5_N6thrust23THRUST_200600_302600_NS6detail15normal_iteratorINS8_7pointerIiNS8_11hip_rocprim3tagENS8_11use_defaultESE_EEEENSA_INSB_IlSD_SE_SE_EEEEZNS1_13binary_searchIS3_S5_NSA_INS8_10device_ptrIiEEEESG_SI_NS1_21upper_bound_search_opENS9_16wrapped_functionINS8_7greaterIiEEbEEEE10hipError_tPvRmT1_T2_T3_mmT4_T5_P12ihipStream_tbEUlRKiE_EESS_SW_SX_mSY_S11_bEUlT_E_NS1_11comp_targetILNS1_3genE2ELNS1_11target_archE906ELNS1_3gpuE6ELNS1_3repE0EEENS1_30default_config_static_selectorELNS0_4arch9wavefront6targetE0EEEvSV_.has_dyn_sized_stack, 0
	.set _ZN7rocprim17ROCPRIM_400000_NS6detail17trampoline_kernelINS0_14default_configENS1_27upper_bound_config_selectorIilEEZNS1_14transform_implILb0ES3_S5_N6thrust23THRUST_200600_302600_NS6detail15normal_iteratorINS8_7pointerIiNS8_11hip_rocprim3tagENS8_11use_defaultESE_EEEENSA_INSB_IlSD_SE_SE_EEEEZNS1_13binary_searchIS3_S5_NSA_INS8_10device_ptrIiEEEESG_SI_NS1_21upper_bound_search_opENS9_16wrapped_functionINS8_7greaterIiEEbEEEE10hipError_tPvRmT1_T2_T3_mmT4_T5_P12ihipStream_tbEUlRKiE_EESS_SW_SX_mSY_S11_bEUlT_E_NS1_11comp_targetILNS1_3genE2ELNS1_11target_archE906ELNS1_3gpuE6ELNS1_3repE0EEENS1_30default_config_static_selectorELNS0_4arch9wavefront6targetE0EEEvSV_.has_recursion, 0
	.set _ZN7rocprim17ROCPRIM_400000_NS6detail17trampoline_kernelINS0_14default_configENS1_27upper_bound_config_selectorIilEEZNS1_14transform_implILb0ES3_S5_N6thrust23THRUST_200600_302600_NS6detail15normal_iteratorINS8_7pointerIiNS8_11hip_rocprim3tagENS8_11use_defaultESE_EEEENSA_INSB_IlSD_SE_SE_EEEEZNS1_13binary_searchIS3_S5_NSA_INS8_10device_ptrIiEEEESG_SI_NS1_21upper_bound_search_opENS9_16wrapped_functionINS8_7greaterIiEEbEEEE10hipError_tPvRmT1_T2_T3_mmT4_T5_P12ihipStream_tbEUlRKiE_EESS_SW_SX_mSY_S11_bEUlT_E_NS1_11comp_targetILNS1_3genE2ELNS1_11target_archE906ELNS1_3gpuE6ELNS1_3repE0EEENS1_30default_config_static_selectorELNS0_4arch9wavefront6targetE0EEEvSV_.has_indirect_call, 0
	.section	.AMDGPU.csdata,"",@progbits
; Kernel info:
; codeLenInByte = 0
; TotalNumSgprs: 0
; NumVgprs: 0
; ScratchSize: 0
; MemoryBound: 0
; FloatMode: 240
; IeeeMode: 1
; LDSByteSize: 0 bytes/workgroup (compile time only)
; SGPRBlocks: 0
; VGPRBlocks: 0
; NumSGPRsForWavesPerEU: 1
; NumVGPRsForWavesPerEU: 1
; NamedBarCnt: 0
; Occupancy: 16
; WaveLimiterHint : 0
; COMPUTE_PGM_RSRC2:SCRATCH_EN: 0
; COMPUTE_PGM_RSRC2:USER_SGPR: 2
; COMPUTE_PGM_RSRC2:TRAP_HANDLER: 0
; COMPUTE_PGM_RSRC2:TGID_X_EN: 1
; COMPUTE_PGM_RSRC2:TGID_Y_EN: 0
; COMPUTE_PGM_RSRC2:TGID_Z_EN: 0
; COMPUTE_PGM_RSRC2:TIDIG_COMP_CNT: 0
	.section	.text._ZN7rocprim17ROCPRIM_400000_NS6detail17trampoline_kernelINS0_14default_configENS1_27upper_bound_config_selectorIilEEZNS1_14transform_implILb0ES3_S5_N6thrust23THRUST_200600_302600_NS6detail15normal_iteratorINS8_7pointerIiNS8_11hip_rocprim3tagENS8_11use_defaultESE_EEEENSA_INSB_IlSD_SE_SE_EEEEZNS1_13binary_searchIS3_S5_NSA_INS8_10device_ptrIiEEEESG_SI_NS1_21upper_bound_search_opENS9_16wrapped_functionINS8_7greaterIiEEbEEEE10hipError_tPvRmT1_T2_T3_mmT4_T5_P12ihipStream_tbEUlRKiE_EESS_SW_SX_mSY_S11_bEUlT_E_NS1_11comp_targetILNS1_3genE10ELNS1_11target_archE1201ELNS1_3gpuE5ELNS1_3repE0EEENS1_30default_config_static_selectorELNS0_4arch9wavefront6targetE0EEEvSV_,"axG",@progbits,_ZN7rocprim17ROCPRIM_400000_NS6detail17trampoline_kernelINS0_14default_configENS1_27upper_bound_config_selectorIilEEZNS1_14transform_implILb0ES3_S5_N6thrust23THRUST_200600_302600_NS6detail15normal_iteratorINS8_7pointerIiNS8_11hip_rocprim3tagENS8_11use_defaultESE_EEEENSA_INSB_IlSD_SE_SE_EEEEZNS1_13binary_searchIS3_S5_NSA_INS8_10device_ptrIiEEEESG_SI_NS1_21upper_bound_search_opENS9_16wrapped_functionINS8_7greaterIiEEbEEEE10hipError_tPvRmT1_T2_T3_mmT4_T5_P12ihipStream_tbEUlRKiE_EESS_SW_SX_mSY_S11_bEUlT_E_NS1_11comp_targetILNS1_3genE10ELNS1_11target_archE1201ELNS1_3gpuE5ELNS1_3repE0EEENS1_30default_config_static_selectorELNS0_4arch9wavefront6targetE0EEEvSV_,comdat
	.protected	_ZN7rocprim17ROCPRIM_400000_NS6detail17trampoline_kernelINS0_14default_configENS1_27upper_bound_config_selectorIilEEZNS1_14transform_implILb0ES3_S5_N6thrust23THRUST_200600_302600_NS6detail15normal_iteratorINS8_7pointerIiNS8_11hip_rocprim3tagENS8_11use_defaultESE_EEEENSA_INSB_IlSD_SE_SE_EEEEZNS1_13binary_searchIS3_S5_NSA_INS8_10device_ptrIiEEEESG_SI_NS1_21upper_bound_search_opENS9_16wrapped_functionINS8_7greaterIiEEbEEEE10hipError_tPvRmT1_T2_T3_mmT4_T5_P12ihipStream_tbEUlRKiE_EESS_SW_SX_mSY_S11_bEUlT_E_NS1_11comp_targetILNS1_3genE10ELNS1_11target_archE1201ELNS1_3gpuE5ELNS1_3repE0EEENS1_30default_config_static_selectorELNS0_4arch9wavefront6targetE0EEEvSV_ ; -- Begin function _ZN7rocprim17ROCPRIM_400000_NS6detail17trampoline_kernelINS0_14default_configENS1_27upper_bound_config_selectorIilEEZNS1_14transform_implILb0ES3_S5_N6thrust23THRUST_200600_302600_NS6detail15normal_iteratorINS8_7pointerIiNS8_11hip_rocprim3tagENS8_11use_defaultESE_EEEENSA_INSB_IlSD_SE_SE_EEEEZNS1_13binary_searchIS3_S5_NSA_INS8_10device_ptrIiEEEESG_SI_NS1_21upper_bound_search_opENS9_16wrapped_functionINS8_7greaterIiEEbEEEE10hipError_tPvRmT1_T2_T3_mmT4_T5_P12ihipStream_tbEUlRKiE_EESS_SW_SX_mSY_S11_bEUlT_E_NS1_11comp_targetILNS1_3genE10ELNS1_11target_archE1201ELNS1_3gpuE5ELNS1_3repE0EEENS1_30default_config_static_selectorELNS0_4arch9wavefront6targetE0EEEvSV_
	.globl	_ZN7rocprim17ROCPRIM_400000_NS6detail17trampoline_kernelINS0_14default_configENS1_27upper_bound_config_selectorIilEEZNS1_14transform_implILb0ES3_S5_N6thrust23THRUST_200600_302600_NS6detail15normal_iteratorINS8_7pointerIiNS8_11hip_rocprim3tagENS8_11use_defaultESE_EEEENSA_INSB_IlSD_SE_SE_EEEEZNS1_13binary_searchIS3_S5_NSA_INS8_10device_ptrIiEEEESG_SI_NS1_21upper_bound_search_opENS9_16wrapped_functionINS8_7greaterIiEEbEEEE10hipError_tPvRmT1_T2_T3_mmT4_T5_P12ihipStream_tbEUlRKiE_EESS_SW_SX_mSY_S11_bEUlT_E_NS1_11comp_targetILNS1_3genE10ELNS1_11target_archE1201ELNS1_3gpuE5ELNS1_3repE0EEENS1_30default_config_static_selectorELNS0_4arch9wavefront6targetE0EEEvSV_
	.p2align	8
	.type	_ZN7rocprim17ROCPRIM_400000_NS6detail17trampoline_kernelINS0_14default_configENS1_27upper_bound_config_selectorIilEEZNS1_14transform_implILb0ES3_S5_N6thrust23THRUST_200600_302600_NS6detail15normal_iteratorINS8_7pointerIiNS8_11hip_rocprim3tagENS8_11use_defaultESE_EEEENSA_INSB_IlSD_SE_SE_EEEEZNS1_13binary_searchIS3_S5_NSA_INS8_10device_ptrIiEEEESG_SI_NS1_21upper_bound_search_opENS9_16wrapped_functionINS8_7greaterIiEEbEEEE10hipError_tPvRmT1_T2_T3_mmT4_T5_P12ihipStream_tbEUlRKiE_EESS_SW_SX_mSY_S11_bEUlT_E_NS1_11comp_targetILNS1_3genE10ELNS1_11target_archE1201ELNS1_3gpuE5ELNS1_3repE0EEENS1_30default_config_static_selectorELNS0_4arch9wavefront6targetE0EEEvSV_,@function
_ZN7rocprim17ROCPRIM_400000_NS6detail17trampoline_kernelINS0_14default_configENS1_27upper_bound_config_selectorIilEEZNS1_14transform_implILb0ES3_S5_N6thrust23THRUST_200600_302600_NS6detail15normal_iteratorINS8_7pointerIiNS8_11hip_rocprim3tagENS8_11use_defaultESE_EEEENSA_INSB_IlSD_SE_SE_EEEEZNS1_13binary_searchIS3_S5_NSA_INS8_10device_ptrIiEEEESG_SI_NS1_21upper_bound_search_opENS9_16wrapped_functionINS8_7greaterIiEEbEEEE10hipError_tPvRmT1_T2_T3_mmT4_T5_P12ihipStream_tbEUlRKiE_EESS_SW_SX_mSY_S11_bEUlT_E_NS1_11comp_targetILNS1_3genE10ELNS1_11target_archE1201ELNS1_3gpuE5ELNS1_3repE0EEENS1_30default_config_static_selectorELNS0_4arch9wavefront6targetE0EEEvSV_: ; @_ZN7rocprim17ROCPRIM_400000_NS6detail17trampoline_kernelINS0_14default_configENS1_27upper_bound_config_selectorIilEEZNS1_14transform_implILb0ES3_S5_N6thrust23THRUST_200600_302600_NS6detail15normal_iteratorINS8_7pointerIiNS8_11hip_rocprim3tagENS8_11use_defaultESE_EEEENSA_INSB_IlSD_SE_SE_EEEEZNS1_13binary_searchIS3_S5_NSA_INS8_10device_ptrIiEEEESG_SI_NS1_21upper_bound_search_opENS9_16wrapped_functionINS8_7greaterIiEEbEEEE10hipError_tPvRmT1_T2_T3_mmT4_T5_P12ihipStream_tbEUlRKiE_EESS_SW_SX_mSY_S11_bEUlT_E_NS1_11comp_targetILNS1_3genE10ELNS1_11target_archE1201ELNS1_3gpuE5ELNS1_3repE0EEENS1_30default_config_static_selectorELNS0_4arch9wavefront6targetE0EEEvSV_
; %bb.0:
	.section	.rodata,"a",@progbits
	.p2align	6, 0x0
	.amdhsa_kernel _ZN7rocprim17ROCPRIM_400000_NS6detail17trampoline_kernelINS0_14default_configENS1_27upper_bound_config_selectorIilEEZNS1_14transform_implILb0ES3_S5_N6thrust23THRUST_200600_302600_NS6detail15normal_iteratorINS8_7pointerIiNS8_11hip_rocprim3tagENS8_11use_defaultESE_EEEENSA_INSB_IlSD_SE_SE_EEEEZNS1_13binary_searchIS3_S5_NSA_INS8_10device_ptrIiEEEESG_SI_NS1_21upper_bound_search_opENS9_16wrapped_functionINS8_7greaterIiEEbEEEE10hipError_tPvRmT1_T2_T3_mmT4_T5_P12ihipStream_tbEUlRKiE_EESS_SW_SX_mSY_S11_bEUlT_E_NS1_11comp_targetILNS1_3genE10ELNS1_11target_archE1201ELNS1_3gpuE5ELNS1_3repE0EEENS1_30default_config_static_selectorELNS0_4arch9wavefront6targetE0EEEvSV_
		.amdhsa_group_segment_fixed_size 0
		.amdhsa_private_segment_fixed_size 0
		.amdhsa_kernarg_size 56
		.amdhsa_user_sgpr_count 2
		.amdhsa_user_sgpr_dispatch_ptr 0
		.amdhsa_user_sgpr_queue_ptr 0
		.amdhsa_user_sgpr_kernarg_segment_ptr 1
		.amdhsa_user_sgpr_dispatch_id 0
		.amdhsa_user_sgpr_kernarg_preload_length 0
		.amdhsa_user_sgpr_kernarg_preload_offset 0
		.amdhsa_user_sgpr_private_segment_size 0
		.amdhsa_wavefront_size32 1
		.amdhsa_uses_dynamic_stack 0
		.amdhsa_enable_private_segment 0
		.amdhsa_system_sgpr_workgroup_id_x 1
		.amdhsa_system_sgpr_workgroup_id_y 0
		.amdhsa_system_sgpr_workgroup_id_z 0
		.amdhsa_system_sgpr_workgroup_info 0
		.amdhsa_system_vgpr_workitem_id 0
		.amdhsa_next_free_vgpr 1
		.amdhsa_next_free_sgpr 1
		.amdhsa_named_barrier_count 0
		.amdhsa_reserve_vcc 0
		.amdhsa_float_round_mode_32 0
		.amdhsa_float_round_mode_16_64 0
		.amdhsa_float_denorm_mode_32 3
		.amdhsa_float_denorm_mode_16_64 3
		.amdhsa_fp16_overflow 0
		.amdhsa_memory_ordered 1
		.amdhsa_forward_progress 1
		.amdhsa_inst_pref_size 0
		.amdhsa_round_robin_scheduling 0
		.amdhsa_exception_fp_ieee_invalid_op 0
		.amdhsa_exception_fp_denorm_src 0
		.amdhsa_exception_fp_ieee_div_zero 0
		.amdhsa_exception_fp_ieee_overflow 0
		.amdhsa_exception_fp_ieee_underflow 0
		.amdhsa_exception_fp_ieee_inexact 0
		.amdhsa_exception_int_div_zero 0
	.end_amdhsa_kernel
	.section	.text._ZN7rocprim17ROCPRIM_400000_NS6detail17trampoline_kernelINS0_14default_configENS1_27upper_bound_config_selectorIilEEZNS1_14transform_implILb0ES3_S5_N6thrust23THRUST_200600_302600_NS6detail15normal_iteratorINS8_7pointerIiNS8_11hip_rocprim3tagENS8_11use_defaultESE_EEEENSA_INSB_IlSD_SE_SE_EEEEZNS1_13binary_searchIS3_S5_NSA_INS8_10device_ptrIiEEEESG_SI_NS1_21upper_bound_search_opENS9_16wrapped_functionINS8_7greaterIiEEbEEEE10hipError_tPvRmT1_T2_T3_mmT4_T5_P12ihipStream_tbEUlRKiE_EESS_SW_SX_mSY_S11_bEUlT_E_NS1_11comp_targetILNS1_3genE10ELNS1_11target_archE1201ELNS1_3gpuE5ELNS1_3repE0EEENS1_30default_config_static_selectorELNS0_4arch9wavefront6targetE0EEEvSV_,"axG",@progbits,_ZN7rocprim17ROCPRIM_400000_NS6detail17trampoline_kernelINS0_14default_configENS1_27upper_bound_config_selectorIilEEZNS1_14transform_implILb0ES3_S5_N6thrust23THRUST_200600_302600_NS6detail15normal_iteratorINS8_7pointerIiNS8_11hip_rocprim3tagENS8_11use_defaultESE_EEEENSA_INSB_IlSD_SE_SE_EEEEZNS1_13binary_searchIS3_S5_NSA_INS8_10device_ptrIiEEEESG_SI_NS1_21upper_bound_search_opENS9_16wrapped_functionINS8_7greaterIiEEbEEEE10hipError_tPvRmT1_T2_T3_mmT4_T5_P12ihipStream_tbEUlRKiE_EESS_SW_SX_mSY_S11_bEUlT_E_NS1_11comp_targetILNS1_3genE10ELNS1_11target_archE1201ELNS1_3gpuE5ELNS1_3repE0EEENS1_30default_config_static_selectorELNS0_4arch9wavefront6targetE0EEEvSV_,comdat
.Lfunc_end100:
	.size	_ZN7rocprim17ROCPRIM_400000_NS6detail17trampoline_kernelINS0_14default_configENS1_27upper_bound_config_selectorIilEEZNS1_14transform_implILb0ES3_S5_N6thrust23THRUST_200600_302600_NS6detail15normal_iteratorINS8_7pointerIiNS8_11hip_rocprim3tagENS8_11use_defaultESE_EEEENSA_INSB_IlSD_SE_SE_EEEEZNS1_13binary_searchIS3_S5_NSA_INS8_10device_ptrIiEEEESG_SI_NS1_21upper_bound_search_opENS9_16wrapped_functionINS8_7greaterIiEEbEEEE10hipError_tPvRmT1_T2_T3_mmT4_T5_P12ihipStream_tbEUlRKiE_EESS_SW_SX_mSY_S11_bEUlT_E_NS1_11comp_targetILNS1_3genE10ELNS1_11target_archE1201ELNS1_3gpuE5ELNS1_3repE0EEENS1_30default_config_static_selectorELNS0_4arch9wavefront6targetE0EEEvSV_, .Lfunc_end100-_ZN7rocprim17ROCPRIM_400000_NS6detail17trampoline_kernelINS0_14default_configENS1_27upper_bound_config_selectorIilEEZNS1_14transform_implILb0ES3_S5_N6thrust23THRUST_200600_302600_NS6detail15normal_iteratorINS8_7pointerIiNS8_11hip_rocprim3tagENS8_11use_defaultESE_EEEENSA_INSB_IlSD_SE_SE_EEEEZNS1_13binary_searchIS3_S5_NSA_INS8_10device_ptrIiEEEESG_SI_NS1_21upper_bound_search_opENS9_16wrapped_functionINS8_7greaterIiEEbEEEE10hipError_tPvRmT1_T2_T3_mmT4_T5_P12ihipStream_tbEUlRKiE_EESS_SW_SX_mSY_S11_bEUlT_E_NS1_11comp_targetILNS1_3genE10ELNS1_11target_archE1201ELNS1_3gpuE5ELNS1_3repE0EEENS1_30default_config_static_selectorELNS0_4arch9wavefront6targetE0EEEvSV_
                                        ; -- End function
	.set _ZN7rocprim17ROCPRIM_400000_NS6detail17trampoline_kernelINS0_14default_configENS1_27upper_bound_config_selectorIilEEZNS1_14transform_implILb0ES3_S5_N6thrust23THRUST_200600_302600_NS6detail15normal_iteratorINS8_7pointerIiNS8_11hip_rocprim3tagENS8_11use_defaultESE_EEEENSA_INSB_IlSD_SE_SE_EEEEZNS1_13binary_searchIS3_S5_NSA_INS8_10device_ptrIiEEEESG_SI_NS1_21upper_bound_search_opENS9_16wrapped_functionINS8_7greaterIiEEbEEEE10hipError_tPvRmT1_T2_T3_mmT4_T5_P12ihipStream_tbEUlRKiE_EESS_SW_SX_mSY_S11_bEUlT_E_NS1_11comp_targetILNS1_3genE10ELNS1_11target_archE1201ELNS1_3gpuE5ELNS1_3repE0EEENS1_30default_config_static_selectorELNS0_4arch9wavefront6targetE0EEEvSV_.num_vgpr, 0
	.set _ZN7rocprim17ROCPRIM_400000_NS6detail17trampoline_kernelINS0_14default_configENS1_27upper_bound_config_selectorIilEEZNS1_14transform_implILb0ES3_S5_N6thrust23THRUST_200600_302600_NS6detail15normal_iteratorINS8_7pointerIiNS8_11hip_rocprim3tagENS8_11use_defaultESE_EEEENSA_INSB_IlSD_SE_SE_EEEEZNS1_13binary_searchIS3_S5_NSA_INS8_10device_ptrIiEEEESG_SI_NS1_21upper_bound_search_opENS9_16wrapped_functionINS8_7greaterIiEEbEEEE10hipError_tPvRmT1_T2_T3_mmT4_T5_P12ihipStream_tbEUlRKiE_EESS_SW_SX_mSY_S11_bEUlT_E_NS1_11comp_targetILNS1_3genE10ELNS1_11target_archE1201ELNS1_3gpuE5ELNS1_3repE0EEENS1_30default_config_static_selectorELNS0_4arch9wavefront6targetE0EEEvSV_.num_agpr, 0
	.set _ZN7rocprim17ROCPRIM_400000_NS6detail17trampoline_kernelINS0_14default_configENS1_27upper_bound_config_selectorIilEEZNS1_14transform_implILb0ES3_S5_N6thrust23THRUST_200600_302600_NS6detail15normal_iteratorINS8_7pointerIiNS8_11hip_rocprim3tagENS8_11use_defaultESE_EEEENSA_INSB_IlSD_SE_SE_EEEEZNS1_13binary_searchIS3_S5_NSA_INS8_10device_ptrIiEEEESG_SI_NS1_21upper_bound_search_opENS9_16wrapped_functionINS8_7greaterIiEEbEEEE10hipError_tPvRmT1_T2_T3_mmT4_T5_P12ihipStream_tbEUlRKiE_EESS_SW_SX_mSY_S11_bEUlT_E_NS1_11comp_targetILNS1_3genE10ELNS1_11target_archE1201ELNS1_3gpuE5ELNS1_3repE0EEENS1_30default_config_static_selectorELNS0_4arch9wavefront6targetE0EEEvSV_.numbered_sgpr, 0
	.set _ZN7rocprim17ROCPRIM_400000_NS6detail17trampoline_kernelINS0_14default_configENS1_27upper_bound_config_selectorIilEEZNS1_14transform_implILb0ES3_S5_N6thrust23THRUST_200600_302600_NS6detail15normal_iteratorINS8_7pointerIiNS8_11hip_rocprim3tagENS8_11use_defaultESE_EEEENSA_INSB_IlSD_SE_SE_EEEEZNS1_13binary_searchIS3_S5_NSA_INS8_10device_ptrIiEEEESG_SI_NS1_21upper_bound_search_opENS9_16wrapped_functionINS8_7greaterIiEEbEEEE10hipError_tPvRmT1_T2_T3_mmT4_T5_P12ihipStream_tbEUlRKiE_EESS_SW_SX_mSY_S11_bEUlT_E_NS1_11comp_targetILNS1_3genE10ELNS1_11target_archE1201ELNS1_3gpuE5ELNS1_3repE0EEENS1_30default_config_static_selectorELNS0_4arch9wavefront6targetE0EEEvSV_.num_named_barrier, 0
	.set _ZN7rocprim17ROCPRIM_400000_NS6detail17trampoline_kernelINS0_14default_configENS1_27upper_bound_config_selectorIilEEZNS1_14transform_implILb0ES3_S5_N6thrust23THRUST_200600_302600_NS6detail15normal_iteratorINS8_7pointerIiNS8_11hip_rocprim3tagENS8_11use_defaultESE_EEEENSA_INSB_IlSD_SE_SE_EEEEZNS1_13binary_searchIS3_S5_NSA_INS8_10device_ptrIiEEEESG_SI_NS1_21upper_bound_search_opENS9_16wrapped_functionINS8_7greaterIiEEbEEEE10hipError_tPvRmT1_T2_T3_mmT4_T5_P12ihipStream_tbEUlRKiE_EESS_SW_SX_mSY_S11_bEUlT_E_NS1_11comp_targetILNS1_3genE10ELNS1_11target_archE1201ELNS1_3gpuE5ELNS1_3repE0EEENS1_30default_config_static_selectorELNS0_4arch9wavefront6targetE0EEEvSV_.private_seg_size, 0
	.set _ZN7rocprim17ROCPRIM_400000_NS6detail17trampoline_kernelINS0_14default_configENS1_27upper_bound_config_selectorIilEEZNS1_14transform_implILb0ES3_S5_N6thrust23THRUST_200600_302600_NS6detail15normal_iteratorINS8_7pointerIiNS8_11hip_rocprim3tagENS8_11use_defaultESE_EEEENSA_INSB_IlSD_SE_SE_EEEEZNS1_13binary_searchIS3_S5_NSA_INS8_10device_ptrIiEEEESG_SI_NS1_21upper_bound_search_opENS9_16wrapped_functionINS8_7greaterIiEEbEEEE10hipError_tPvRmT1_T2_T3_mmT4_T5_P12ihipStream_tbEUlRKiE_EESS_SW_SX_mSY_S11_bEUlT_E_NS1_11comp_targetILNS1_3genE10ELNS1_11target_archE1201ELNS1_3gpuE5ELNS1_3repE0EEENS1_30default_config_static_selectorELNS0_4arch9wavefront6targetE0EEEvSV_.uses_vcc, 0
	.set _ZN7rocprim17ROCPRIM_400000_NS6detail17trampoline_kernelINS0_14default_configENS1_27upper_bound_config_selectorIilEEZNS1_14transform_implILb0ES3_S5_N6thrust23THRUST_200600_302600_NS6detail15normal_iteratorINS8_7pointerIiNS8_11hip_rocprim3tagENS8_11use_defaultESE_EEEENSA_INSB_IlSD_SE_SE_EEEEZNS1_13binary_searchIS3_S5_NSA_INS8_10device_ptrIiEEEESG_SI_NS1_21upper_bound_search_opENS9_16wrapped_functionINS8_7greaterIiEEbEEEE10hipError_tPvRmT1_T2_T3_mmT4_T5_P12ihipStream_tbEUlRKiE_EESS_SW_SX_mSY_S11_bEUlT_E_NS1_11comp_targetILNS1_3genE10ELNS1_11target_archE1201ELNS1_3gpuE5ELNS1_3repE0EEENS1_30default_config_static_selectorELNS0_4arch9wavefront6targetE0EEEvSV_.uses_flat_scratch, 0
	.set _ZN7rocprim17ROCPRIM_400000_NS6detail17trampoline_kernelINS0_14default_configENS1_27upper_bound_config_selectorIilEEZNS1_14transform_implILb0ES3_S5_N6thrust23THRUST_200600_302600_NS6detail15normal_iteratorINS8_7pointerIiNS8_11hip_rocprim3tagENS8_11use_defaultESE_EEEENSA_INSB_IlSD_SE_SE_EEEEZNS1_13binary_searchIS3_S5_NSA_INS8_10device_ptrIiEEEESG_SI_NS1_21upper_bound_search_opENS9_16wrapped_functionINS8_7greaterIiEEbEEEE10hipError_tPvRmT1_T2_T3_mmT4_T5_P12ihipStream_tbEUlRKiE_EESS_SW_SX_mSY_S11_bEUlT_E_NS1_11comp_targetILNS1_3genE10ELNS1_11target_archE1201ELNS1_3gpuE5ELNS1_3repE0EEENS1_30default_config_static_selectorELNS0_4arch9wavefront6targetE0EEEvSV_.has_dyn_sized_stack, 0
	.set _ZN7rocprim17ROCPRIM_400000_NS6detail17trampoline_kernelINS0_14default_configENS1_27upper_bound_config_selectorIilEEZNS1_14transform_implILb0ES3_S5_N6thrust23THRUST_200600_302600_NS6detail15normal_iteratorINS8_7pointerIiNS8_11hip_rocprim3tagENS8_11use_defaultESE_EEEENSA_INSB_IlSD_SE_SE_EEEEZNS1_13binary_searchIS3_S5_NSA_INS8_10device_ptrIiEEEESG_SI_NS1_21upper_bound_search_opENS9_16wrapped_functionINS8_7greaterIiEEbEEEE10hipError_tPvRmT1_T2_T3_mmT4_T5_P12ihipStream_tbEUlRKiE_EESS_SW_SX_mSY_S11_bEUlT_E_NS1_11comp_targetILNS1_3genE10ELNS1_11target_archE1201ELNS1_3gpuE5ELNS1_3repE0EEENS1_30default_config_static_selectorELNS0_4arch9wavefront6targetE0EEEvSV_.has_recursion, 0
	.set _ZN7rocprim17ROCPRIM_400000_NS6detail17trampoline_kernelINS0_14default_configENS1_27upper_bound_config_selectorIilEEZNS1_14transform_implILb0ES3_S5_N6thrust23THRUST_200600_302600_NS6detail15normal_iteratorINS8_7pointerIiNS8_11hip_rocprim3tagENS8_11use_defaultESE_EEEENSA_INSB_IlSD_SE_SE_EEEEZNS1_13binary_searchIS3_S5_NSA_INS8_10device_ptrIiEEEESG_SI_NS1_21upper_bound_search_opENS9_16wrapped_functionINS8_7greaterIiEEbEEEE10hipError_tPvRmT1_T2_T3_mmT4_T5_P12ihipStream_tbEUlRKiE_EESS_SW_SX_mSY_S11_bEUlT_E_NS1_11comp_targetILNS1_3genE10ELNS1_11target_archE1201ELNS1_3gpuE5ELNS1_3repE0EEENS1_30default_config_static_selectorELNS0_4arch9wavefront6targetE0EEEvSV_.has_indirect_call, 0
	.section	.AMDGPU.csdata,"",@progbits
; Kernel info:
; codeLenInByte = 0
; TotalNumSgprs: 0
; NumVgprs: 0
; ScratchSize: 0
; MemoryBound: 0
; FloatMode: 240
; IeeeMode: 1
; LDSByteSize: 0 bytes/workgroup (compile time only)
; SGPRBlocks: 0
; VGPRBlocks: 0
; NumSGPRsForWavesPerEU: 1
; NumVGPRsForWavesPerEU: 1
; NamedBarCnt: 0
; Occupancy: 16
; WaveLimiterHint : 0
; COMPUTE_PGM_RSRC2:SCRATCH_EN: 0
; COMPUTE_PGM_RSRC2:USER_SGPR: 2
; COMPUTE_PGM_RSRC2:TRAP_HANDLER: 0
; COMPUTE_PGM_RSRC2:TGID_X_EN: 1
; COMPUTE_PGM_RSRC2:TGID_Y_EN: 0
; COMPUTE_PGM_RSRC2:TGID_Z_EN: 0
; COMPUTE_PGM_RSRC2:TIDIG_COMP_CNT: 0
	.section	.text._ZN7rocprim17ROCPRIM_400000_NS6detail17trampoline_kernelINS0_14default_configENS1_27upper_bound_config_selectorIilEEZNS1_14transform_implILb0ES3_S5_N6thrust23THRUST_200600_302600_NS6detail15normal_iteratorINS8_7pointerIiNS8_11hip_rocprim3tagENS8_11use_defaultESE_EEEENSA_INSB_IlSD_SE_SE_EEEEZNS1_13binary_searchIS3_S5_NSA_INS8_10device_ptrIiEEEESG_SI_NS1_21upper_bound_search_opENS9_16wrapped_functionINS8_7greaterIiEEbEEEE10hipError_tPvRmT1_T2_T3_mmT4_T5_P12ihipStream_tbEUlRKiE_EESS_SW_SX_mSY_S11_bEUlT_E_NS1_11comp_targetILNS1_3genE10ELNS1_11target_archE1200ELNS1_3gpuE4ELNS1_3repE0EEENS1_30default_config_static_selectorELNS0_4arch9wavefront6targetE0EEEvSV_,"axG",@progbits,_ZN7rocprim17ROCPRIM_400000_NS6detail17trampoline_kernelINS0_14default_configENS1_27upper_bound_config_selectorIilEEZNS1_14transform_implILb0ES3_S5_N6thrust23THRUST_200600_302600_NS6detail15normal_iteratorINS8_7pointerIiNS8_11hip_rocprim3tagENS8_11use_defaultESE_EEEENSA_INSB_IlSD_SE_SE_EEEEZNS1_13binary_searchIS3_S5_NSA_INS8_10device_ptrIiEEEESG_SI_NS1_21upper_bound_search_opENS9_16wrapped_functionINS8_7greaterIiEEbEEEE10hipError_tPvRmT1_T2_T3_mmT4_T5_P12ihipStream_tbEUlRKiE_EESS_SW_SX_mSY_S11_bEUlT_E_NS1_11comp_targetILNS1_3genE10ELNS1_11target_archE1200ELNS1_3gpuE4ELNS1_3repE0EEENS1_30default_config_static_selectorELNS0_4arch9wavefront6targetE0EEEvSV_,comdat
	.protected	_ZN7rocprim17ROCPRIM_400000_NS6detail17trampoline_kernelINS0_14default_configENS1_27upper_bound_config_selectorIilEEZNS1_14transform_implILb0ES3_S5_N6thrust23THRUST_200600_302600_NS6detail15normal_iteratorINS8_7pointerIiNS8_11hip_rocprim3tagENS8_11use_defaultESE_EEEENSA_INSB_IlSD_SE_SE_EEEEZNS1_13binary_searchIS3_S5_NSA_INS8_10device_ptrIiEEEESG_SI_NS1_21upper_bound_search_opENS9_16wrapped_functionINS8_7greaterIiEEbEEEE10hipError_tPvRmT1_T2_T3_mmT4_T5_P12ihipStream_tbEUlRKiE_EESS_SW_SX_mSY_S11_bEUlT_E_NS1_11comp_targetILNS1_3genE10ELNS1_11target_archE1200ELNS1_3gpuE4ELNS1_3repE0EEENS1_30default_config_static_selectorELNS0_4arch9wavefront6targetE0EEEvSV_ ; -- Begin function _ZN7rocprim17ROCPRIM_400000_NS6detail17trampoline_kernelINS0_14default_configENS1_27upper_bound_config_selectorIilEEZNS1_14transform_implILb0ES3_S5_N6thrust23THRUST_200600_302600_NS6detail15normal_iteratorINS8_7pointerIiNS8_11hip_rocprim3tagENS8_11use_defaultESE_EEEENSA_INSB_IlSD_SE_SE_EEEEZNS1_13binary_searchIS3_S5_NSA_INS8_10device_ptrIiEEEESG_SI_NS1_21upper_bound_search_opENS9_16wrapped_functionINS8_7greaterIiEEbEEEE10hipError_tPvRmT1_T2_T3_mmT4_T5_P12ihipStream_tbEUlRKiE_EESS_SW_SX_mSY_S11_bEUlT_E_NS1_11comp_targetILNS1_3genE10ELNS1_11target_archE1200ELNS1_3gpuE4ELNS1_3repE0EEENS1_30default_config_static_selectorELNS0_4arch9wavefront6targetE0EEEvSV_
	.globl	_ZN7rocprim17ROCPRIM_400000_NS6detail17trampoline_kernelINS0_14default_configENS1_27upper_bound_config_selectorIilEEZNS1_14transform_implILb0ES3_S5_N6thrust23THRUST_200600_302600_NS6detail15normal_iteratorINS8_7pointerIiNS8_11hip_rocprim3tagENS8_11use_defaultESE_EEEENSA_INSB_IlSD_SE_SE_EEEEZNS1_13binary_searchIS3_S5_NSA_INS8_10device_ptrIiEEEESG_SI_NS1_21upper_bound_search_opENS9_16wrapped_functionINS8_7greaterIiEEbEEEE10hipError_tPvRmT1_T2_T3_mmT4_T5_P12ihipStream_tbEUlRKiE_EESS_SW_SX_mSY_S11_bEUlT_E_NS1_11comp_targetILNS1_3genE10ELNS1_11target_archE1200ELNS1_3gpuE4ELNS1_3repE0EEENS1_30default_config_static_selectorELNS0_4arch9wavefront6targetE0EEEvSV_
	.p2align	8
	.type	_ZN7rocprim17ROCPRIM_400000_NS6detail17trampoline_kernelINS0_14default_configENS1_27upper_bound_config_selectorIilEEZNS1_14transform_implILb0ES3_S5_N6thrust23THRUST_200600_302600_NS6detail15normal_iteratorINS8_7pointerIiNS8_11hip_rocprim3tagENS8_11use_defaultESE_EEEENSA_INSB_IlSD_SE_SE_EEEEZNS1_13binary_searchIS3_S5_NSA_INS8_10device_ptrIiEEEESG_SI_NS1_21upper_bound_search_opENS9_16wrapped_functionINS8_7greaterIiEEbEEEE10hipError_tPvRmT1_T2_T3_mmT4_T5_P12ihipStream_tbEUlRKiE_EESS_SW_SX_mSY_S11_bEUlT_E_NS1_11comp_targetILNS1_3genE10ELNS1_11target_archE1200ELNS1_3gpuE4ELNS1_3repE0EEENS1_30default_config_static_selectorELNS0_4arch9wavefront6targetE0EEEvSV_,@function
_ZN7rocprim17ROCPRIM_400000_NS6detail17trampoline_kernelINS0_14default_configENS1_27upper_bound_config_selectorIilEEZNS1_14transform_implILb0ES3_S5_N6thrust23THRUST_200600_302600_NS6detail15normal_iteratorINS8_7pointerIiNS8_11hip_rocprim3tagENS8_11use_defaultESE_EEEENSA_INSB_IlSD_SE_SE_EEEEZNS1_13binary_searchIS3_S5_NSA_INS8_10device_ptrIiEEEESG_SI_NS1_21upper_bound_search_opENS9_16wrapped_functionINS8_7greaterIiEEbEEEE10hipError_tPvRmT1_T2_T3_mmT4_T5_P12ihipStream_tbEUlRKiE_EESS_SW_SX_mSY_S11_bEUlT_E_NS1_11comp_targetILNS1_3genE10ELNS1_11target_archE1200ELNS1_3gpuE4ELNS1_3repE0EEENS1_30default_config_static_selectorELNS0_4arch9wavefront6targetE0EEEvSV_: ; @_ZN7rocprim17ROCPRIM_400000_NS6detail17trampoline_kernelINS0_14default_configENS1_27upper_bound_config_selectorIilEEZNS1_14transform_implILb0ES3_S5_N6thrust23THRUST_200600_302600_NS6detail15normal_iteratorINS8_7pointerIiNS8_11hip_rocprim3tagENS8_11use_defaultESE_EEEENSA_INSB_IlSD_SE_SE_EEEEZNS1_13binary_searchIS3_S5_NSA_INS8_10device_ptrIiEEEESG_SI_NS1_21upper_bound_search_opENS9_16wrapped_functionINS8_7greaterIiEEbEEEE10hipError_tPvRmT1_T2_T3_mmT4_T5_P12ihipStream_tbEUlRKiE_EESS_SW_SX_mSY_S11_bEUlT_E_NS1_11comp_targetILNS1_3genE10ELNS1_11target_archE1200ELNS1_3gpuE4ELNS1_3repE0EEENS1_30default_config_static_selectorELNS0_4arch9wavefront6targetE0EEEvSV_
; %bb.0:
	.section	.rodata,"a",@progbits
	.p2align	6, 0x0
	.amdhsa_kernel _ZN7rocprim17ROCPRIM_400000_NS6detail17trampoline_kernelINS0_14default_configENS1_27upper_bound_config_selectorIilEEZNS1_14transform_implILb0ES3_S5_N6thrust23THRUST_200600_302600_NS6detail15normal_iteratorINS8_7pointerIiNS8_11hip_rocprim3tagENS8_11use_defaultESE_EEEENSA_INSB_IlSD_SE_SE_EEEEZNS1_13binary_searchIS3_S5_NSA_INS8_10device_ptrIiEEEESG_SI_NS1_21upper_bound_search_opENS9_16wrapped_functionINS8_7greaterIiEEbEEEE10hipError_tPvRmT1_T2_T3_mmT4_T5_P12ihipStream_tbEUlRKiE_EESS_SW_SX_mSY_S11_bEUlT_E_NS1_11comp_targetILNS1_3genE10ELNS1_11target_archE1200ELNS1_3gpuE4ELNS1_3repE0EEENS1_30default_config_static_selectorELNS0_4arch9wavefront6targetE0EEEvSV_
		.amdhsa_group_segment_fixed_size 0
		.amdhsa_private_segment_fixed_size 0
		.amdhsa_kernarg_size 56
		.amdhsa_user_sgpr_count 2
		.amdhsa_user_sgpr_dispatch_ptr 0
		.amdhsa_user_sgpr_queue_ptr 0
		.amdhsa_user_sgpr_kernarg_segment_ptr 1
		.amdhsa_user_sgpr_dispatch_id 0
		.amdhsa_user_sgpr_kernarg_preload_length 0
		.amdhsa_user_sgpr_kernarg_preload_offset 0
		.amdhsa_user_sgpr_private_segment_size 0
		.amdhsa_wavefront_size32 1
		.amdhsa_uses_dynamic_stack 0
		.amdhsa_enable_private_segment 0
		.amdhsa_system_sgpr_workgroup_id_x 1
		.amdhsa_system_sgpr_workgroup_id_y 0
		.amdhsa_system_sgpr_workgroup_id_z 0
		.amdhsa_system_sgpr_workgroup_info 0
		.amdhsa_system_vgpr_workitem_id 0
		.amdhsa_next_free_vgpr 1
		.amdhsa_next_free_sgpr 1
		.amdhsa_named_barrier_count 0
		.amdhsa_reserve_vcc 0
		.amdhsa_float_round_mode_32 0
		.amdhsa_float_round_mode_16_64 0
		.amdhsa_float_denorm_mode_32 3
		.amdhsa_float_denorm_mode_16_64 3
		.amdhsa_fp16_overflow 0
		.amdhsa_memory_ordered 1
		.amdhsa_forward_progress 1
		.amdhsa_inst_pref_size 0
		.amdhsa_round_robin_scheduling 0
		.amdhsa_exception_fp_ieee_invalid_op 0
		.amdhsa_exception_fp_denorm_src 0
		.amdhsa_exception_fp_ieee_div_zero 0
		.amdhsa_exception_fp_ieee_overflow 0
		.amdhsa_exception_fp_ieee_underflow 0
		.amdhsa_exception_fp_ieee_inexact 0
		.amdhsa_exception_int_div_zero 0
	.end_amdhsa_kernel
	.section	.text._ZN7rocprim17ROCPRIM_400000_NS6detail17trampoline_kernelINS0_14default_configENS1_27upper_bound_config_selectorIilEEZNS1_14transform_implILb0ES3_S5_N6thrust23THRUST_200600_302600_NS6detail15normal_iteratorINS8_7pointerIiNS8_11hip_rocprim3tagENS8_11use_defaultESE_EEEENSA_INSB_IlSD_SE_SE_EEEEZNS1_13binary_searchIS3_S5_NSA_INS8_10device_ptrIiEEEESG_SI_NS1_21upper_bound_search_opENS9_16wrapped_functionINS8_7greaterIiEEbEEEE10hipError_tPvRmT1_T2_T3_mmT4_T5_P12ihipStream_tbEUlRKiE_EESS_SW_SX_mSY_S11_bEUlT_E_NS1_11comp_targetILNS1_3genE10ELNS1_11target_archE1200ELNS1_3gpuE4ELNS1_3repE0EEENS1_30default_config_static_selectorELNS0_4arch9wavefront6targetE0EEEvSV_,"axG",@progbits,_ZN7rocprim17ROCPRIM_400000_NS6detail17trampoline_kernelINS0_14default_configENS1_27upper_bound_config_selectorIilEEZNS1_14transform_implILb0ES3_S5_N6thrust23THRUST_200600_302600_NS6detail15normal_iteratorINS8_7pointerIiNS8_11hip_rocprim3tagENS8_11use_defaultESE_EEEENSA_INSB_IlSD_SE_SE_EEEEZNS1_13binary_searchIS3_S5_NSA_INS8_10device_ptrIiEEEESG_SI_NS1_21upper_bound_search_opENS9_16wrapped_functionINS8_7greaterIiEEbEEEE10hipError_tPvRmT1_T2_T3_mmT4_T5_P12ihipStream_tbEUlRKiE_EESS_SW_SX_mSY_S11_bEUlT_E_NS1_11comp_targetILNS1_3genE10ELNS1_11target_archE1200ELNS1_3gpuE4ELNS1_3repE0EEENS1_30default_config_static_selectorELNS0_4arch9wavefront6targetE0EEEvSV_,comdat
.Lfunc_end101:
	.size	_ZN7rocprim17ROCPRIM_400000_NS6detail17trampoline_kernelINS0_14default_configENS1_27upper_bound_config_selectorIilEEZNS1_14transform_implILb0ES3_S5_N6thrust23THRUST_200600_302600_NS6detail15normal_iteratorINS8_7pointerIiNS8_11hip_rocprim3tagENS8_11use_defaultESE_EEEENSA_INSB_IlSD_SE_SE_EEEEZNS1_13binary_searchIS3_S5_NSA_INS8_10device_ptrIiEEEESG_SI_NS1_21upper_bound_search_opENS9_16wrapped_functionINS8_7greaterIiEEbEEEE10hipError_tPvRmT1_T2_T3_mmT4_T5_P12ihipStream_tbEUlRKiE_EESS_SW_SX_mSY_S11_bEUlT_E_NS1_11comp_targetILNS1_3genE10ELNS1_11target_archE1200ELNS1_3gpuE4ELNS1_3repE0EEENS1_30default_config_static_selectorELNS0_4arch9wavefront6targetE0EEEvSV_, .Lfunc_end101-_ZN7rocprim17ROCPRIM_400000_NS6detail17trampoline_kernelINS0_14default_configENS1_27upper_bound_config_selectorIilEEZNS1_14transform_implILb0ES3_S5_N6thrust23THRUST_200600_302600_NS6detail15normal_iteratorINS8_7pointerIiNS8_11hip_rocprim3tagENS8_11use_defaultESE_EEEENSA_INSB_IlSD_SE_SE_EEEEZNS1_13binary_searchIS3_S5_NSA_INS8_10device_ptrIiEEEESG_SI_NS1_21upper_bound_search_opENS9_16wrapped_functionINS8_7greaterIiEEbEEEE10hipError_tPvRmT1_T2_T3_mmT4_T5_P12ihipStream_tbEUlRKiE_EESS_SW_SX_mSY_S11_bEUlT_E_NS1_11comp_targetILNS1_3genE10ELNS1_11target_archE1200ELNS1_3gpuE4ELNS1_3repE0EEENS1_30default_config_static_selectorELNS0_4arch9wavefront6targetE0EEEvSV_
                                        ; -- End function
	.set _ZN7rocprim17ROCPRIM_400000_NS6detail17trampoline_kernelINS0_14default_configENS1_27upper_bound_config_selectorIilEEZNS1_14transform_implILb0ES3_S5_N6thrust23THRUST_200600_302600_NS6detail15normal_iteratorINS8_7pointerIiNS8_11hip_rocprim3tagENS8_11use_defaultESE_EEEENSA_INSB_IlSD_SE_SE_EEEEZNS1_13binary_searchIS3_S5_NSA_INS8_10device_ptrIiEEEESG_SI_NS1_21upper_bound_search_opENS9_16wrapped_functionINS8_7greaterIiEEbEEEE10hipError_tPvRmT1_T2_T3_mmT4_T5_P12ihipStream_tbEUlRKiE_EESS_SW_SX_mSY_S11_bEUlT_E_NS1_11comp_targetILNS1_3genE10ELNS1_11target_archE1200ELNS1_3gpuE4ELNS1_3repE0EEENS1_30default_config_static_selectorELNS0_4arch9wavefront6targetE0EEEvSV_.num_vgpr, 0
	.set _ZN7rocprim17ROCPRIM_400000_NS6detail17trampoline_kernelINS0_14default_configENS1_27upper_bound_config_selectorIilEEZNS1_14transform_implILb0ES3_S5_N6thrust23THRUST_200600_302600_NS6detail15normal_iteratorINS8_7pointerIiNS8_11hip_rocprim3tagENS8_11use_defaultESE_EEEENSA_INSB_IlSD_SE_SE_EEEEZNS1_13binary_searchIS3_S5_NSA_INS8_10device_ptrIiEEEESG_SI_NS1_21upper_bound_search_opENS9_16wrapped_functionINS8_7greaterIiEEbEEEE10hipError_tPvRmT1_T2_T3_mmT4_T5_P12ihipStream_tbEUlRKiE_EESS_SW_SX_mSY_S11_bEUlT_E_NS1_11comp_targetILNS1_3genE10ELNS1_11target_archE1200ELNS1_3gpuE4ELNS1_3repE0EEENS1_30default_config_static_selectorELNS0_4arch9wavefront6targetE0EEEvSV_.num_agpr, 0
	.set _ZN7rocprim17ROCPRIM_400000_NS6detail17trampoline_kernelINS0_14default_configENS1_27upper_bound_config_selectorIilEEZNS1_14transform_implILb0ES3_S5_N6thrust23THRUST_200600_302600_NS6detail15normal_iteratorINS8_7pointerIiNS8_11hip_rocprim3tagENS8_11use_defaultESE_EEEENSA_INSB_IlSD_SE_SE_EEEEZNS1_13binary_searchIS3_S5_NSA_INS8_10device_ptrIiEEEESG_SI_NS1_21upper_bound_search_opENS9_16wrapped_functionINS8_7greaterIiEEbEEEE10hipError_tPvRmT1_T2_T3_mmT4_T5_P12ihipStream_tbEUlRKiE_EESS_SW_SX_mSY_S11_bEUlT_E_NS1_11comp_targetILNS1_3genE10ELNS1_11target_archE1200ELNS1_3gpuE4ELNS1_3repE0EEENS1_30default_config_static_selectorELNS0_4arch9wavefront6targetE0EEEvSV_.numbered_sgpr, 0
	.set _ZN7rocprim17ROCPRIM_400000_NS6detail17trampoline_kernelINS0_14default_configENS1_27upper_bound_config_selectorIilEEZNS1_14transform_implILb0ES3_S5_N6thrust23THRUST_200600_302600_NS6detail15normal_iteratorINS8_7pointerIiNS8_11hip_rocprim3tagENS8_11use_defaultESE_EEEENSA_INSB_IlSD_SE_SE_EEEEZNS1_13binary_searchIS3_S5_NSA_INS8_10device_ptrIiEEEESG_SI_NS1_21upper_bound_search_opENS9_16wrapped_functionINS8_7greaterIiEEbEEEE10hipError_tPvRmT1_T2_T3_mmT4_T5_P12ihipStream_tbEUlRKiE_EESS_SW_SX_mSY_S11_bEUlT_E_NS1_11comp_targetILNS1_3genE10ELNS1_11target_archE1200ELNS1_3gpuE4ELNS1_3repE0EEENS1_30default_config_static_selectorELNS0_4arch9wavefront6targetE0EEEvSV_.num_named_barrier, 0
	.set _ZN7rocprim17ROCPRIM_400000_NS6detail17trampoline_kernelINS0_14default_configENS1_27upper_bound_config_selectorIilEEZNS1_14transform_implILb0ES3_S5_N6thrust23THRUST_200600_302600_NS6detail15normal_iteratorINS8_7pointerIiNS8_11hip_rocprim3tagENS8_11use_defaultESE_EEEENSA_INSB_IlSD_SE_SE_EEEEZNS1_13binary_searchIS3_S5_NSA_INS8_10device_ptrIiEEEESG_SI_NS1_21upper_bound_search_opENS9_16wrapped_functionINS8_7greaterIiEEbEEEE10hipError_tPvRmT1_T2_T3_mmT4_T5_P12ihipStream_tbEUlRKiE_EESS_SW_SX_mSY_S11_bEUlT_E_NS1_11comp_targetILNS1_3genE10ELNS1_11target_archE1200ELNS1_3gpuE4ELNS1_3repE0EEENS1_30default_config_static_selectorELNS0_4arch9wavefront6targetE0EEEvSV_.private_seg_size, 0
	.set _ZN7rocprim17ROCPRIM_400000_NS6detail17trampoline_kernelINS0_14default_configENS1_27upper_bound_config_selectorIilEEZNS1_14transform_implILb0ES3_S5_N6thrust23THRUST_200600_302600_NS6detail15normal_iteratorINS8_7pointerIiNS8_11hip_rocprim3tagENS8_11use_defaultESE_EEEENSA_INSB_IlSD_SE_SE_EEEEZNS1_13binary_searchIS3_S5_NSA_INS8_10device_ptrIiEEEESG_SI_NS1_21upper_bound_search_opENS9_16wrapped_functionINS8_7greaterIiEEbEEEE10hipError_tPvRmT1_T2_T3_mmT4_T5_P12ihipStream_tbEUlRKiE_EESS_SW_SX_mSY_S11_bEUlT_E_NS1_11comp_targetILNS1_3genE10ELNS1_11target_archE1200ELNS1_3gpuE4ELNS1_3repE0EEENS1_30default_config_static_selectorELNS0_4arch9wavefront6targetE0EEEvSV_.uses_vcc, 0
	.set _ZN7rocprim17ROCPRIM_400000_NS6detail17trampoline_kernelINS0_14default_configENS1_27upper_bound_config_selectorIilEEZNS1_14transform_implILb0ES3_S5_N6thrust23THRUST_200600_302600_NS6detail15normal_iteratorINS8_7pointerIiNS8_11hip_rocprim3tagENS8_11use_defaultESE_EEEENSA_INSB_IlSD_SE_SE_EEEEZNS1_13binary_searchIS3_S5_NSA_INS8_10device_ptrIiEEEESG_SI_NS1_21upper_bound_search_opENS9_16wrapped_functionINS8_7greaterIiEEbEEEE10hipError_tPvRmT1_T2_T3_mmT4_T5_P12ihipStream_tbEUlRKiE_EESS_SW_SX_mSY_S11_bEUlT_E_NS1_11comp_targetILNS1_3genE10ELNS1_11target_archE1200ELNS1_3gpuE4ELNS1_3repE0EEENS1_30default_config_static_selectorELNS0_4arch9wavefront6targetE0EEEvSV_.uses_flat_scratch, 0
	.set _ZN7rocprim17ROCPRIM_400000_NS6detail17trampoline_kernelINS0_14default_configENS1_27upper_bound_config_selectorIilEEZNS1_14transform_implILb0ES3_S5_N6thrust23THRUST_200600_302600_NS6detail15normal_iteratorINS8_7pointerIiNS8_11hip_rocprim3tagENS8_11use_defaultESE_EEEENSA_INSB_IlSD_SE_SE_EEEEZNS1_13binary_searchIS3_S5_NSA_INS8_10device_ptrIiEEEESG_SI_NS1_21upper_bound_search_opENS9_16wrapped_functionINS8_7greaterIiEEbEEEE10hipError_tPvRmT1_T2_T3_mmT4_T5_P12ihipStream_tbEUlRKiE_EESS_SW_SX_mSY_S11_bEUlT_E_NS1_11comp_targetILNS1_3genE10ELNS1_11target_archE1200ELNS1_3gpuE4ELNS1_3repE0EEENS1_30default_config_static_selectorELNS0_4arch9wavefront6targetE0EEEvSV_.has_dyn_sized_stack, 0
	.set _ZN7rocprim17ROCPRIM_400000_NS6detail17trampoline_kernelINS0_14default_configENS1_27upper_bound_config_selectorIilEEZNS1_14transform_implILb0ES3_S5_N6thrust23THRUST_200600_302600_NS6detail15normal_iteratorINS8_7pointerIiNS8_11hip_rocprim3tagENS8_11use_defaultESE_EEEENSA_INSB_IlSD_SE_SE_EEEEZNS1_13binary_searchIS3_S5_NSA_INS8_10device_ptrIiEEEESG_SI_NS1_21upper_bound_search_opENS9_16wrapped_functionINS8_7greaterIiEEbEEEE10hipError_tPvRmT1_T2_T3_mmT4_T5_P12ihipStream_tbEUlRKiE_EESS_SW_SX_mSY_S11_bEUlT_E_NS1_11comp_targetILNS1_3genE10ELNS1_11target_archE1200ELNS1_3gpuE4ELNS1_3repE0EEENS1_30default_config_static_selectorELNS0_4arch9wavefront6targetE0EEEvSV_.has_recursion, 0
	.set _ZN7rocprim17ROCPRIM_400000_NS6detail17trampoline_kernelINS0_14default_configENS1_27upper_bound_config_selectorIilEEZNS1_14transform_implILb0ES3_S5_N6thrust23THRUST_200600_302600_NS6detail15normal_iteratorINS8_7pointerIiNS8_11hip_rocprim3tagENS8_11use_defaultESE_EEEENSA_INSB_IlSD_SE_SE_EEEEZNS1_13binary_searchIS3_S5_NSA_INS8_10device_ptrIiEEEESG_SI_NS1_21upper_bound_search_opENS9_16wrapped_functionINS8_7greaterIiEEbEEEE10hipError_tPvRmT1_T2_T3_mmT4_T5_P12ihipStream_tbEUlRKiE_EESS_SW_SX_mSY_S11_bEUlT_E_NS1_11comp_targetILNS1_3genE10ELNS1_11target_archE1200ELNS1_3gpuE4ELNS1_3repE0EEENS1_30default_config_static_selectorELNS0_4arch9wavefront6targetE0EEEvSV_.has_indirect_call, 0
	.section	.AMDGPU.csdata,"",@progbits
; Kernel info:
; codeLenInByte = 0
; TotalNumSgprs: 0
; NumVgprs: 0
; ScratchSize: 0
; MemoryBound: 0
; FloatMode: 240
; IeeeMode: 1
; LDSByteSize: 0 bytes/workgroup (compile time only)
; SGPRBlocks: 0
; VGPRBlocks: 0
; NumSGPRsForWavesPerEU: 1
; NumVGPRsForWavesPerEU: 1
; NamedBarCnt: 0
; Occupancy: 16
; WaveLimiterHint : 0
; COMPUTE_PGM_RSRC2:SCRATCH_EN: 0
; COMPUTE_PGM_RSRC2:USER_SGPR: 2
; COMPUTE_PGM_RSRC2:TRAP_HANDLER: 0
; COMPUTE_PGM_RSRC2:TGID_X_EN: 1
; COMPUTE_PGM_RSRC2:TGID_Y_EN: 0
; COMPUTE_PGM_RSRC2:TGID_Z_EN: 0
; COMPUTE_PGM_RSRC2:TIDIG_COMP_CNT: 0
	.section	.text._ZN7rocprim17ROCPRIM_400000_NS6detail17trampoline_kernelINS0_14default_configENS1_27upper_bound_config_selectorIilEEZNS1_14transform_implILb0ES3_S5_N6thrust23THRUST_200600_302600_NS6detail15normal_iteratorINS8_7pointerIiNS8_11hip_rocprim3tagENS8_11use_defaultESE_EEEENSA_INSB_IlSD_SE_SE_EEEEZNS1_13binary_searchIS3_S5_NSA_INS8_10device_ptrIiEEEESG_SI_NS1_21upper_bound_search_opENS9_16wrapped_functionINS8_7greaterIiEEbEEEE10hipError_tPvRmT1_T2_T3_mmT4_T5_P12ihipStream_tbEUlRKiE_EESS_SW_SX_mSY_S11_bEUlT_E_NS1_11comp_targetILNS1_3genE9ELNS1_11target_archE1100ELNS1_3gpuE3ELNS1_3repE0EEENS1_30default_config_static_selectorELNS0_4arch9wavefront6targetE0EEEvSV_,"axG",@progbits,_ZN7rocprim17ROCPRIM_400000_NS6detail17trampoline_kernelINS0_14default_configENS1_27upper_bound_config_selectorIilEEZNS1_14transform_implILb0ES3_S5_N6thrust23THRUST_200600_302600_NS6detail15normal_iteratorINS8_7pointerIiNS8_11hip_rocprim3tagENS8_11use_defaultESE_EEEENSA_INSB_IlSD_SE_SE_EEEEZNS1_13binary_searchIS3_S5_NSA_INS8_10device_ptrIiEEEESG_SI_NS1_21upper_bound_search_opENS9_16wrapped_functionINS8_7greaterIiEEbEEEE10hipError_tPvRmT1_T2_T3_mmT4_T5_P12ihipStream_tbEUlRKiE_EESS_SW_SX_mSY_S11_bEUlT_E_NS1_11comp_targetILNS1_3genE9ELNS1_11target_archE1100ELNS1_3gpuE3ELNS1_3repE0EEENS1_30default_config_static_selectorELNS0_4arch9wavefront6targetE0EEEvSV_,comdat
	.protected	_ZN7rocprim17ROCPRIM_400000_NS6detail17trampoline_kernelINS0_14default_configENS1_27upper_bound_config_selectorIilEEZNS1_14transform_implILb0ES3_S5_N6thrust23THRUST_200600_302600_NS6detail15normal_iteratorINS8_7pointerIiNS8_11hip_rocprim3tagENS8_11use_defaultESE_EEEENSA_INSB_IlSD_SE_SE_EEEEZNS1_13binary_searchIS3_S5_NSA_INS8_10device_ptrIiEEEESG_SI_NS1_21upper_bound_search_opENS9_16wrapped_functionINS8_7greaterIiEEbEEEE10hipError_tPvRmT1_T2_T3_mmT4_T5_P12ihipStream_tbEUlRKiE_EESS_SW_SX_mSY_S11_bEUlT_E_NS1_11comp_targetILNS1_3genE9ELNS1_11target_archE1100ELNS1_3gpuE3ELNS1_3repE0EEENS1_30default_config_static_selectorELNS0_4arch9wavefront6targetE0EEEvSV_ ; -- Begin function _ZN7rocprim17ROCPRIM_400000_NS6detail17trampoline_kernelINS0_14default_configENS1_27upper_bound_config_selectorIilEEZNS1_14transform_implILb0ES3_S5_N6thrust23THRUST_200600_302600_NS6detail15normal_iteratorINS8_7pointerIiNS8_11hip_rocprim3tagENS8_11use_defaultESE_EEEENSA_INSB_IlSD_SE_SE_EEEEZNS1_13binary_searchIS3_S5_NSA_INS8_10device_ptrIiEEEESG_SI_NS1_21upper_bound_search_opENS9_16wrapped_functionINS8_7greaterIiEEbEEEE10hipError_tPvRmT1_T2_T3_mmT4_T5_P12ihipStream_tbEUlRKiE_EESS_SW_SX_mSY_S11_bEUlT_E_NS1_11comp_targetILNS1_3genE9ELNS1_11target_archE1100ELNS1_3gpuE3ELNS1_3repE0EEENS1_30default_config_static_selectorELNS0_4arch9wavefront6targetE0EEEvSV_
	.globl	_ZN7rocprim17ROCPRIM_400000_NS6detail17trampoline_kernelINS0_14default_configENS1_27upper_bound_config_selectorIilEEZNS1_14transform_implILb0ES3_S5_N6thrust23THRUST_200600_302600_NS6detail15normal_iteratorINS8_7pointerIiNS8_11hip_rocprim3tagENS8_11use_defaultESE_EEEENSA_INSB_IlSD_SE_SE_EEEEZNS1_13binary_searchIS3_S5_NSA_INS8_10device_ptrIiEEEESG_SI_NS1_21upper_bound_search_opENS9_16wrapped_functionINS8_7greaterIiEEbEEEE10hipError_tPvRmT1_T2_T3_mmT4_T5_P12ihipStream_tbEUlRKiE_EESS_SW_SX_mSY_S11_bEUlT_E_NS1_11comp_targetILNS1_3genE9ELNS1_11target_archE1100ELNS1_3gpuE3ELNS1_3repE0EEENS1_30default_config_static_selectorELNS0_4arch9wavefront6targetE0EEEvSV_
	.p2align	8
	.type	_ZN7rocprim17ROCPRIM_400000_NS6detail17trampoline_kernelINS0_14default_configENS1_27upper_bound_config_selectorIilEEZNS1_14transform_implILb0ES3_S5_N6thrust23THRUST_200600_302600_NS6detail15normal_iteratorINS8_7pointerIiNS8_11hip_rocprim3tagENS8_11use_defaultESE_EEEENSA_INSB_IlSD_SE_SE_EEEEZNS1_13binary_searchIS3_S5_NSA_INS8_10device_ptrIiEEEESG_SI_NS1_21upper_bound_search_opENS9_16wrapped_functionINS8_7greaterIiEEbEEEE10hipError_tPvRmT1_T2_T3_mmT4_T5_P12ihipStream_tbEUlRKiE_EESS_SW_SX_mSY_S11_bEUlT_E_NS1_11comp_targetILNS1_3genE9ELNS1_11target_archE1100ELNS1_3gpuE3ELNS1_3repE0EEENS1_30default_config_static_selectorELNS0_4arch9wavefront6targetE0EEEvSV_,@function
_ZN7rocprim17ROCPRIM_400000_NS6detail17trampoline_kernelINS0_14default_configENS1_27upper_bound_config_selectorIilEEZNS1_14transform_implILb0ES3_S5_N6thrust23THRUST_200600_302600_NS6detail15normal_iteratorINS8_7pointerIiNS8_11hip_rocprim3tagENS8_11use_defaultESE_EEEENSA_INSB_IlSD_SE_SE_EEEEZNS1_13binary_searchIS3_S5_NSA_INS8_10device_ptrIiEEEESG_SI_NS1_21upper_bound_search_opENS9_16wrapped_functionINS8_7greaterIiEEbEEEE10hipError_tPvRmT1_T2_T3_mmT4_T5_P12ihipStream_tbEUlRKiE_EESS_SW_SX_mSY_S11_bEUlT_E_NS1_11comp_targetILNS1_3genE9ELNS1_11target_archE1100ELNS1_3gpuE3ELNS1_3repE0EEENS1_30default_config_static_selectorELNS0_4arch9wavefront6targetE0EEEvSV_: ; @_ZN7rocprim17ROCPRIM_400000_NS6detail17trampoline_kernelINS0_14default_configENS1_27upper_bound_config_selectorIilEEZNS1_14transform_implILb0ES3_S5_N6thrust23THRUST_200600_302600_NS6detail15normal_iteratorINS8_7pointerIiNS8_11hip_rocprim3tagENS8_11use_defaultESE_EEEENSA_INSB_IlSD_SE_SE_EEEEZNS1_13binary_searchIS3_S5_NSA_INS8_10device_ptrIiEEEESG_SI_NS1_21upper_bound_search_opENS9_16wrapped_functionINS8_7greaterIiEEbEEEE10hipError_tPvRmT1_T2_T3_mmT4_T5_P12ihipStream_tbEUlRKiE_EESS_SW_SX_mSY_S11_bEUlT_E_NS1_11comp_targetILNS1_3genE9ELNS1_11target_archE1100ELNS1_3gpuE3ELNS1_3repE0EEENS1_30default_config_static_selectorELNS0_4arch9wavefront6targetE0EEEvSV_
; %bb.0:
	.section	.rodata,"a",@progbits
	.p2align	6, 0x0
	.amdhsa_kernel _ZN7rocprim17ROCPRIM_400000_NS6detail17trampoline_kernelINS0_14default_configENS1_27upper_bound_config_selectorIilEEZNS1_14transform_implILb0ES3_S5_N6thrust23THRUST_200600_302600_NS6detail15normal_iteratorINS8_7pointerIiNS8_11hip_rocprim3tagENS8_11use_defaultESE_EEEENSA_INSB_IlSD_SE_SE_EEEEZNS1_13binary_searchIS3_S5_NSA_INS8_10device_ptrIiEEEESG_SI_NS1_21upper_bound_search_opENS9_16wrapped_functionINS8_7greaterIiEEbEEEE10hipError_tPvRmT1_T2_T3_mmT4_T5_P12ihipStream_tbEUlRKiE_EESS_SW_SX_mSY_S11_bEUlT_E_NS1_11comp_targetILNS1_3genE9ELNS1_11target_archE1100ELNS1_3gpuE3ELNS1_3repE0EEENS1_30default_config_static_selectorELNS0_4arch9wavefront6targetE0EEEvSV_
		.amdhsa_group_segment_fixed_size 0
		.amdhsa_private_segment_fixed_size 0
		.amdhsa_kernarg_size 56
		.amdhsa_user_sgpr_count 2
		.amdhsa_user_sgpr_dispatch_ptr 0
		.amdhsa_user_sgpr_queue_ptr 0
		.amdhsa_user_sgpr_kernarg_segment_ptr 1
		.amdhsa_user_sgpr_dispatch_id 0
		.amdhsa_user_sgpr_kernarg_preload_length 0
		.amdhsa_user_sgpr_kernarg_preload_offset 0
		.amdhsa_user_sgpr_private_segment_size 0
		.amdhsa_wavefront_size32 1
		.amdhsa_uses_dynamic_stack 0
		.amdhsa_enable_private_segment 0
		.amdhsa_system_sgpr_workgroup_id_x 1
		.amdhsa_system_sgpr_workgroup_id_y 0
		.amdhsa_system_sgpr_workgroup_id_z 0
		.amdhsa_system_sgpr_workgroup_info 0
		.amdhsa_system_vgpr_workitem_id 0
		.amdhsa_next_free_vgpr 1
		.amdhsa_next_free_sgpr 1
		.amdhsa_named_barrier_count 0
		.amdhsa_reserve_vcc 0
		.amdhsa_float_round_mode_32 0
		.amdhsa_float_round_mode_16_64 0
		.amdhsa_float_denorm_mode_32 3
		.amdhsa_float_denorm_mode_16_64 3
		.amdhsa_fp16_overflow 0
		.amdhsa_memory_ordered 1
		.amdhsa_forward_progress 1
		.amdhsa_inst_pref_size 0
		.amdhsa_round_robin_scheduling 0
		.amdhsa_exception_fp_ieee_invalid_op 0
		.amdhsa_exception_fp_denorm_src 0
		.amdhsa_exception_fp_ieee_div_zero 0
		.amdhsa_exception_fp_ieee_overflow 0
		.amdhsa_exception_fp_ieee_underflow 0
		.amdhsa_exception_fp_ieee_inexact 0
		.amdhsa_exception_int_div_zero 0
	.end_amdhsa_kernel
	.section	.text._ZN7rocprim17ROCPRIM_400000_NS6detail17trampoline_kernelINS0_14default_configENS1_27upper_bound_config_selectorIilEEZNS1_14transform_implILb0ES3_S5_N6thrust23THRUST_200600_302600_NS6detail15normal_iteratorINS8_7pointerIiNS8_11hip_rocprim3tagENS8_11use_defaultESE_EEEENSA_INSB_IlSD_SE_SE_EEEEZNS1_13binary_searchIS3_S5_NSA_INS8_10device_ptrIiEEEESG_SI_NS1_21upper_bound_search_opENS9_16wrapped_functionINS8_7greaterIiEEbEEEE10hipError_tPvRmT1_T2_T3_mmT4_T5_P12ihipStream_tbEUlRKiE_EESS_SW_SX_mSY_S11_bEUlT_E_NS1_11comp_targetILNS1_3genE9ELNS1_11target_archE1100ELNS1_3gpuE3ELNS1_3repE0EEENS1_30default_config_static_selectorELNS0_4arch9wavefront6targetE0EEEvSV_,"axG",@progbits,_ZN7rocprim17ROCPRIM_400000_NS6detail17trampoline_kernelINS0_14default_configENS1_27upper_bound_config_selectorIilEEZNS1_14transform_implILb0ES3_S5_N6thrust23THRUST_200600_302600_NS6detail15normal_iteratorINS8_7pointerIiNS8_11hip_rocprim3tagENS8_11use_defaultESE_EEEENSA_INSB_IlSD_SE_SE_EEEEZNS1_13binary_searchIS3_S5_NSA_INS8_10device_ptrIiEEEESG_SI_NS1_21upper_bound_search_opENS9_16wrapped_functionINS8_7greaterIiEEbEEEE10hipError_tPvRmT1_T2_T3_mmT4_T5_P12ihipStream_tbEUlRKiE_EESS_SW_SX_mSY_S11_bEUlT_E_NS1_11comp_targetILNS1_3genE9ELNS1_11target_archE1100ELNS1_3gpuE3ELNS1_3repE0EEENS1_30default_config_static_selectorELNS0_4arch9wavefront6targetE0EEEvSV_,comdat
.Lfunc_end102:
	.size	_ZN7rocprim17ROCPRIM_400000_NS6detail17trampoline_kernelINS0_14default_configENS1_27upper_bound_config_selectorIilEEZNS1_14transform_implILb0ES3_S5_N6thrust23THRUST_200600_302600_NS6detail15normal_iteratorINS8_7pointerIiNS8_11hip_rocprim3tagENS8_11use_defaultESE_EEEENSA_INSB_IlSD_SE_SE_EEEEZNS1_13binary_searchIS3_S5_NSA_INS8_10device_ptrIiEEEESG_SI_NS1_21upper_bound_search_opENS9_16wrapped_functionINS8_7greaterIiEEbEEEE10hipError_tPvRmT1_T2_T3_mmT4_T5_P12ihipStream_tbEUlRKiE_EESS_SW_SX_mSY_S11_bEUlT_E_NS1_11comp_targetILNS1_3genE9ELNS1_11target_archE1100ELNS1_3gpuE3ELNS1_3repE0EEENS1_30default_config_static_selectorELNS0_4arch9wavefront6targetE0EEEvSV_, .Lfunc_end102-_ZN7rocprim17ROCPRIM_400000_NS6detail17trampoline_kernelINS0_14default_configENS1_27upper_bound_config_selectorIilEEZNS1_14transform_implILb0ES3_S5_N6thrust23THRUST_200600_302600_NS6detail15normal_iteratorINS8_7pointerIiNS8_11hip_rocprim3tagENS8_11use_defaultESE_EEEENSA_INSB_IlSD_SE_SE_EEEEZNS1_13binary_searchIS3_S5_NSA_INS8_10device_ptrIiEEEESG_SI_NS1_21upper_bound_search_opENS9_16wrapped_functionINS8_7greaterIiEEbEEEE10hipError_tPvRmT1_T2_T3_mmT4_T5_P12ihipStream_tbEUlRKiE_EESS_SW_SX_mSY_S11_bEUlT_E_NS1_11comp_targetILNS1_3genE9ELNS1_11target_archE1100ELNS1_3gpuE3ELNS1_3repE0EEENS1_30default_config_static_selectorELNS0_4arch9wavefront6targetE0EEEvSV_
                                        ; -- End function
	.set _ZN7rocprim17ROCPRIM_400000_NS6detail17trampoline_kernelINS0_14default_configENS1_27upper_bound_config_selectorIilEEZNS1_14transform_implILb0ES3_S5_N6thrust23THRUST_200600_302600_NS6detail15normal_iteratorINS8_7pointerIiNS8_11hip_rocprim3tagENS8_11use_defaultESE_EEEENSA_INSB_IlSD_SE_SE_EEEEZNS1_13binary_searchIS3_S5_NSA_INS8_10device_ptrIiEEEESG_SI_NS1_21upper_bound_search_opENS9_16wrapped_functionINS8_7greaterIiEEbEEEE10hipError_tPvRmT1_T2_T3_mmT4_T5_P12ihipStream_tbEUlRKiE_EESS_SW_SX_mSY_S11_bEUlT_E_NS1_11comp_targetILNS1_3genE9ELNS1_11target_archE1100ELNS1_3gpuE3ELNS1_3repE0EEENS1_30default_config_static_selectorELNS0_4arch9wavefront6targetE0EEEvSV_.num_vgpr, 0
	.set _ZN7rocprim17ROCPRIM_400000_NS6detail17trampoline_kernelINS0_14default_configENS1_27upper_bound_config_selectorIilEEZNS1_14transform_implILb0ES3_S5_N6thrust23THRUST_200600_302600_NS6detail15normal_iteratorINS8_7pointerIiNS8_11hip_rocprim3tagENS8_11use_defaultESE_EEEENSA_INSB_IlSD_SE_SE_EEEEZNS1_13binary_searchIS3_S5_NSA_INS8_10device_ptrIiEEEESG_SI_NS1_21upper_bound_search_opENS9_16wrapped_functionINS8_7greaterIiEEbEEEE10hipError_tPvRmT1_T2_T3_mmT4_T5_P12ihipStream_tbEUlRKiE_EESS_SW_SX_mSY_S11_bEUlT_E_NS1_11comp_targetILNS1_3genE9ELNS1_11target_archE1100ELNS1_3gpuE3ELNS1_3repE0EEENS1_30default_config_static_selectorELNS0_4arch9wavefront6targetE0EEEvSV_.num_agpr, 0
	.set _ZN7rocprim17ROCPRIM_400000_NS6detail17trampoline_kernelINS0_14default_configENS1_27upper_bound_config_selectorIilEEZNS1_14transform_implILb0ES3_S5_N6thrust23THRUST_200600_302600_NS6detail15normal_iteratorINS8_7pointerIiNS8_11hip_rocprim3tagENS8_11use_defaultESE_EEEENSA_INSB_IlSD_SE_SE_EEEEZNS1_13binary_searchIS3_S5_NSA_INS8_10device_ptrIiEEEESG_SI_NS1_21upper_bound_search_opENS9_16wrapped_functionINS8_7greaterIiEEbEEEE10hipError_tPvRmT1_T2_T3_mmT4_T5_P12ihipStream_tbEUlRKiE_EESS_SW_SX_mSY_S11_bEUlT_E_NS1_11comp_targetILNS1_3genE9ELNS1_11target_archE1100ELNS1_3gpuE3ELNS1_3repE0EEENS1_30default_config_static_selectorELNS0_4arch9wavefront6targetE0EEEvSV_.numbered_sgpr, 0
	.set _ZN7rocprim17ROCPRIM_400000_NS6detail17trampoline_kernelINS0_14default_configENS1_27upper_bound_config_selectorIilEEZNS1_14transform_implILb0ES3_S5_N6thrust23THRUST_200600_302600_NS6detail15normal_iteratorINS8_7pointerIiNS8_11hip_rocprim3tagENS8_11use_defaultESE_EEEENSA_INSB_IlSD_SE_SE_EEEEZNS1_13binary_searchIS3_S5_NSA_INS8_10device_ptrIiEEEESG_SI_NS1_21upper_bound_search_opENS9_16wrapped_functionINS8_7greaterIiEEbEEEE10hipError_tPvRmT1_T2_T3_mmT4_T5_P12ihipStream_tbEUlRKiE_EESS_SW_SX_mSY_S11_bEUlT_E_NS1_11comp_targetILNS1_3genE9ELNS1_11target_archE1100ELNS1_3gpuE3ELNS1_3repE0EEENS1_30default_config_static_selectorELNS0_4arch9wavefront6targetE0EEEvSV_.num_named_barrier, 0
	.set _ZN7rocprim17ROCPRIM_400000_NS6detail17trampoline_kernelINS0_14default_configENS1_27upper_bound_config_selectorIilEEZNS1_14transform_implILb0ES3_S5_N6thrust23THRUST_200600_302600_NS6detail15normal_iteratorINS8_7pointerIiNS8_11hip_rocprim3tagENS8_11use_defaultESE_EEEENSA_INSB_IlSD_SE_SE_EEEEZNS1_13binary_searchIS3_S5_NSA_INS8_10device_ptrIiEEEESG_SI_NS1_21upper_bound_search_opENS9_16wrapped_functionINS8_7greaterIiEEbEEEE10hipError_tPvRmT1_T2_T3_mmT4_T5_P12ihipStream_tbEUlRKiE_EESS_SW_SX_mSY_S11_bEUlT_E_NS1_11comp_targetILNS1_3genE9ELNS1_11target_archE1100ELNS1_3gpuE3ELNS1_3repE0EEENS1_30default_config_static_selectorELNS0_4arch9wavefront6targetE0EEEvSV_.private_seg_size, 0
	.set _ZN7rocprim17ROCPRIM_400000_NS6detail17trampoline_kernelINS0_14default_configENS1_27upper_bound_config_selectorIilEEZNS1_14transform_implILb0ES3_S5_N6thrust23THRUST_200600_302600_NS6detail15normal_iteratorINS8_7pointerIiNS8_11hip_rocprim3tagENS8_11use_defaultESE_EEEENSA_INSB_IlSD_SE_SE_EEEEZNS1_13binary_searchIS3_S5_NSA_INS8_10device_ptrIiEEEESG_SI_NS1_21upper_bound_search_opENS9_16wrapped_functionINS8_7greaterIiEEbEEEE10hipError_tPvRmT1_T2_T3_mmT4_T5_P12ihipStream_tbEUlRKiE_EESS_SW_SX_mSY_S11_bEUlT_E_NS1_11comp_targetILNS1_3genE9ELNS1_11target_archE1100ELNS1_3gpuE3ELNS1_3repE0EEENS1_30default_config_static_selectorELNS0_4arch9wavefront6targetE0EEEvSV_.uses_vcc, 0
	.set _ZN7rocprim17ROCPRIM_400000_NS6detail17trampoline_kernelINS0_14default_configENS1_27upper_bound_config_selectorIilEEZNS1_14transform_implILb0ES3_S5_N6thrust23THRUST_200600_302600_NS6detail15normal_iteratorINS8_7pointerIiNS8_11hip_rocprim3tagENS8_11use_defaultESE_EEEENSA_INSB_IlSD_SE_SE_EEEEZNS1_13binary_searchIS3_S5_NSA_INS8_10device_ptrIiEEEESG_SI_NS1_21upper_bound_search_opENS9_16wrapped_functionINS8_7greaterIiEEbEEEE10hipError_tPvRmT1_T2_T3_mmT4_T5_P12ihipStream_tbEUlRKiE_EESS_SW_SX_mSY_S11_bEUlT_E_NS1_11comp_targetILNS1_3genE9ELNS1_11target_archE1100ELNS1_3gpuE3ELNS1_3repE0EEENS1_30default_config_static_selectorELNS0_4arch9wavefront6targetE0EEEvSV_.uses_flat_scratch, 0
	.set _ZN7rocprim17ROCPRIM_400000_NS6detail17trampoline_kernelINS0_14default_configENS1_27upper_bound_config_selectorIilEEZNS1_14transform_implILb0ES3_S5_N6thrust23THRUST_200600_302600_NS6detail15normal_iteratorINS8_7pointerIiNS8_11hip_rocprim3tagENS8_11use_defaultESE_EEEENSA_INSB_IlSD_SE_SE_EEEEZNS1_13binary_searchIS3_S5_NSA_INS8_10device_ptrIiEEEESG_SI_NS1_21upper_bound_search_opENS9_16wrapped_functionINS8_7greaterIiEEbEEEE10hipError_tPvRmT1_T2_T3_mmT4_T5_P12ihipStream_tbEUlRKiE_EESS_SW_SX_mSY_S11_bEUlT_E_NS1_11comp_targetILNS1_3genE9ELNS1_11target_archE1100ELNS1_3gpuE3ELNS1_3repE0EEENS1_30default_config_static_selectorELNS0_4arch9wavefront6targetE0EEEvSV_.has_dyn_sized_stack, 0
	.set _ZN7rocprim17ROCPRIM_400000_NS6detail17trampoline_kernelINS0_14default_configENS1_27upper_bound_config_selectorIilEEZNS1_14transform_implILb0ES3_S5_N6thrust23THRUST_200600_302600_NS6detail15normal_iteratorINS8_7pointerIiNS8_11hip_rocprim3tagENS8_11use_defaultESE_EEEENSA_INSB_IlSD_SE_SE_EEEEZNS1_13binary_searchIS3_S5_NSA_INS8_10device_ptrIiEEEESG_SI_NS1_21upper_bound_search_opENS9_16wrapped_functionINS8_7greaterIiEEbEEEE10hipError_tPvRmT1_T2_T3_mmT4_T5_P12ihipStream_tbEUlRKiE_EESS_SW_SX_mSY_S11_bEUlT_E_NS1_11comp_targetILNS1_3genE9ELNS1_11target_archE1100ELNS1_3gpuE3ELNS1_3repE0EEENS1_30default_config_static_selectorELNS0_4arch9wavefront6targetE0EEEvSV_.has_recursion, 0
	.set _ZN7rocprim17ROCPRIM_400000_NS6detail17trampoline_kernelINS0_14default_configENS1_27upper_bound_config_selectorIilEEZNS1_14transform_implILb0ES3_S5_N6thrust23THRUST_200600_302600_NS6detail15normal_iteratorINS8_7pointerIiNS8_11hip_rocprim3tagENS8_11use_defaultESE_EEEENSA_INSB_IlSD_SE_SE_EEEEZNS1_13binary_searchIS3_S5_NSA_INS8_10device_ptrIiEEEESG_SI_NS1_21upper_bound_search_opENS9_16wrapped_functionINS8_7greaterIiEEbEEEE10hipError_tPvRmT1_T2_T3_mmT4_T5_P12ihipStream_tbEUlRKiE_EESS_SW_SX_mSY_S11_bEUlT_E_NS1_11comp_targetILNS1_3genE9ELNS1_11target_archE1100ELNS1_3gpuE3ELNS1_3repE0EEENS1_30default_config_static_selectorELNS0_4arch9wavefront6targetE0EEEvSV_.has_indirect_call, 0
	.section	.AMDGPU.csdata,"",@progbits
; Kernel info:
; codeLenInByte = 0
; TotalNumSgprs: 0
; NumVgprs: 0
; ScratchSize: 0
; MemoryBound: 0
; FloatMode: 240
; IeeeMode: 1
; LDSByteSize: 0 bytes/workgroup (compile time only)
; SGPRBlocks: 0
; VGPRBlocks: 0
; NumSGPRsForWavesPerEU: 1
; NumVGPRsForWavesPerEU: 1
; NamedBarCnt: 0
; Occupancy: 16
; WaveLimiterHint : 0
; COMPUTE_PGM_RSRC2:SCRATCH_EN: 0
; COMPUTE_PGM_RSRC2:USER_SGPR: 2
; COMPUTE_PGM_RSRC2:TRAP_HANDLER: 0
; COMPUTE_PGM_RSRC2:TGID_X_EN: 1
; COMPUTE_PGM_RSRC2:TGID_Y_EN: 0
; COMPUTE_PGM_RSRC2:TGID_Z_EN: 0
; COMPUTE_PGM_RSRC2:TIDIG_COMP_CNT: 0
	.section	.text._ZN7rocprim17ROCPRIM_400000_NS6detail17trampoline_kernelINS0_14default_configENS1_27upper_bound_config_selectorIilEEZNS1_14transform_implILb0ES3_S5_N6thrust23THRUST_200600_302600_NS6detail15normal_iteratorINS8_7pointerIiNS8_11hip_rocprim3tagENS8_11use_defaultESE_EEEENSA_INSB_IlSD_SE_SE_EEEEZNS1_13binary_searchIS3_S5_NSA_INS8_10device_ptrIiEEEESG_SI_NS1_21upper_bound_search_opENS9_16wrapped_functionINS8_7greaterIiEEbEEEE10hipError_tPvRmT1_T2_T3_mmT4_T5_P12ihipStream_tbEUlRKiE_EESS_SW_SX_mSY_S11_bEUlT_E_NS1_11comp_targetILNS1_3genE8ELNS1_11target_archE1030ELNS1_3gpuE2ELNS1_3repE0EEENS1_30default_config_static_selectorELNS0_4arch9wavefront6targetE0EEEvSV_,"axG",@progbits,_ZN7rocprim17ROCPRIM_400000_NS6detail17trampoline_kernelINS0_14default_configENS1_27upper_bound_config_selectorIilEEZNS1_14transform_implILb0ES3_S5_N6thrust23THRUST_200600_302600_NS6detail15normal_iteratorINS8_7pointerIiNS8_11hip_rocprim3tagENS8_11use_defaultESE_EEEENSA_INSB_IlSD_SE_SE_EEEEZNS1_13binary_searchIS3_S5_NSA_INS8_10device_ptrIiEEEESG_SI_NS1_21upper_bound_search_opENS9_16wrapped_functionINS8_7greaterIiEEbEEEE10hipError_tPvRmT1_T2_T3_mmT4_T5_P12ihipStream_tbEUlRKiE_EESS_SW_SX_mSY_S11_bEUlT_E_NS1_11comp_targetILNS1_3genE8ELNS1_11target_archE1030ELNS1_3gpuE2ELNS1_3repE0EEENS1_30default_config_static_selectorELNS0_4arch9wavefront6targetE0EEEvSV_,comdat
	.protected	_ZN7rocprim17ROCPRIM_400000_NS6detail17trampoline_kernelINS0_14default_configENS1_27upper_bound_config_selectorIilEEZNS1_14transform_implILb0ES3_S5_N6thrust23THRUST_200600_302600_NS6detail15normal_iteratorINS8_7pointerIiNS8_11hip_rocprim3tagENS8_11use_defaultESE_EEEENSA_INSB_IlSD_SE_SE_EEEEZNS1_13binary_searchIS3_S5_NSA_INS8_10device_ptrIiEEEESG_SI_NS1_21upper_bound_search_opENS9_16wrapped_functionINS8_7greaterIiEEbEEEE10hipError_tPvRmT1_T2_T3_mmT4_T5_P12ihipStream_tbEUlRKiE_EESS_SW_SX_mSY_S11_bEUlT_E_NS1_11comp_targetILNS1_3genE8ELNS1_11target_archE1030ELNS1_3gpuE2ELNS1_3repE0EEENS1_30default_config_static_selectorELNS0_4arch9wavefront6targetE0EEEvSV_ ; -- Begin function _ZN7rocprim17ROCPRIM_400000_NS6detail17trampoline_kernelINS0_14default_configENS1_27upper_bound_config_selectorIilEEZNS1_14transform_implILb0ES3_S5_N6thrust23THRUST_200600_302600_NS6detail15normal_iteratorINS8_7pointerIiNS8_11hip_rocprim3tagENS8_11use_defaultESE_EEEENSA_INSB_IlSD_SE_SE_EEEEZNS1_13binary_searchIS3_S5_NSA_INS8_10device_ptrIiEEEESG_SI_NS1_21upper_bound_search_opENS9_16wrapped_functionINS8_7greaterIiEEbEEEE10hipError_tPvRmT1_T2_T3_mmT4_T5_P12ihipStream_tbEUlRKiE_EESS_SW_SX_mSY_S11_bEUlT_E_NS1_11comp_targetILNS1_3genE8ELNS1_11target_archE1030ELNS1_3gpuE2ELNS1_3repE0EEENS1_30default_config_static_selectorELNS0_4arch9wavefront6targetE0EEEvSV_
	.globl	_ZN7rocprim17ROCPRIM_400000_NS6detail17trampoline_kernelINS0_14default_configENS1_27upper_bound_config_selectorIilEEZNS1_14transform_implILb0ES3_S5_N6thrust23THRUST_200600_302600_NS6detail15normal_iteratorINS8_7pointerIiNS8_11hip_rocprim3tagENS8_11use_defaultESE_EEEENSA_INSB_IlSD_SE_SE_EEEEZNS1_13binary_searchIS3_S5_NSA_INS8_10device_ptrIiEEEESG_SI_NS1_21upper_bound_search_opENS9_16wrapped_functionINS8_7greaterIiEEbEEEE10hipError_tPvRmT1_T2_T3_mmT4_T5_P12ihipStream_tbEUlRKiE_EESS_SW_SX_mSY_S11_bEUlT_E_NS1_11comp_targetILNS1_3genE8ELNS1_11target_archE1030ELNS1_3gpuE2ELNS1_3repE0EEENS1_30default_config_static_selectorELNS0_4arch9wavefront6targetE0EEEvSV_
	.p2align	8
	.type	_ZN7rocprim17ROCPRIM_400000_NS6detail17trampoline_kernelINS0_14default_configENS1_27upper_bound_config_selectorIilEEZNS1_14transform_implILb0ES3_S5_N6thrust23THRUST_200600_302600_NS6detail15normal_iteratorINS8_7pointerIiNS8_11hip_rocprim3tagENS8_11use_defaultESE_EEEENSA_INSB_IlSD_SE_SE_EEEEZNS1_13binary_searchIS3_S5_NSA_INS8_10device_ptrIiEEEESG_SI_NS1_21upper_bound_search_opENS9_16wrapped_functionINS8_7greaterIiEEbEEEE10hipError_tPvRmT1_T2_T3_mmT4_T5_P12ihipStream_tbEUlRKiE_EESS_SW_SX_mSY_S11_bEUlT_E_NS1_11comp_targetILNS1_3genE8ELNS1_11target_archE1030ELNS1_3gpuE2ELNS1_3repE0EEENS1_30default_config_static_selectorELNS0_4arch9wavefront6targetE0EEEvSV_,@function
_ZN7rocprim17ROCPRIM_400000_NS6detail17trampoline_kernelINS0_14default_configENS1_27upper_bound_config_selectorIilEEZNS1_14transform_implILb0ES3_S5_N6thrust23THRUST_200600_302600_NS6detail15normal_iteratorINS8_7pointerIiNS8_11hip_rocprim3tagENS8_11use_defaultESE_EEEENSA_INSB_IlSD_SE_SE_EEEEZNS1_13binary_searchIS3_S5_NSA_INS8_10device_ptrIiEEEESG_SI_NS1_21upper_bound_search_opENS9_16wrapped_functionINS8_7greaterIiEEbEEEE10hipError_tPvRmT1_T2_T3_mmT4_T5_P12ihipStream_tbEUlRKiE_EESS_SW_SX_mSY_S11_bEUlT_E_NS1_11comp_targetILNS1_3genE8ELNS1_11target_archE1030ELNS1_3gpuE2ELNS1_3repE0EEENS1_30default_config_static_selectorELNS0_4arch9wavefront6targetE0EEEvSV_: ; @_ZN7rocprim17ROCPRIM_400000_NS6detail17trampoline_kernelINS0_14default_configENS1_27upper_bound_config_selectorIilEEZNS1_14transform_implILb0ES3_S5_N6thrust23THRUST_200600_302600_NS6detail15normal_iteratorINS8_7pointerIiNS8_11hip_rocprim3tagENS8_11use_defaultESE_EEEENSA_INSB_IlSD_SE_SE_EEEEZNS1_13binary_searchIS3_S5_NSA_INS8_10device_ptrIiEEEESG_SI_NS1_21upper_bound_search_opENS9_16wrapped_functionINS8_7greaterIiEEbEEEE10hipError_tPvRmT1_T2_T3_mmT4_T5_P12ihipStream_tbEUlRKiE_EESS_SW_SX_mSY_S11_bEUlT_E_NS1_11comp_targetILNS1_3genE8ELNS1_11target_archE1030ELNS1_3gpuE2ELNS1_3repE0EEENS1_30default_config_static_selectorELNS0_4arch9wavefront6targetE0EEEvSV_
; %bb.0:
	.section	.rodata,"a",@progbits
	.p2align	6, 0x0
	.amdhsa_kernel _ZN7rocprim17ROCPRIM_400000_NS6detail17trampoline_kernelINS0_14default_configENS1_27upper_bound_config_selectorIilEEZNS1_14transform_implILb0ES3_S5_N6thrust23THRUST_200600_302600_NS6detail15normal_iteratorINS8_7pointerIiNS8_11hip_rocprim3tagENS8_11use_defaultESE_EEEENSA_INSB_IlSD_SE_SE_EEEEZNS1_13binary_searchIS3_S5_NSA_INS8_10device_ptrIiEEEESG_SI_NS1_21upper_bound_search_opENS9_16wrapped_functionINS8_7greaterIiEEbEEEE10hipError_tPvRmT1_T2_T3_mmT4_T5_P12ihipStream_tbEUlRKiE_EESS_SW_SX_mSY_S11_bEUlT_E_NS1_11comp_targetILNS1_3genE8ELNS1_11target_archE1030ELNS1_3gpuE2ELNS1_3repE0EEENS1_30default_config_static_selectorELNS0_4arch9wavefront6targetE0EEEvSV_
		.amdhsa_group_segment_fixed_size 0
		.amdhsa_private_segment_fixed_size 0
		.amdhsa_kernarg_size 56
		.amdhsa_user_sgpr_count 2
		.amdhsa_user_sgpr_dispatch_ptr 0
		.amdhsa_user_sgpr_queue_ptr 0
		.amdhsa_user_sgpr_kernarg_segment_ptr 1
		.amdhsa_user_sgpr_dispatch_id 0
		.amdhsa_user_sgpr_kernarg_preload_length 0
		.amdhsa_user_sgpr_kernarg_preload_offset 0
		.amdhsa_user_sgpr_private_segment_size 0
		.amdhsa_wavefront_size32 1
		.amdhsa_uses_dynamic_stack 0
		.amdhsa_enable_private_segment 0
		.amdhsa_system_sgpr_workgroup_id_x 1
		.amdhsa_system_sgpr_workgroup_id_y 0
		.amdhsa_system_sgpr_workgroup_id_z 0
		.amdhsa_system_sgpr_workgroup_info 0
		.amdhsa_system_vgpr_workitem_id 0
		.amdhsa_next_free_vgpr 1
		.amdhsa_next_free_sgpr 1
		.amdhsa_named_barrier_count 0
		.amdhsa_reserve_vcc 0
		.amdhsa_float_round_mode_32 0
		.amdhsa_float_round_mode_16_64 0
		.amdhsa_float_denorm_mode_32 3
		.amdhsa_float_denorm_mode_16_64 3
		.amdhsa_fp16_overflow 0
		.amdhsa_memory_ordered 1
		.amdhsa_forward_progress 1
		.amdhsa_inst_pref_size 0
		.amdhsa_round_robin_scheduling 0
		.amdhsa_exception_fp_ieee_invalid_op 0
		.amdhsa_exception_fp_denorm_src 0
		.amdhsa_exception_fp_ieee_div_zero 0
		.amdhsa_exception_fp_ieee_overflow 0
		.amdhsa_exception_fp_ieee_underflow 0
		.amdhsa_exception_fp_ieee_inexact 0
		.amdhsa_exception_int_div_zero 0
	.end_amdhsa_kernel
	.section	.text._ZN7rocprim17ROCPRIM_400000_NS6detail17trampoline_kernelINS0_14default_configENS1_27upper_bound_config_selectorIilEEZNS1_14transform_implILb0ES3_S5_N6thrust23THRUST_200600_302600_NS6detail15normal_iteratorINS8_7pointerIiNS8_11hip_rocprim3tagENS8_11use_defaultESE_EEEENSA_INSB_IlSD_SE_SE_EEEEZNS1_13binary_searchIS3_S5_NSA_INS8_10device_ptrIiEEEESG_SI_NS1_21upper_bound_search_opENS9_16wrapped_functionINS8_7greaterIiEEbEEEE10hipError_tPvRmT1_T2_T3_mmT4_T5_P12ihipStream_tbEUlRKiE_EESS_SW_SX_mSY_S11_bEUlT_E_NS1_11comp_targetILNS1_3genE8ELNS1_11target_archE1030ELNS1_3gpuE2ELNS1_3repE0EEENS1_30default_config_static_selectorELNS0_4arch9wavefront6targetE0EEEvSV_,"axG",@progbits,_ZN7rocprim17ROCPRIM_400000_NS6detail17trampoline_kernelINS0_14default_configENS1_27upper_bound_config_selectorIilEEZNS1_14transform_implILb0ES3_S5_N6thrust23THRUST_200600_302600_NS6detail15normal_iteratorINS8_7pointerIiNS8_11hip_rocprim3tagENS8_11use_defaultESE_EEEENSA_INSB_IlSD_SE_SE_EEEEZNS1_13binary_searchIS3_S5_NSA_INS8_10device_ptrIiEEEESG_SI_NS1_21upper_bound_search_opENS9_16wrapped_functionINS8_7greaterIiEEbEEEE10hipError_tPvRmT1_T2_T3_mmT4_T5_P12ihipStream_tbEUlRKiE_EESS_SW_SX_mSY_S11_bEUlT_E_NS1_11comp_targetILNS1_3genE8ELNS1_11target_archE1030ELNS1_3gpuE2ELNS1_3repE0EEENS1_30default_config_static_selectorELNS0_4arch9wavefront6targetE0EEEvSV_,comdat
.Lfunc_end103:
	.size	_ZN7rocprim17ROCPRIM_400000_NS6detail17trampoline_kernelINS0_14default_configENS1_27upper_bound_config_selectorIilEEZNS1_14transform_implILb0ES3_S5_N6thrust23THRUST_200600_302600_NS6detail15normal_iteratorINS8_7pointerIiNS8_11hip_rocprim3tagENS8_11use_defaultESE_EEEENSA_INSB_IlSD_SE_SE_EEEEZNS1_13binary_searchIS3_S5_NSA_INS8_10device_ptrIiEEEESG_SI_NS1_21upper_bound_search_opENS9_16wrapped_functionINS8_7greaterIiEEbEEEE10hipError_tPvRmT1_T2_T3_mmT4_T5_P12ihipStream_tbEUlRKiE_EESS_SW_SX_mSY_S11_bEUlT_E_NS1_11comp_targetILNS1_3genE8ELNS1_11target_archE1030ELNS1_3gpuE2ELNS1_3repE0EEENS1_30default_config_static_selectorELNS0_4arch9wavefront6targetE0EEEvSV_, .Lfunc_end103-_ZN7rocprim17ROCPRIM_400000_NS6detail17trampoline_kernelINS0_14default_configENS1_27upper_bound_config_selectorIilEEZNS1_14transform_implILb0ES3_S5_N6thrust23THRUST_200600_302600_NS6detail15normal_iteratorINS8_7pointerIiNS8_11hip_rocprim3tagENS8_11use_defaultESE_EEEENSA_INSB_IlSD_SE_SE_EEEEZNS1_13binary_searchIS3_S5_NSA_INS8_10device_ptrIiEEEESG_SI_NS1_21upper_bound_search_opENS9_16wrapped_functionINS8_7greaterIiEEbEEEE10hipError_tPvRmT1_T2_T3_mmT4_T5_P12ihipStream_tbEUlRKiE_EESS_SW_SX_mSY_S11_bEUlT_E_NS1_11comp_targetILNS1_3genE8ELNS1_11target_archE1030ELNS1_3gpuE2ELNS1_3repE0EEENS1_30default_config_static_selectorELNS0_4arch9wavefront6targetE0EEEvSV_
                                        ; -- End function
	.set _ZN7rocprim17ROCPRIM_400000_NS6detail17trampoline_kernelINS0_14default_configENS1_27upper_bound_config_selectorIilEEZNS1_14transform_implILb0ES3_S5_N6thrust23THRUST_200600_302600_NS6detail15normal_iteratorINS8_7pointerIiNS8_11hip_rocprim3tagENS8_11use_defaultESE_EEEENSA_INSB_IlSD_SE_SE_EEEEZNS1_13binary_searchIS3_S5_NSA_INS8_10device_ptrIiEEEESG_SI_NS1_21upper_bound_search_opENS9_16wrapped_functionINS8_7greaterIiEEbEEEE10hipError_tPvRmT1_T2_T3_mmT4_T5_P12ihipStream_tbEUlRKiE_EESS_SW_SX_mSY_S11_bEUlT_E_NS1_11comp_targetILNS1_3genE8ELNS1_11target_archE1030ELNS1_3gpuE2ELNS1_3repE0EEENS1_30default_config_static_selectorELNS0_4arch9wavefront6targetE0EEEvSV_.num_vgpr, 0
	.set _ZN7rocprim17ROCPRIM_400000_NS6detail17trampoline_kernelINS0_14default_configENS1_27upper_bound_config_selectorIilEEZNS1_14transform_implILb0ES3_S5_N6thrust23THRUST_200600_302600_NS6detail15normal_iteratorINS8_7pointerIiNS8_11hip_rocprim3tagENS8_11use_defaultESE_EEEENSA_INSB_IlSD_SE_SE_EEEEZNS1_13binary_searchIS3_S5_NSA_INS8_10device_ptrIiEEEESG_SI_NS1_21upper_bound_search_opENS9_16wrapped_functionINS8_7greaterIiEEbEEEE10hipError_tPvRmT1_T2_T3_mmT4_T5_P12ihipStream_tbEUlRKiE_EESS_SW_SX_mSY_S11_bEUlT_E_NS1_11comp_targetILNS1_3genE8ELNS1_11target_archE1030ELNS1_3gpuE2ELNS1_3repE0EEENS1_30default_config_static_selectorELNS0_4arch9wavefront6targetE0EEEvSV_.num_agpr, 0
	.set _ZN7rocprim17ROCPRIM_400000_NS6detail17trampoline_kernelINS0_14default_configENS1_27upper_bound_config_selectorIilEEZNS1_14transform_implILb0ES3_S5_N6thrust23THRUST_200600_302600_NS6detail15normal_iteratorINS8_7pointerIiNS8_11hip_rocprim3tagENS8_11use_defaultESE_EEEENSA_INSB_IlSD_SE_SE_EEEEZNS1_13binary_searchIS3_S5_NSA_INS8_10device_ptrIiEEEESG_SI_NS1_21upper_bound_search_opENS9_16wrapped_functionINS8_7greaterIiEEbEEEE10hipError_tPvRmT1_T2_T3_mmT4_T5_P12ihipStream_tbEUlRKiE_EESS_SW_SX_mSY_S11_bEUlT_E_NS1_11comp_targetILNS1_3genE8ELNS1_11target_archE1030ELNS1_3gpuE2ELNS1_3repE0EEENS1_30default_config_static_selectorELNS0_4arch9wavefront6targetE0EEEvSV_.numbered_sgpr, 0
	.set _ZN7rocprim17ROCPRIM_400000_NS6detail17trampoline_kernelINS0_14default_configENS1_27upper_bound_config_selectorIilEEZNS1_14transform_implILb0ES3_S5_N6thrust23THRUST_200600_302600_NS6detail15normal_iteratorINS8_7pointerIiNS8_11hip_rocprim3tagENS8_11use_defaultESE_EEEENSA_INSB_IlSD_SE_SE_EEEEZNS1_13binary_searchIS3_S5_NSA_INS8_10device_ptrIiEEEESG_SI_NS1_21upper_bound_search_opENS9_16wrapped_functionINS8_7greaterIiEEbEEEE10hipError_tPvRmT1_T2_T3_mmT4_T5_P12ihipStream_tbEUlRKiE_EESS_SW_SX_mSY_S11_bEUlT_E_NS1_11comp_targetILNS1_3genE8ELNS1_11target_archE1030ELNS1_3gpuE2ELNS1_3repE0EEENS1_30default_config_static_selectorELNS0_4arch9wavefront6targetE0EEEvSV_.num_named_barrier, 0
	.set _ZN7rocprim17ROCPRIM_400000_NS6detail17trampoline_kernelINS0_14default_configENS1_27upper_bound_config_selectorIilEEZNS1_14transform_implILb0ES3_S5_N6thrust23THRUST_200600_302600_NS6detail15normal_iteratorINS8_7pointerIiNS8_11hip_rocprim3tagENS8_11use_defaultESE_EEEENSA_INSB_IlSD_SE_SE_EEEEZNS1_13binary_searchIS3_S5_NSA_INS8_10device_ptrIiEEEESG_SI_NS1_21upper_bound_search_opENS9_16wrapped_functionINS8_7greaterIiEEbEEEE10hipError_tPvRmT1_T2_T3_mmT4_T5_P12ihipStream_tbEUlRKiE_EESS_SW_SX_mSY_S11_bEUlT_E_NS1_11comp_targetILNS1_3genE8ELNS1_11target_archE1030ELNS1_3gpuE2ELNS1_3repE0EEENS1_30default_config_static_selectorELNS0_4arch9wavefront6targetE0EEEvSV_.private_seg_size, 0
	.set _ZN7rocprim17ROCPRIM_400000_NS6detail17trampoline_kernelINS0_14default_configENS1_27upper_bound_config_selectorIilEEZNS1_14transform_implILb0ES3_S5_N6thrust23THRUST_200600_302600_NS6detail15normal_iteratorINS8_7pointerIiNS8_11hip_rocprim3tagENS8_11use_defaultESE_EEEENSA_INSB_IlSD_SE_SE_EEEEZNS1_13binary_searchIS3_S5_NSA_INS8_10device_ptrIiEEEESG_SI_NS1_21upper_bound_search_opENS9_16wrapped_functionINS8_7greaterIiEEbEEEE10hipError_tPvRmT1_T2_T3_mmT4_T5_P12ihipStream_tbEUlRKiE_EESS_SW_SX_mSY_S11_bEUlT_E_NS1_11comp_targetILNS1_3genE8ELNS1_11target_archE1030ELNS1_3gpuE2ELNS1_3repE0EEENS1_30default_config_static_selectorELNS0_4arch9wavefront6targetE0EEEvSV_.uses_vcc, 0
	.set _ZN7rocprim17ROCPRIM_400000_NS6detail17trampoline_kernelINS0_14default_configENS1_27upper_bound_config_selectorIilEEZNS1_14transform_implILb0ES3_S5_N6thrust23THRUST_200600_302600_NS6detail15normal_iteratorINS8_7pointerIiNS8_11hip_rocprim3tagENS8_11use_defaultESE_EEEENSA_INSB_IlSD_SE_SE_EEEEZNS1_13binary_searchIS3_S5_NSA_INS8_10device_ptrIiEEEESG_SI_NS1_21upper_bound_search_opENS9_16wrapped_functionINS8_7greaterIiEEbEEEE10hipError_tPvRmT1_T2_T3_mmT4_T5_P12ihipStream_tbEUlRKiE_EESS_SW_SX_mSY_S11_bEUlT_E_NS1_11comp_targetILNS1_3genE8ELNS1_11target_archE1030ELNS1_3gpuE2ELNS1_3repE0EEENS1_30default_config_static_selectorELNS0_4arch9wavefront6targetE0EEEvSV_.uses_flat_scratch, 0
	.set _ZN7rocprim17ROCPRIM_400000_NS6detail17trampoline_kernelINS0_14default_configENS1_27upper_bound_config_selectorIilEEZNS1_14transform_implILb0ES3_S5_N6thrust23THRUST_200600_302600_NS6detail15normal_iteratorINS8_7pointerIiNS8_11hip_rocprim3tagENS8_11use_defaultESE_EEEENSA_INSB_IlSD_SE_SE_EEEEZNS1_13binary_searchIS3_S5_NSA_INS8_10device_ptrIiEEEESG_SI_NS1_21upper_bound_search_opENS9_16wrapped_functionINS8_7greaterIiEEbEEEE10hipError_tPvRmT1_T2_T3_mmT4_T5_P12ihipStream_tbEUlRKiE_EESS_SW_SX_mSY_S11_bEUlT_E_NS1_11comp_targetILNS1_3genE8ELNS1_11target_archE1030ELNS1_3gpuE2ELNS1_3repE0EEENS1_30default_config_static_selectorELNS0_4arch9wavefront6targetE0EEEvSV_.has_dyn_sized_stack, 0
	.set _ZN7rocprim17ROCPRIM_400000_NS6detail17trampoline_kernelINS0_14default_configENS1_27upper_bound_config_selectorIilEEZNS1_14transform_implILb0ES3_S5_N6thrust23THRUST_200600_302600_NS6detail15normal_iteratorINS8_7pointerIiNS8_11hip_rocprim3tagENS8_11use_defaultESE_EEEENSA_INSB_IlSD_SE_SE_EEEEZNS1_13binary_searchIS3_S5_NSA_INS8_10device_ptrIiEEEESG_SI_NS1_21upper_bound_search_opENS9_16wrapped_functionINS8_7greaterIiEEbEEEE10hipError_tPvRmT1_T2_T3_mmT4_T5_P12ihipStream_tbEUlRKiE_EESS_SW_SX_mSY_S11_bEUlT_E_NS1_11comp_targetILNS1_3genE8ELNS1_11target_archE1030ELNS1_3gpuE2ELNS1_3repE0EEENS1_30default_config_static_selectorELNS0_4arch9wavefront6targetE0EEEvSV_.has_recursion, 0
	.set _ZN7rocprim17ROCPRIM_400000_NS6detail17trampoline_kernelINS0_14default_configENS1_27upper_bound_config_selectorIilEEZNS1_14transform_implILb0ES3_S5_N6thrust23THRUST_200600_302600_NS6detail15normal_iteratorINS8_7pointerIiNS8_11hip_rocprim3tagENS8_11use_defaultESE_EEEENSA_INSB_IlSD_SE_SE_EEEEZNS1_13binary_searchIS3_S5_NSA_INS8_10device_ptrIiEEEESG_SI_NS1_21upper_bound_search_opENS9_16wrapped_functionINS8_7greaterIiEEbEEEE10hipError_tPvRmT1_T2_T3_mmT4_T5_P12ihipStream_tbEUlRKiE_EESS_SW_SX_mSY_S11_bEUlT_E_NS1_11comp_targetILNS1_3genE8ELNS1_11target_archE1030ELNS1_3gpuE2ELNS1_3repE0EEENS1_30default_config_static_selectorELNS0_4arch9wavefront6targetE0EEEvSV_.has_indirect_call, 0
	.section	.AMDGPU.csdata,"",@progbits
; Kernel info:
; codeLenInByte = 0
; TotalNumSgprs: 0
; NumVgprs: 0
; ScratchSize: 0
; MemoryBound: 0
; FloatMode: 240
; IeeeMode: 1
; LDSByteSize: 0 bytes/workgroup (compile time only)
; SGPRBlocks: 0
; VGPRBlocks: 0
; NumSGPRsForWavesPerEU: 1
; NumVGPRsForWavesPerEU: 1
; NamedBarCnt: 0
; Occupancy: 16
; WaveLimiterHint : 0
; COMPUTE_PGM_RSRC2:SCRATCH_EN: 0
; COMPUTE_PGM_RSRC2:USER_SGPR: 2
; COMPUTE_PGM_RSRC2:TRAP_HANDLER: 0
; COMPUTE_PGM_RSRC2:TGID_X_EN: 1
; COMPUTE_PGM_RSRC2:TGID_Y_EN: 0
; COMPUTE_PGM_RSRC2:TGID_Z_EN: 0
; COMPUTE_PGM_RSRC2:TIDIG_COMP_CNT: 0
	.section	.text._ZN7rocprim17ROCPRIM_400000_NS6detail17trampoline_kernelINS0_14default_configENS1_27upper_bound_config_selectorIflEEZNS1_14transform_implILb0ES3_S5_N6thrust23THRUST_200600_302600_NS6detail15normal_iteratorINS8_7pointerIfNS8_11hip_rocprim3tagENS8_11use_defaultESE_EEEENSA_INSB_IlSD_SE_SE_EEEEZNS1_13binary_searchIS3_S5_NSA_INS8_10device_ptrIfEEEESG_SI_NS1_21upper_bound_search_opENS9_16wrapped_functionINS8_7greaterIfEEbEEEE10hipError_tPvRmT1_T2_T3_mmT4_T5_P12ihipStream_tbEUlRKfE_EESS_SW_SX_mSY_S11_bEUlT_E_NS1_11comp_targetILNS1_3genE0ELNS1_11target_archE4294967295ELNS1_3gpuE0ELNS1_3repE0EEENS1_30default_config_static_selectorELNS0_4arch9wavefront6targetE0EEEvSV_,"axG",@progbits,_ZN7rocprim17ROCPRIM_400000_NS6detail17trampoline_kernelINS0_14default_configENS1_27upper_bound_config_selectorIflEEZNS1_14transform_implILb0ES3_S5_N6thrust23THRUST_200600_302600_NS6detail15normal_iteratorINS8_7pointerIfNS8_11hip_rocprim3tagENS8_11use_defaultESE_EEEENSA_INSB_IlSD_SE_SE_EEEEZNS1_13binary_searchIS3_S5_NSA_INS8_10device_ptrIfEEEESG_SI_NS1_21upper_bound_search_opENS9_16wrapped_functionINS8_7greaterIfEEbEEEE10hipError_tPvRmT1_T2_T3_mmT4_T5_P12ihipStream_tbEUlRKfE_EESS_SW_SX_mSY_S11_bEUlT_E_NS1_11comp_targetILNS1_3genE0ELNS1_11target_archE4294967295ELNS1_3gpuE0ELNS1_3repE0EEENS1_30default_config_static_selectorELNS0_4arch9wavefront6targetE0EEEvSV_,comdat
	.protected	_ZN7rocprim17ROCPRIM_400000_NS6detail17trampoline_kernelINS0_14default_configENS1_27upper_bound_config_selectorIflEEZNS1_14transform_implILb0ES3_S5_N6thrust23THRUST_200600_302600_NS6detail15normal_iteratorINS8_7pointerIfNS8_11hip_rocprim3tagENS8_11use_defaultESE_EEEENSA_INSB_IlSD_SE_SE_EEEEZNS1_13binary_searchIS3_S5_NSA_INS8_10device_ptrIfEEEESG_SI_NS1_21upper_bound_search_opENS9_16wrapped_functionINS8_7greaterIfEEbEEEE10hipError_tPvRmT1_T2_T3_mmT4_T5_P12ihipStream_tbEUlRKfE_EESS_SW_SX_mSY_S11_bEUlT_E_NS1_11comp_targetILNS1_3genE0ELNS1_11target_archE4294967295ELNS1_3gpuE0ELNS1_3repE0EEENS1_30default_config_static_selectorELNS0_4arch9wavefront6targetE0EEEvSV_ ; -- Begin function _ZN7rocprim17ROCPRIM_400000_NS6detail17trampoline_kernelINS0_14default_configENS1_27upper_bound_config_selectorIflEEZNS1_14transform_implILb0ES3_S5_N6thrust23THRUST_200600_302600_NS6detail15normal_iteratorINS8_7pointerIfNS8_11hip_rocprim3tagENS8_11use_defaultESE_EEEENSA_INSB_IlSD_SE_SE_EEEEZNS1_13binary_searchIS3_S5_NSA_INS8_10device_ptrIfEEEESG_SI_NS1_21upper_bound_search_opENS9_16wrapped_functionINS8_7greaterIfEEbEEEE10hipError_tPvRmT1_T2_T3_mmT4_T5_P12ihipStream_tbEUlRKfE_EESS_SW_SX_mSY_S11_bEUlT_E_NS1_11comp_targetILNS1_3genE0ELNS1_11target_archE4294967295ELNS1_3gpuE0ELNS1_3repE0EEENS1_30default_config_static_selectorELNS0_4arch9wavefront6targetE0EEEvSV_
	.globl	_ZN7rocprim17ROCPRIM_400000_NS6detail17trampoline_kernelINS0_14default_configENS1_27upper_bound_config_selectorIflEEZNS1_14transform_implILb0ES3_S5_N6thrust23THRUST_200600_302600_NS6detail15normal_iteratorINS8_7pointerIfNS8_11hip_rocprim3tagENS8_11use_defaultESE_EEEENSA_INSB_IlSD_SE_SE_EEEEZNS1_13binary_searchIS3_S5_NSA_INS8_10device_ptrIfEEEESG_SI_NS1_21upper_bound_search_opENS9_16wrapped_functionINS8_7greaterIfEEbEEEE10hipError_tPvRmT1_T2_T3_mmT4_T5_P12ihipStream_tbEUlRKfE_EESS_SW_SX_mSY_S11_bEUlT_E_NS1_11comp_targetILNS1_3genE0ELNS1_11target_archE4294967295ELNS1_3gpuE0ELNS1_3repE0EEENS1_30default_config_static_selectorELNS0_4arch9wavefront6targetE0EEEvSV_
	.p2align	8
	.type	_ZN7rocprim17ROCPRIM_400000_NS6detail17trampoline_kernelINS0_14default_configENS1_27upper_bound_config_selectorIflEEZNS1_14transform_implILb0ES3_S5_N6thrust23THRUST_200600_302600_NS6detail15normal_iteratorINS8_7pointerIfNS8_11hip_rocprim3tagENS8_11use_defaultESE_EEEENSA_INSB_IlSD_SE_SE_EEEEZNS1_13binary_searchIS3_S5_NSA_INS8_10device_ptrIfEEEESG_SI_NS1_21upper_bound_search_opENS9_16wrapped_functionINS8_7greaterIfEEbEEEE10hipError_tPvRmT1_T2_T3_mmT4_T5_P12ihipStream_tbEUlRKfE_EESS_SW_SX_mSY_S11_bEUlT_E_NS1_11comp_targetILNS1_3genE0ELNS1_11target_archE4294967295ELNS1_3gpuE0ELNS1_3repE0EEENS1_30default_config_static_selectorELNS0_4arch9wavefront6targetE0EEEvSV_,@function
_ZN7rocprim17ROCPRIM_400000_NS6detail17trampoline_kernelINS0_14default_configENS1_27upper_bound_config_selectorIflEEZNS1_14transform_implILb0ES3_S5_N6thrust23THRUST_200600_302600_NS6detail15normal_iteratorINS8_7pointerIfNS8_11hip_rocprim3tagENS8_11use_defaultESE_EEEENSA_INSB_IlSD_SE_SE_EEEEZNS1_13binary_searchIS3_S5_NSA_INS8_10device_ptrIfEEEESG_SI_NS1_21upper_bound_search_opENS9_16wrapped_functionINS8_7greaterIfEEbEEEE10hipError_tPvRmT1_T2_T3_mmT4_T5_P12ihipStream_tbEUlRKfE_EESS_SW_SX_mSY_S11_bEUlT_E_NS1_11comp_targetILNS1_3genE0ELNS1_11target_archE4294967295ELNS1_3gpuE0ELNS1_3repE0EEENS1_30default_config_static_selectorELNS0_4arch9wavefront6targetE0EEEvSV_: ; @_ZN7rocprim17ROCPRIM_400000_NS6detail17trampoline_kernelINS0_14default_configENS1_27upper_bound_config_selectorIflEEZNS1_14transform_implILb0ES3_S5_N6thrust23THRUST_200600_302600_NS6detail15normal_iteratorINS8_7pointerIfNS8_11hip_rocprim3tagENS8_11use_defaultESE_EEEENSA_INSB_IlSD_SE_SE_EEEEZNS1_13binary_searchIS3_S5_NSA_INS8_10device_ptrIfEEEESG_SI_NS1_21upper_bound_search_opENS9_16wrapped_functionINS8_7greaterIfEEbEEEE10hipError_tPvRmT1_T2_T3_mmT4_T5_P12ihipStream_tbEUlRKfE_EESS_SW_SX_mSY_S11_bEUlT_E_NS1_11comp_targetILNS1_3genE0ELNS1_11target_archE4294967295ELNS1_3gpuE0ELNS1_3repE0EEENS1_30default_config_static_selectorELNS0_4arch9wavefront6targetE0EEEvSV_
; %bb.0:
	s_clause 0x3
	s_load_b128 s[12:15], s[0:1], 0x0
	s_load_b128 s[4:7], s[0:1], 0x18
	s_load_b32 s16, s[0:1], 0x38
	s_load_b64 s[8:9], s[0:1], 0x28
	s_bfe_u32 s2, ttmp6, 0x4000c
	s_and_b32 s3, ttmp6, 15
	s_add_co_i32 s2, s2, 1
	s_getreg_b32 s10, hwreg(HW_REG_IB_STS2, 6, 4)
	s_mul_i32 s2, ttmp9, s2
	s_delay_alu instid0(SALU_CYCLE_1)
	s_add_co_i32 s17, s3, s2
	s_wait_kmcnt 0x0
	s_lshl_b64 s[2:3], s[14:15], 2
	s_lshl_b64 s[14:15], s[14:15], 3
	s_cmp_eq_u32 s10, 0
	s_add_nc_u64 s[10:11], s[12:13], s[2:3]
	s_cselect_b32 s12, ttmp9, s17
	s_add_co_i32 s16, s16, -1
	s_add_nc_u64 s[2:3], s[4:5], s[14:15]
	s_lshl_b32 s4, s12, 8
	s_mov_b32 s5, 0
	s_cmp_lg_u32 s12, s16
	s_mov_b32 s12, -1
	s_cbranch_scc0 .LBB104_7
; %bb.1:
	s_cmp_eq_u64 s[8:9], 0
	s_cbranch_scc1 .LBB104_5
; %bb.2:
	s_lshl_b64 s[12:13], s[4:5], 2
	v_mov_b64_e32 v[2:3], 0
	s_add_nc_u64 s[12:13], s[10:11], s[12:13]
	v_mov_b64_e32 v[4:5], s[8:9]
	flat_load_b32 v1, v0, s[12:13] scale_offset
	s_wait_xcnt 0x0
	s_mov_b32 s12, 0
.LBB104_3:                              ; =>This Inner Loop Header: Depth=1
	v_sub_nc_u64_e32 v[6:7], v[4:5], v[2:3]
	s_delay_alu instid0(VALU_DEP_1) | instskip(SKIP_1) | instid1(VALU_DEP_2)
	v_lshrrev_b64 v[8:9], 1, v[6:7]
	v_lshrrev_b64 v[6:7], 6, v[6:7]
	v_add_nc_u64_e32 v[8:9], v[8:9], v[2:3]
	s_delay_alu instid0(VALU_DEP_1) | instskip(NEXT) | instid1(VALU_DEP_1)
	v_add_nc_u64_e32 v[6:7], v[8:9], v[6:7]
	v_lshl_add_u64 v[8:9], v[6:7], 2, s[6:7]
	global_load_b32 v10, v[8:9], off
	s_wait_xcnt 0x0
	v_add_nc_u64_e32 v[8:9], 1, v[6:7]
	s_wait_loadcnt_dscnt 0x0
	v_cmp_gt_f32_e32 vcc_lo, v1, v10
	v_dual_cndmask_b32 v5, v5, v7 :: v_dual_cndmask_b32 v4, v4, v6
	s_delay_alu instid0(VALU_DEP_3) | instskip(NEXT) | instid1(VALU_DEP_1)
	v_dual_cndmask_b32 v3, v9, v3 :: v_dual_cndmask_b32 v2, v8, v2
	v_cmp_ge_u64_e32 vcc_lo, v[2:3], v[4:5]
	s_or_b32 s12, vcc_lo, s12
	s_delay_alu instid0(SALU_CYCLE_1)
	s_and_not1_b32 exec_lo, exec_lo, s12
	s_cbranch_execnz .LBB104_3
; %bb.4:
	s_or_b32 exec_lo, exec_lo, s12
	s_branch .LBB104_6
.LBB104_5:
	v_mov_b64_e32 v[2:3], 0
.LBB104_6:
	s_lshl_b64 s[12:13], s[4:5], 3
	s_delay_alu instid0(SALU_CYCLE_1)
	s_add_nc_u64 s[14:15], s[2:3], s[12:13]
	s_mov_b32 s12, 0
	flat_store_b64 v0, v[2:3], s[14:15] scale_offset
.LBB104_7:
	s_and_b32 vcc_lo, exec_lo, s12
	s_cbranch_vccz .LBB104_16
; %bb.8:
	s_load_b32 s0, s[0:1], 0x10
                                        ; implicit-def: $vgpr1
	s_wait_kmcnt 0x0
	s_sub_co_i32 s1, s0, s4
	s_delay_alu instid0(SALU_CYCLE_1)
	v_cmp_le_u32_e64 s0, s1, v0
	v_cmp_gt_u32_e32 vcc_lo, s1, v0
	s_and_saveexec_b32 s1, vcc_lo
	s_cbranch_execz .LBB104_10
; %bb.9:
	s_lshl_b64 s[12:13], s[4:5], 2
	s_delay_alu instid0(SALU_CYCLE_1)
	s_add_nc_u64 s[10:11], s[10:11], s[12:13]
	flat_load_b32 v1, v0, s[10:11] scale_offset
.LBB104_10:
	s_wait_xcnt 0x0
	s_or_b32 exec_lo, exec_lo, s1
	v_mov_b64_e32 v[2:3], 0
	s_cmp_lg_u64 s[8:9], 0
	s_cselect_b32 s1, -1, 0
	s_xor_b32 s0, s0, -1
	s_delay_alu instid0(SALU_CYCLE_1) | instskip(NEXT) | instid1(SALU_CYCLE_1)
	s_and_b32 s0, s0, s1
	s_and_saveexec_b32 s1, s0
	s_cbranch_execz .LBB104_14
; %bb.11:
	v_mov_b64_e32 v[2:3], 0
	v_mov_b64_e32 v[4:5], s[8:9]
	s_mov_b32 s8, 0
.LBB104_12:                             ; =>This Inner Loop Header: Depth=1
	s_delay_alu instid0(VALU_DEP_1) | instskip(NEXT) | instid1(VALU_DEP_1)
	v_sub_nc_u64_e32 v[6:7], v[4:5], v[2:3]
	v_lshrrev_b64 v[8:9], 1, v[6:7]
	v_lshrrev_b64 v[6:7], 6, v[6:7]
	s_delay_alu instid0(VALU_DEP_2) | instskip(NEXT) | instid1(VALU_DEP_1)
	v_add_nc_u64_e32 v[8:9], v[8:9], v[2:3]
	v_add_nc_u64_e32 v[6:7], v[8:9], v[6:7]
	s_delay_alu instid0(VALU_DEP_1)
	v_lshl_add_u64 v[8:9], v[6:7], 2, s[6:7]
	global_load_b32 v10, v[8:9], off
	s_wait_xcnt 0x0
	v_add_nc_u64_e32 v[8:9], 1, v[6:7]
	s_wait_loadcnt_dscnt 0x0
	v_cmp_gt_f32_e64 s0, v1, v10
	s_delay_alu instid0(VALU_DEP_1) | instskip(NEXT) | instid1(VALU_DEP_3)
	v_dual_cndmask_b32 v5, v5, v7, s0 :: v_dual_cndmask_b32 v4, v4, v6, s0
	v_dual_cndmask_b32 v3, v9, v3, s0 :: v_dual_cndmask_b32 v2, v8, v2, s0
	s_delay_alu instid0(VALU_DEP_1) | instskip(SKIP_1) | instid1(SALU_CYCLE_1)
	v_cmp_ge_u64_e64 s0, v[2:3], v[4:5]
	s_or_b32 s8, s0, s8
	s_and_not1_b32 exec_lo, exec_lo, s8
	s_cbranch_execnz .LBB104_12
; %bb.13:
	s_or_b32 exec_lo, exec_lo, s8
.LBB104_14:
	s_delay_alu instid0(SALU_CYCLE_1)
	s_or_b32 exec_lo, exec_lo, s1
	s_and_saveexec_b32 s0, vcc_lo
	s_cbranch_execz .LBB104_16
; %bb.15:
	s_lshl_b64 s[0:1], s[4:5], 3
	s_delay_alu instid0(SALU_CYCLE_1)
	s_add_nc_u64 s[0:1], s[2:3], s[0:1]
	flat_store_b64 v0, v[2:3], s[0:1] scale_offset
.LBB104_16:
	s_endpgm
	.section	.rodata,"a",@progbits
	.p2align	6, 0x0
	.amdhsa_kernel _ZN7rocprim17ROCPRIM_400000_NS6detail17trampoline_kernelINS0_14default_configENS1_27upper_bound_config_selectorIflEEZNS1_14transform_implILb0ES3_S5_N6thrust23THRUST_200600_302600_NS6detail15normal_iteratorINS8_7pointerIfNS8_11hip_rocprim3tagENS8_11use_defaultESE_EEEENSA_INSB_IlSD_SE_SE_EEEEZNS1_13binary_searchIS3_S5_NSA_INS8_10device_ptrIfEEEESG_SI_NS1_21upper_bound_search_opENS9_16wrapped_functionINS8_7greaterIfEEbEEEE10hipError_tPvRmT1_T2_T3_mmT4_T5_P12ihipStream_tbEUlRKfE_EESS_SW_SX_mSY_S11_bEUlT_E_NS1_11comp_targetILNS1_3genE0ELNS1_11target_archE4294967295ELNS1_3gpuE0ELNS1_3repE0EEENS1_30default_config_static_selectorELNS0_4arch9wavefront6targetE0EEEvSV_
		.amdhsa_group_segment_fixed_size 0
		.amdhsa_private_segment_fixed_size 0
		.amdhsa_kernarg_size 312
		.amdhsa_user_sgpr_count 2
		.amdhsa_user_sgpr_dispatch_ptr 0
		.amdhsa_user_sgpr_queue_ptr 0
		.amdhsa_user_sgpr_kernarg_segment_ptr 1
		.amdhsa_user_sgpr_dispatch_id 0
		.amdhsa_user_sgpr_kernarg_preload_length 0
		.amdhsa_user_sgpr_kernarg_preload_offset 0
		.amdhsa_user_sgpr_private_segment_size 0
		.amdhsa_wavefront_size32 1
		.amdhsa_uses_dynamic_stack 0
		.amdhsa_enable_private_segment 0
		.amdhsa_system_sgpr_workgroup_id_x 1
		.amdhsa_system_sgpr_workgroup_id_y 0
		.amdhsa_system_sgpr_workgroup_id_z 0
		.amdhsa_system_sgpr_workgroup_info 0
		.amdhsa_system_vgpr_workitem_id 0
		.amdhsa_next_free_vgpr 11
		.amdhsa_next_free_sgpr 18
		.amdhsa_named_barrier_count 0
		.amdhsa_reserve_vcc 1
		.amdhsa_float_round_mode_32 0
		.amdhsa_float_round_mode_16_64 0
		.amdhsa_float_denorm_mode_32 3
		.amdhsa_float_denorm_mode_16_64 3
		.amdhsa_fp16_overflow 0
		.amdhsa_memory_ordered 1
		.amdhsa_forward_progress 1
		.amdhsa_inst_pref_size 5
		.amdhsa_round_robin_scheduling 0
		.amdhsa_exception_fp_ieee_invalid_op 0
		.amdhsa_exception_fp_denorm_src 0
		.amdhsa_exception_fp_ieee_div_zero 0
		.amdhsa_exception_fp_ieee_overflow 0
		.amdhsa_exception_fp_ieee_underflow 0
		.amdhsa_exception_fp_ieee_inexact 0
		.amdhsa_exception_int_div_zero 0
	.end_amdhsa_kernel
	.section	.text._ZN7rocprim17ROCPRIM_400000_NS6detail17trampoline_kernelINS0_14default_configENS1_27upper_bound_config_selectorIflEEZNS1_14transform_implILb0ES3_S5_N6thrust23THRUST_200600_302600_NS6detail15normal_iteratorINS8_7pointerIfNS8_11hip_rocprim3tagENS8_11use_defaultESE_EEEENSA_INSB_IlSD_SE_SE_EEEEZNS1_13binary_searchIS3_S5_NSA_INS8_10device_ptrIfEEEESG_SI_NS1_21upper_bound_search_opENS9_16wrapped_functionINS8_7greaterIfEEbEEEE10hipError_tPvRmT1_T2_T3_mmT4_T5_P12ihipStream_tbEUlRKfE_EESS_SW_SX_mSY_S11_bEUlT_E_NS1_11comp_targetILNS1_3genE0ELNS1_11target_archE4294967295ELNS1_3gpuE0ELNS1_3repE0EEENS1_30default_config_static_selectorELNS0_4arch9wavefront6targetE0EEEvSV_,"axG",@progbits,_ZN7rocprim17ROCPRIM_400000_NS6detail17trampoline_kernelINS0_14default_configENS1_27upper_bound_config_selectorIflEEZNS1_14transform_implILb0ES3_S5_N6thrust23THRUST_200600_302600_NS6detail15normal_iteratorINS8_7pointerIfNS8_11hip_rocprim3tagENS8_11use_defaultESE_EEEENSA_INSB_IlSD_SE_SE_EEEEZNS1_13binary_searchIS3_S5_NSA_INS8_10device_ptrIfEEEESG_SI_NS1_21upper_bound_search_opENS9_16wrapped_functionINS8_7greaterIfEEbEEEE10hipError_tPvRmT1_T2_T3_mmT4_T5_P12ihipStream_tbEUlRKfE_EESS_SW_SX_mSY_S11_bEUlT_E_NS1_11comp_targetILNS1_3genE0ELNS1_11target_archE4294967295ELNS1_3gpuE0ELNS1_3repE0EEENS1_30default_config_static_selectorELNS0_4arch9wavefront6targetE0EEEvSV_,comdat
.Lfunc_end104:
	.size	_ZN7rocprim17ROCPRIM_400000_NS6detail17trampoline_kernelINS0_14default_configENS1_27upper_bound_config_selectorIflEEZNS1_14transform_implILb0ES3_S5_N6thrust23THRUST_200600_302600_NS6detail15normal_iteratorINS8_7pointerIfNS8_11hip_rocprim3tagENS8_11use_defaultESE_EEEENSA_INSB_IlSD_SE_SE_EEEEZNS1_13binary_searchIS3_S5_NSA_INS8_10device_ptrIfEEEESG_SI_NS1_21upper_bound_search_opENS9_16wrapped_functionINS8_7greaterIfEEbEEEE10hipError_tPvRmT1_T2_T3_mmT4_T5_P12ihipStream_tbEUlRKfE_EESS_SW_SX_mSY_S11_bEUlT_E_NS1_11comp_targetILNS1_3genE0ELNS1_11target_archE4294967295ELNS1_3gpuE0ELNS1_3repE0EEENS1_30default_config_static_selectorELNS0_4arch9wavefront6targetE0EEEvSV_, .Lfunc_end104-_ZN7rocprim17ROCPRIM_400000_NS6detail17trampoline_kernelINS0_14default_configENS1_27upper_bound_config_selectorIflEEZNS1_14transform_implILb0ES3_S5_N6thrust23THRUST_200600_302600_NS6detail15normal_iteratorINS8_7pointerIfNS8_11hip_rocprim3tagENS8_11use_defaultESE_EEEENSA_INSB_IlSD_SE_SE_EEEEZNS1_13binary_searchIS3_S5_NSA_INS8_10device_ptrIfEEEESG_SI_NS1_21upper_bound_search_opENS9_16wrapped_functionINS8_7greaterIfEEbEEEE10hipError_tPvRmT1_T2_T3_mmT4_T5_P12ihipStream_tbEUlRKfE_EESS_SW_SX_mSY_S11_bEUlT_E_NS1_11comp_targetILNS1_3genE0ELNS1_11target_archE4294967295ELNS1_3gpuE0ELNS1_3repE0EEENS1_30default_config_static_selectorELNS0_4arch9wavefront6targetE0EEEvSV_
                                        ; -- End function
	.set _ZN7rocprim17ROCPRIM_400000_NS6detail17trampoline_kernelINS0_14default_configENS1_27upper_bound_config_selectorIflEEZNS1_14transform_implILb0ES3_S5_N6thrust23THRUST_200600_302600_NS6detail15normal_iteratorINS8_7pointerIfNS8_11hip_rocprim3tagENS8_11use_defaultESE_EEEENSA_INSB_IlSD_SE_SE_EEEEZNS1_13binary_searchIS3_S5_NSA_INS8_10device_ptrIfEEEESG_SI_NS1_21upper_bound_search_opENS9_16wrapped_functionINS8_7greaterIfEEbEEEE10hipError_tPvRmT1_T2_T3_mmT4_T5_P12ihipStream_tbEUlRKfE_EESS_SW_SX_mSY_S11_bEUlT_E_NS1_11comp_targetILNS1_3genE0ELNS1_11target_archE4294967295ELNS1_3gpuE0ELNS1_3repE0EEENS1_30default_config_static_selectorELNS0_4arch9wavefront6targetE0EEEvSV_.num_vgpr, 11
	.set _ZN7rocprim17ROCPRIM_400000_NS6detail17trampoline_kernelINS0_14default_configENS1_27upper_bound_config_selectorIflEEZNS1_14transform_implILb0ES3_S5_N6thrust23THRUST_200600_302600_NS6detail15normal_iteratorINS8_7pointerIfNS8_11hip_rocprim3tagENS8_11use_defaultESE_EEEENSA_INSB_IlSD_SE_SE_EEEEZNS1_13binary_searchIS3_S5_NSA_INS8_10device_ptrIfEEEESG_SI_NS1_21upper_bound_search_opENS9_16wrapped_functionINS8_7greaterIfEEbEEEE10hipError_tPvRmT1_T2_T3_mmT4_T5_P12ihipStream_tbEUlRKfE_EESS_SW_SX_mSY_S11_bEUlT_E_NS1_11comp_targetILNS1_3genE0ELNS1_11target_archE4294967295ELNS1_3gpuE0ELNS1_3repE0EEENS1_30default_config_static_selectorELNS0_4arch9wavefront6targetE0EEEvSV_.num_agpr, 0
	.set _ZN7rocprim17ROCPRIM_400000_NS6detail17trampoline_kernelINS0_14default_configENS1_27upper_bound_config_selectorIflEEZNS1_14transform_implILb0ES3_S5_N6thrust23THRUST_200600_302600_NS6detail15normal_iteratorINS8_7pointerIfNS8_11hip_rocprim3tagENS8_11use_defaultESE_EEEENSA_INSB_IlSD_SE_SE_EEEEZNS1_13binary_searchIS3_S5_NSA_INS8_10device_ptrIfEEEESG_SI_NS1_21upper_bound_search_opENS9_16wrapped_functionINS8_7greaterIfEEbEEEE10hipError_tPvRmT1_T2_T3_mmT4_T5_P12ihipStream_tbEUlRKfE_EESS_SW_SX_mSY_S11_bEUlT_E_NS1_11comp_targetILNS1_3genE0ELNS1_11target_archE4294967295ELNS1_3gpuE0ELNS1_3repE0EEENS1_30default_config_static_selectorELNS0_4arch9wavefront6targetE0EEEvSV_.numbered_sgpr, 18
	.set _ZN7rocprim17ROCPRIM_400000_NS6detail17trampoline_kernelINS0_14default_configENS1_27upper_bound_config_selectorIflEEZNS1_14transform_implILb0ES3_S5_N6thrust23THRUST_200600_302600_NS6detail15normal_iteratorINS8_7pointerIfNS8_11hip_rocprim3tagENS8_11use_defaultESE_EEEENSA_INSB_IlSD_SE_SE_EEEEZNS1_13binary_searchIS3_S5_NSA_INS8_10device_ptrIfEEEESG_SI_NS1_21upper_bound_search_opENS9_16wrapped_functionINS8_7greaterIfEEbEEEE10hipError_tPvRmT1_T2_T3_mmT4_T5_P12ihipStream_tbEUlRKfE_EESS_SW_SX_mSY_S11_bEUlT_E_NS1_11comp_targetILNS1_3genE0ELNS1_11target_archE4294967295ELNS1_3gpuE0ELNS1_3repE0EEENS1_30default_config_static_selectorELNS0_4arch9wavefront6targetE0EEEvSV_.num_named_barrier, 0
	.set _ZN7rocprim17ROCPRIM_400000_NS6detail17trampoline_kernelINS0_14default_configENS1_27upper_bound_config_selectorIflEEZNS1_14transform_implILb0ES3_S5_N6thrust23THRUST_200600_302600_NS6detail15normal_iteratorINS8_7pointerIfNS8_11hip_rocprim3tagENS8_11use_defaultESE_EEEENSA_INSB_IlSD_SE_SE_EEEEZNS1_13binary_searchIS3_S5_NSA_INS8_10device_ptrIfEEEESG_SI_NS1_21upper_bound_search_opENS9_16wrapped_functionINS8_7greaterIfEEbEEEE10hipError_tPvRmT1_T2_T3_mmT4_T5_P12ihipStream_tbEUlRKfE_EESS_SW_SX_mSY_S11_bEUlT_E_NS1_11comp_targetILNS1_3genE0ELNS1_11target_archE4294967295ELNS1_3gpuE0ELNS1_3repE0EEENS1_30default_config_static_selectorELNS0_4arch9wavefront6targetE0EEEvSV_.private_seg_size, 0
	.set _ZN7rocprim17ROCPRIM_400000_NS6detail17trampoline_kernelINS0_14default_configENS1_27upper_bound_config_selectorIflEEZNS1_14transform_implILb0ES3_S5_N6thrust23THRUST_200600_302600_NS6detail15normal_iteratorINS8_7pointerIfNS8_11hip_rocprim3tagENS8_11use_defaultESE_EEEENSA_INSB_IlSD_SE_SE_EEEEZNS1_13binary_searchIS3_S5_NSA_INS8_10device_ptrIfEEEESG_SI_NS1_21upper_bound_search_opENS9_16wrapped_functionINS8_7greaterIfEEbEEEE10hipError_tPvRmT1_T2_T3_mmT4_T5_P12ihipStream_tbEUlRKfE_EESS_SW_SX_mSY_S11_bEUlT_E_NS1_11comp_targetILNS1_3genE0ELNS1_11target_archE4294967295ELNS1_3gpuE0ELNS1_3repE0EEENS1_30default_config_static_selectorELNS0_4arch9wavefront6targetE0EEEvSV_.uses_vcc, 1
	.set _ZN7rocprim17ROCPRIM_400000_NS6detail17trampoline_kernelINS0_14default_configENS1_27upper_bound_config_selectorIflEEZNS1_14transform_implILb0ES3_S5_N6thrust23THRUST_200600_302600_NS6detail15normal_iteratorINS8_7pointerIfNS8_11hip_rocprim3tagENS8_11use_defaultESE_EEEENSA_INSB_IlSD_SE_SE_EEEEZNS1_13binary_searchIS3_S5_NSA_INS8_10device_ptrIfEEEESG_SI_NS1_21upper_bound_search_opENS9_16wrapped_functionINS8_7greaterIfEEbEEEE10hipError_tPvRmT1_T2_T3_mmT4_T5_P12ihipStream_tbEUlRKfE_EESS_SW_SX_mSY_S11_bEUlT_E_NS1_11comp_targetILNS1_3genE0ELNS1_11target_archE4294967295ELNS1_3gpuE0ELNS1_3repE0EEENS1_30default_config_static_selectorELNS0_4arch9wavefront6targetE0EEEvSV_.uses_flat_scratch, 0
	.set _ZN7rocprim17ROCPRIM_400000_NS6detail17trampoline_kernelINS0_14default_configENS1_27upper_bound_config_selectorIflEEZNS1_14transform_implILb0ES3_S5_N6thrust23THRUST_200600_302600_NS6detail15normal_iteratorINS8_7pointerIfNS8_11hip_rocprim3tagENS8_11use_defaultESE_EEEENSA_INSB_IlSD_SE_SE_EEEEZNS1_13binary_searchIS3_S5_NSA_INS8_10device_ptrIfEEEESG_SI_NS1_21upper_bound_search_opENS9_16wrapped_functionINS8_7greaterIfEEbEEEE10hipError_tPvRmT1_T2_T3_mmT4_T5_P12ihipStream_tbEUlRKfE_EESS_SW_SX_mSY_S11_bEUlT_E_NS1_11comp_targetILNS1_3genE0ELNS1_11target_archE4294967295ELNS1_3gpuE0ELNS1_3repE0EEENS1_30default_config_static_selectorELNS0_4arch9wavefront6targetE0EEEvSV_.has_dyn_sized_stack, 0
	.set _ZN7rocprim17ROCPRIM_400000_NS6detail17trampoline_kernelINS0_14default_configENS1_27upper_bound_config_selectorIflEEZNS1_14transform_implILb0ES3_S5_N6thrust23THRUST_200600_302600_NS6detail15normal_iteratorINS8_7pointerIfNS8_11hip_rocprim3tagENS8_11use_defaultESE_EEEENSA_INSB_IlSD_SE_SE_EEEEZNS1_13binary_searchIS3_S5_NSA_INS8_10device_ptrIfEEEESG_SI_NS1_21upper_bound_search_opENS9_16wrapped_functionINS8_7greaterIfEEbEEEE10hipError_tPvRmT1_T2_T3_mmT4_T5_P12ihipStream_tbEUlRKfE_EESS_SW_SX_mSY_S11_bEUlT_E_NS1_11comp_targetILNS1_3genE0ELNS1_11target_archE4294967295ELNS1_3gpuE0ELNS1_3repE0EEENS1_30default_config_static_selectorELNS0_4arch9wavefront6targetE0EEEvSV_.has_recursion, 0
	.set _ZN7rocprim17ROCPRIM_400000_NS6detail17trampoline_kernelINS0_14default_configENS1_27upper_bound_config_selectorIflEEZNS1_14transform_implILb0ES3_S5_N6thrust23THRUST_200600_302600_NS6detail15normal_iteratorINS8_7pointerIfNS8_11hip_rocprim3tagENS8_11use_defaultESE_EEEENSA_INSB_IlSD_SE_SE_EEEEZNS1_13binary_searchIS3_S5_NSA_INS8_10device_ptrIfEEEESG_SI_NS1_21upper_bound_search_opENS9_16wrapped_functionINS8_7greaterIfEEbEEEE10hipError_tPvRmT1_T2_T3_mmT4_T5_P12ihipStream_tbEUlRKfE_EESS_SW_SX_mSY_S11_bEUlT_E_NS1_11comp_targetILNS1_3genE0ELNS1_11target_archE4294967295ELNS1_3gpuE0ELNS1_3repE0EEENS1_30default_config_static_selectorELNS0_4arch9wavefront6targetE0EEEvSV_.has_indirect_call, 0
	.section	.AMDGPU.csdata,"",@progbits
; Kernel info:
; codeLenInByte = 620
; TotalNumSgprs: 20
; NumVgprs: 11
; ScratchSize: 0
; MemoryBound: 0
; FloatMode: 240
; IeeeMode: 1
; LDSByteSize: 0 bytes/workgroup (compile time only)
; SGPRBlocks: 0
; VGPRBlocks: 0
; NumSGPRsForWavesPerEU: 20
; NumVGPRsForWavesPerEU: 11
; NamedBarCnt: 0
; Occupancy: 16
; WaveLimiterHint : 0
; COMPUTE_PGM_RSRC2:SCRATCH_EN: 0
; COMPUTE_PGM_RSRC2:USER_SGPR: 2
; COMPUTE_PGM_RSRC2:TRAP_HANDLER: 0
; COMPUTE_PGM_RSRC2:TGID_X_EN: 1
; COMPUTE_PGM_RSRC2:TGID_Y_EN: 0
; COMPUTE_PGM_RSRC2:TGID_Z_EN: 0
; COMPUTE_PGM_RSRC2:TIDIG_COMP_CNT: 0
	.section	.text._ZN7rocprim17ROCPRIM_400000_NS6detail17trampoline_kernelINS0_14default_configENS1_27upper_bound_config_selectorIflEEZNS1_14transform_implILb0ES3_S5_N6thrust23THRUST_200600_302600_NS6detail15normal_iteratorINS8_7pointerIfNS8_11hip_rocprim3tagENS8_11use_defaultESE_EEEENSA_INSB_IlSD_SE_SE_EEEEZNS1_13binary_searchIS3_S5_NSA_INS8_10device_ptrIfEEEESG_SI_NS1_21upper_bound_search_opENS9_16wrapped_functionINS8_7greaterIfEEbEEEE10hipError_tPvRmT1_T2_T3_mmT4_T5_P12ihipStream_tbEUlRKfE_EESS_SW_SX_mSY_S11_bEUlT_E_NS1_11comp_targetILNS1_3genE5ELNS1_11target_archE942ELNS1_3gpuE9ELNS1_3repE0EEENS1_30default_config_static_selectorELNS0_4arch9wavefront6targetE0EEEvSV_,"axG",@progbits,_ZN7rocprim17ROCPRIM_400000_NS6detail17trampoline_kernelINS0_14default_configENS1_27upper_bound_config_selectorIflEEZNS1_14transform_implILb0ES3_S5_N6thrust23THRUST_200600_302600_NS6detail15normal_iteratorINS8_7pointerIfNS8_11hip_rocprim3tagENS8_11use_defaultESE_EEEENSA_INSB_IlSD_SE_SE_EEEEZNS1_13binary_searchIS3_S5_NSA_INS8_10device_ptrIfEEEESG_SI_NS1_21upper_bound_search_opENS9_16wrapped_functionINS8_7greaterIfEEbEEEE10hipError_tPvRmT1_T2_T3_mmT4_T5_P12ihipStream_tbEUlRKfE_EESS_SW_SX_mSY_S11_bEUlT_E_NS1_11comp_targetILNS1_3genE5ELNS1_11target_archE942ELNS1_3gpuE9ELNS1_3repE0EEENS1_30default_config_static_selectorELNS0_4arch9wavefront6targetE0EEEvSV_,comdat
	.protected	_ZN7rocprim17ROCPRIM_400000_NS6detail17trampoline_kernelINS0_14default_configENS1_27upper_bound_config_selectorIflEEZNS1_14transform_implILb0ES3_S5_N6thrust23THRUST_200600_302600_NS6detail15normal_iteratorINS8_7pointerIfNS8_11hip_rocprim3tagENS8_11use_defaultESE_EEEENSA_INSB_IlSD_SE_SE_EEEEZNS1_13binary_searchIS3_S5_NSA_INS8_10device_ptrIfEEEESG_SI_NS1_21upper_bound_search_opENS9_16wrapped_functionINS8_7greaterIfEEbEEEE10hipError_tPvRmT1_T2_T3_mmT4_T5_P12ihipStream_tbEUlRKfE_EESS_SW_SX_mSY_S11_bEUlT_E_NS1_11comp_targetILNS1_3genE5ELNS1_11target_archE942ELNS1_3gpuE9ELNS1_3repE0EEENS1_30default_config_static_selectorELNS0_4arch9wavefront6targetE0EEEvSV_ ; -- Begin function _ZN7rocprim17ROCPRIM_400000_NS6detail17trampoline_kernelINS0_14default_configENS1_27upper_bound_config_selectorIflEEZNS1_14transform_implILb0ES3_S5_N6thrust23THRUST_200600_302600_NS6detail15normal_iteratorINS8_7pointerIfNS8_11hip_rocprim3tagENS8_11use_defaultESE_EEEENSA_INSB_IlSD_SE_SE_EEEEZNS1_13binary_searchIS3_S5_NSA_INS8_10device_ptrIfEEEESG_SI_NS1_21upper_bound_search_opENS9_16wrapped_functionINS8_7greaterIfEEbEEEE10hipError_tPvRmT1_T2_T3_mmT4_T5_P12ihipStream_tbEUlRKfE_EESS_SW_SX_mSY_S11_bEUlT_E_NS1_11comp_targetILNS1_3genE5ELNS1_11target_archE942ELNS1_3gpuE9ELNS1_3repE0EEENS1_30default_config_static_selectorELNS0_4arch9wavefront6targetE0EEEvSV_
	.globl	_ZN7rocprim17ROCPRIM_400000_NS6detail17trampoline_kernelINS0_14default_configENS1_27upper_bound_config_selectorIflEEZNS1_14transform_implILb0ES3_S5_N6thrust23THRUST_200600_302600_NS6detail15normal_iteratorINS8_7pointerIfNS8_11hip_rocprim3tagENS8_11use_defaultESE_EEEENSA_INSB_IlSD_SE_SE_EEEEZNS1_13binary_searchIS3_S5_NSA_INS8_10device_ptrIfEEEESG_SI_NS1_21upper_bound_search_opENS9_16wrapped_functionINS8_7greaterIfEEbEEEE10hipError_tPvRmT1_T2_T3_mmT4_T5_P12ihipStream_tbEUlRKfE_EESS_SW_SX_mSY_S11_bEUlT_E_NS1_11comp_targetILNS1_3genE5ELNS1_11target_archE942ELNS1_3gpuE9ELNS1_3repE0EEENS1_30default_config_static_selectorELNS0_4arch9wavefront6targetE0EEEvSV_
	.p2align	8
	.type	_ZN7rocprim17ROCPRIM_400000_NS6detail17trampoline_kernelINS0_14default_configENS1_27upper_bound_config_selectorIflEEZNS1_14transform_implILb0ES3_S5_N6thrust23THRUST_200600_302600_NS6detail15normal_iteratorINS8_7pointerIfNS8_11hip_rocprim3tagENS8_11use_defaultESE_EEEENSA_INSB_IlSD_SE_SE_EEEEZNS1_13binary_searchIS3_S5_NSA_INS8_10device_ptrIfEEEESG_SI_NS1_21upper_bound_search_opENS9_16wrapped_functionINS8_7greaterIfEEbEEEE10hipError_tPvRmT1_T2_T3_mmT4_T5_P12ihipStream_tbEUlRKfE_EESS_SW_SX_mSY_S11_bEUlT_E_NS1_11comp_targetILNS1_3genE5ELNS1_11target_archE942ELNS1_3gpuE9ELNS1_3repE0EEENS1_30default_config_static_selectorELNS0_4arch9wavefront6targetE0EEEvSV_,@function
_ZN7rocprim17ROCPRIM_400000_NS6detail17trampoline_kernelINS0_14default_configENS1_27upper_bound_config_selectorIflEEZNS1_14transform_implILb0ES3_S5_N6thrust23THRUST_200600_302600_NS6detail15normal_iteratorINS8_7pointerIfNS8_11hip_rocprim3tagENS8_11use_defaultESE_EEEENSA_INSB_IlSD_SE_SE_EEEEZNS1_13binary_searchIS3_S5_NSA_INS8_10device_ptrIfEEEESG_SI_NS1_21upper_bound_search_opENS9_16wrapped_functionINS8_7greaterIfEEbEEEE10hipError_tPvRmT1_T2_T3_mmT4_T5_P12ihipStream_tbEUlRKfE_EESS_SW_SX_mSY_S11_bEUlT_E_NS1_11comp_targetILNS1_3genE5ELNS1_11target_archE942ELNS1_3gpuE9ELNS1_3repE0EEENS1_30default_config_static_selectorELNS0_4arch9wavefront6targetE0EEEvSV_: ; @_ZN7rocprim17ROCPRIM_400000_NS6detail17trampoline_kernelINS0_14default_configENS1_27upper_bound_config_selectorIflEEZNS1_14transform_implILb0ES3_S5_N6thrust23THRUST_200600_302600_NS6detail15normal_iteratorINS8_7pointerIfNS8_11hip_rocprim3tagENS8_11use_defaultESE_EEEENSA_INSB_IlSD_SE_SE_EEEEZNS1_13binary_searchIS3_S5_NSA_INS8_10device_ptrIfEEEESG_SI_NS1_21upper_bound_search_opENS9_16wrapped_functionINS8_7greaterIfEEbEEEE10hipError_tPvRmT1_T2_T3_mmT4_T5_P12ihipStream_tbEUlRKfE_EESS_SW_SX_mSY_S11_bEUlT_E_NS1_11comp_targetILNS1_3genE5ELNS1_11target_archE942ELNS1_3gpuE9ELNS1_3repE0EEENS1_30default_config_static_selectorELNS0_4arch9wavefront6targetE0EEEvSV_
; %bb.0:
	.section	.rodata,"a",@progbits
	.p2align	6, 0x0
	.amdhsa_kernel _ZN7rocprim17ROCPRIM_400000_NS6detail17trampoline_kernelINS0_14default_configENS1_27upper_bound_config_selectorIflEEZNS1_14transform_implILb0ES3_S5_N6thrust23THRUST_200600_302600_NS6detail15normal_iteratorINS8_7pointerIfNS8_11hip_rocprim3tagENS8_11use_defaultESE_EEEENSA_INSB_IlSD_SE_SE_EEEEZNS1_13binary_searchIS3_S5_NSA_INS8_10device_ptrIfEEEESG_SI_NS1_21upper_bound_search_opENS9_16wrapped_functionINS8_7greaterIfEEbEEEE10hipError_tPvRmT1_T2_T3_mmT4_T5_P12ihipStream_tbEUlRKfE_EESS_SW_SX_mSY_S11_bEUlT_E_NS1_11comp_targetILNS1_3genE5ELNS1_11target_archE942ELNS1_3gpuE9ELNS1_3repE0EEENS1_30default_config_static_selectorELNS0_4arch9wavefront6targetE0EEEvSV_
		.amdhsa_group_segment_fixed_size 0
		.amdhsa_private_segment_fixed_size 0
		.amdhsa_kernarg_size 56
		.amdhsa_user_sgpr_count 2
		.amdhsa_user_sgpr_dispatch_ptr 0
		.amdhsa_user_sgpr_queue_ptr 0
		.amdhsa_user_sgpr_kernarg_segment_ptr 1
		.amdhsa_user_sgpr_dispatch_id 0
		.amdhsa_user_sgpr_kernarg_preload_length 0
		.amdhsa_user_sgpr_kernarg_preload_offset 0
		.amdhsa_user_sgpr_private_segment_size 0
		.amdhsa_wavefront_size32 1
		.amdhsa_uses_dynamic_stack 0
		.amdhsa_enable_private_segment 0
		.amdhsa_system_sgpr_workgroup_id_x 1
		.amdhsa_system_sgpr_workgroup_id_y 0
		.amdhsa_system_sgpr_workgroup_id_z 0
		.amdhsa_system_sgpr_workgroup_info 0
		.amdhsa_system_vgpr_workitem_id 0
		.amdhsa_next_free_vgpr 1
		.amdhsa_next_free_sgpr 1
		.amdhsa_named_barrier_count 0
		.amdhsa_reserve_vcc 0
		.amdhsa_float_round_mode_32 0
		.amdhsa_float_round_mode_16_64 0
		.amdhsa_float_denorm_mode_32 3
		.amdhsa_float_denorm_mode_16_64 3
		.amdhsa_fp16_overflow 0
		.amdhsa_memory_ordered 1
		.amdhsa_forward_progress 1
		.amdhsa_inst_pref_size 0
		.amdhsa_round_robin_scheduling 0
		.amdhsa_exception_fp_ieee_invalid_op 0
		.amdhsa_exception_fp_denorm_src 0
		.amdhsa_exception_fp_ieee_div_zero 0
		.amdhsa_exception_fp_ieee_overflow 0
		.amdhsa_exception_fp_ieee_underflow 0
		.amdhsa_exception_fp_ieee_inexact 0
		.amdhsa_exception_int_div_zero 0
	.end_amdhsa_kernel
	.section	.text._ZN7rocprim17ROCPRIM_400000_NS6detail17trampoline_kernelINS0_14default_configENS1_27upper_bound_config_selectorIflEEZNS1_14transform_implILb0ES3_S5_N6thrust23THRUST_200600_302600_NS6detail15normal_iteratorINS8_7pointerIfNS8_11hip_rocprim3tagENS8_11use_defaultESE_EEEENSA_INSB_IlSD_SE_SE_EEEEZNS1_13binary_searchIS3_S5_NSA_INS8_10device_ptrIfEEEESG_SI_NS1_21upper_bound_search_opENS9_16wrapped_functionINS8_7greaterIfEEbEEEE10hipError_tPvRmT1_T2_T3_mmT4_T5_P12ihipStream_tbEUlRKfE_EESS_SW_SX_mSY_S11_bEUlT_E_NS1_11comp_targetILNS1_3genE5ELNS1_11target_archE942ELNS1_3gpuE9ELNS1_3repE0EEENS1_30default_config_static_selectorELNS0_4arch9wavefront6targetE0EEEvSV_,"axG",@progbits,_ZN7rocprim17ROCPRIM_400000_NS6detail17trampoline_kernelINS0_14default_configENS1_27upper_bound_config_selectorIflEEZNS1_14transform_implILb0ES3_S5_N6thrust23THRUST_200600_302600_NS6detail15normal_iteratorINS8_7pointerIfNS8_11hip_rocprim3tagENS8_11use_defaultESE_EEEENSA_INSB_IlSD_SE_SE_EEEEZNS1_13binary_searchIS3_S5_NSA_INS8_10device_ptrIfEEEESG_SI_NS1_21upper_bound_search_opENS9_16wrapped_functionINS8_7greaterIfEEbEEEE10hipError_tPvRmT1_T2_T3_mmT4_T5_P12ihipStream_tbEUlRKfE_EESS_SW_SX_mSY_S11_bEUlT_E_NS1_11comp_targetILNS1_3genE5ELNS1_11target_archE942ELNS1_3gpuE9ELNS1_3repE0EEENS1_30default_config_static_selectorELNS0_4arch9wavefront6targetE0EEEvSV_,comdat
.Lfunc_end105:
	.size	_ZN7rocprim17ROCPRIM_400000_NS6detail17trampoline_kernelINS0_14default_configENS1_27upper_bound_config_selectorIflEEZNS1_14transform_implILb0ES3_S5_N6thrust23THRUST_200600_302600_NS6detail15normal_iteratorINS8_7pointerIfNS8_11hip_rocprim3tagENS8_11use_defaultESE_EEEENSA_INSB_IlSD_SE_SE_EEEEZNS1_13binary_searchIS3_S5_NSA_INS8_10device_ptrIfEEEESG_SI_NS1_21upper_bound_search_opENS9_16wrapped_functionINS8_7greaterIfEEbEEEE10hipError_tPvRmT1_T2_T3_mmT4_T5_P12ihipStream_tbEUlRKfE_EESS_SW_SX_mSY_S11_bEUlT_E_NS1_11comp_targetILNS1_3genE5ELNS1_11target_archE942ELNS1_3gpuE9ELNS1_3repE0EEENS1_30default_config_static_selectorELNS0_4arch9wavefront6targetE0EEEvSV_, .Lfunc_end105-_ZN7rocprim17ROCPRIM_400000_NS6detail17trampoline_kernelINS0_14default_configENS1_27upper_bound_config_selectorIflEEZNS1_14transform_implILb0ES3_S5_N6thrust23THRUST_200600_302600_NS6detail15normal_iteratorINS8_7pointerIfNS8_11hip_rocprim3tagENS8_11use_defaultESE_EEEENSA_INSB_IlSD_SE_SE_EEEEZNS1_13binary_searchIS3_S5_NSA_INS8_10device_ptrIfEEEESG_SI_NS1_21upper_bound_search_opENS9_16wrapped_functionINS8_7greaterIfEEbEEEE10hipError_tPvRmT1_T2_T3_mmT4_T5_P12ihipStream_tbEUlRKfE_EESS_SW_SX_mSY_S11_bEUlT_E_NS1_11comp_targetILNS1_3genE5ELNS1_11target_archE942ELNS1_3gpuE9ELNS1_3repE0EEENS1_30default_config_static_selectorELNS0_4arch9wavefront6targetE0EEEvSV_
                                        ; -- End function
	.set _ZN7rocprim17ROCPRIM_400000_NS6detail17trampoline_kernelINS0_14default_configENS1_27upper_bound_config_selectorIflEEZNS1_14transform_implILb0ES3_S5_N6thrust23THRUST_200600_302600_NS6detail15normal_iteratorINS8_7pointerIfNS8_11hip_rocprim3tagENS8_11use_defaultESE_EEEENSA_INSB_IlSD_SE_SE_EEEEZNS1_13binary_searchIS3_S5_NSA_INS8_10device_ptrIfEEEESG_SI_NS1_21upper_bound_search_opENS9_16wrapped_functionINS8_7greaterIfEEbEEEE10hipError_tPvRmT1_T2_T3_mmT4_T5_P12ihipStream_tbEUlRKfE_EESS_SW_SX_mSY_S11_bEUlT_E_NS1_11comp_targetILNS1_3genE5ELNS1_11target_archE942ELNS1_3gpuE9ELNS1_3repE0EEENS1_30default_config_static_selectorELNS0_4arch9wavefront6targetE0EEEvSV_.num_vgpr, 0
	.set _ZN7rocprim17ROCPRIM_400000_NS6detail17trampoline_kernelINS0_14default_configENS1_27upper_bound_config_selectorIflEEZNS1_14transform_implILb0ES3_S5_N6thrust23THRUST_200600_302600_NS6detail15normal_iteratorINS8_7pointerIfNS8_11hip_rocprim3tagENS8_11use_defaultESE_EEEENSA_INSB_IlSD_SE_SE_EEEEZNS1_13binary_searchIS3_S5_NSA_INS8_10device_ptrIfEEEESG_SI_NS1_21upper_bound_search_opENS9_16wrapped_functionINS8_7greaterIfEEbEEEE10hipError_tPvRmT1_T2_T3_mmT4_T5_P12ihipStream_tbEUlRKfE_EESS_SW_SX_mSY_S11_bEUlT_E_NS1_11comp_targetILNS1_3genE5ELNS1_11target_archE942ELNS1_3gpuE9ELNS1_3repE0EEENS1_30default_config_static_selectorELNS0_4arch9wavefront6targetE0EEEvSV_.num_agpr, 0
	.set _ZN7rocprim17ROCPRIM_400000_NS6detail17trampoline_kernelINS0_14default_configENS1_27upper_bound_config_selectorIflEEZNS1_14transform_implILb0ES3_S5_N6thrust23THRUST_200600_302600_NS6detail15normal_iteratorINS8_7pointerIfNS8_11hip_rocprim3tagENS8_11use_defaultESE_EEEENSA_INSB_IlSD_SE_SE_EEEEZNS1_13binary_searchIS3_S5_NSA_INS8_10device_ptrIfEEEESG_SI_NS1_21upper_bound_search_opENS9_16wrapped_functionINS8_7greaterIfEEbEEEE10hipError_tPvRmT1_T2_T3_mmT4_T5_P12ihipStream_tbEUlRKfE_EESS_SW_SX_mSY_S11_bEUlT_E_NS1_11comp_targetILNS1_3genE5ELNS1_11target_archE942ELNS1_3gpuE9ELNS1_3repE0EEENS1_30default_config_static_selectorELNS0_4arch9wavefront6targetE0EEEvSV_.numbered_sgpr, 0
	.set _ZN7rocprim17ROCPRIM_400000_NS6detail17trampoline_kernelINS0_14default_configENS1_27upper_bound_config_selectorIflEEZNS1_14transform_implILb0ES3_S5_N6thrust23THRUST_200600_302600_NS6detail15normal_iteratorINS8_7pointerIfNS8_11hip_rocprim3tagENS8_11use_defaultESE_EEEENSA_INSB_IlSD_SE_SE_EEEEZNS1_13binary_searchIS3_S5_NSA_INS8_10device_ptrIfEEEESG_SI_NS1_21upper_bound_search_opENS9_16wrapped_functionINS8_7greaterIfEEbEEEE10hipError_tPvRmT1_T2_T3_mmT4_T5_P12ihipStream_tbEUlRKfE_EESS_SW_SX_mSY_S11_bEUlT_E_NS1_11comp_targetILNS1_3genE5ELNS1_11target_archE942ELNS1_3gpuE9ELNS1_3repE0EEENS1_30default_config_static_selectorELNS0_4arch9wavefront6targetE0EEEvSV_.num_named_barrier, 0
	.set _ZN7rocprim17ROCPRIM_400000_NS6detail17trampoline_kernelINS0_14default_configENS1_27upper_bound_config_selectorIflEEZNS1_14transform_implILb0ES3_S5_N6thrust23THRUST_200600_302600_NS6detail15normal_iteratorINS8_7pointerIfNS8_11hip_rocprim3tagENS8_11use_defaultESE_EEEENSA_INSB_IlSD_SE_SE_EEEEZNS1_13binary_searchIS3_S5_NSA_INS8_10device_ptrIfEEEESG_SI_NS1_21upper_bound_search_opENS9_16wrapped_functionINS8_7greaterIfEEbEEEE10hipError_tPvRmT1_T2_T3_mmT4_T5_P12ihipStream_tbEUlRKfE_EESS_SW_SX_mSY_S11_bEUlT_E_NS1_11comp_targetILNS1_3genE5ELNS1_11target_archE942ELNS1_3gpuE9ELNS1_3repE0EEENS1_30default_config_static_selectorELNS0_4arch9wavefront6targetE0EEEvSV_.private_seg_size, 0
	.set _ZN7rocprim17ROCPRIM_400000_NS6detail17trampoline_kernelINS0_14default_configENS1_27upper_bound_config_selectorIflEEZNS1_14transform_implILb0ES3_S5_N6thrust23THRUST_200600_302600_NS6detail15normal_iteratorINS8_7pointerIfNS8_11hip_rocprim3tagENS8_11use_defaultESE_EEEENSA_INSB_IlSD_SE_SE_EEEEZNS1_13binary_searchIS3_S5_NSA_INS8_10device_ptrIfEEEESG_SI_NS1_21upper_bound_search_opENS9_16wrapped_functionINS8_7greaterIfEEbEEEE10hipError_tPvRmT1_T2_T3_mmT4_T5_P12ihipStream_tbEUlRKfE_EESS_SW_SX_mSY_S11_bEUlT_E_NS1_11comp_targetILNS1_3genE5ELNS1_11target_archE942ELNS1_3gpuE9ELNS1_3repE0EEENS1_30default_config_static_selectorELNS0_4arch9wavefront6targetE0EEEvSV_.uses_vcc, 0
	.set _ZN7rocprim17ROCPRIM_400000_NS6detail17trampoline_kernelINS0_14default_configENS1_27upper_bound_config_selectorIflEEZNS1_14transform_implILb0ES3_S5_N6thrust23THRUST_200600_302600_NS6detail15normal_iteratorINS8_7pointerIfNS8_11hip_rocprim3tagENS8_11use_defaultESE_EEEENSA_INSB_IlSD_SE_SE_EEEEZNS1_13binary_searchIS3_S5_NSA_INS8_10device_ptrIfEEEESG_SI_NS1_21upper_bound_search_opENS9_16wrapped_functionINS8_7greaterIfEEbEEEE10hipError_tPvRmT1_T2_T3_mmT4_T5_P12ihipStream_tbEUlRKfE_EESS_SW_SX_mSY_S11_bEUlT_E_NS1_11comp_targetILNS1_3genE5ELNS1_11target_archE942ELNS1_3gpuE9ELNS1_3repE0EEENS1_30default_config_static_selectorELNS0_4arch9wavefront6targetE0EEEvSV_.uses_flat_scratch, 0
	.set _ZN7rocprim17ROCPRIM_400000_NS6detail17trampoline_kernelINS0_14default_configENS1_27upper_bound_config_selectorIflEEZNS1_14transform_implILb0ES3_S5_N6thrust23THRUST_200600_302600_NS6detail15normal_iteratorINS8_7pointerIfNS8_11hip_rocprim3tagENS8_11use_defaultESE_EEEENSA_INSB_IlSD_SE_SE_EEEEZNS1_13binary_searchIS3_S5_NSA_INS8_10device_ptrIfEEEESG_SI_NS1_21upper_bound_search_opENS9_16wrapped_functionINS8_7greaterIfEEbEEEE10hipError_tPvRmT1_T2_T3_mmT4_T5_P12ihipStream_tbEUlRKfE_EESS_SW_SX_mSY_S11_bEUlT_E_NS1_11comp_targetILNS1_3genE5ELNS1_11target_archE942ELNS1_3gpuE9ELNS1_3repE0EEENS1_30default_config_static_selectorELNS0_4arch9wavefront6targetE0EEEvSV_.has_dyn_sized_stack, 0
	.set _ZN7rocprim17ROCPRIM_400000_NS6detail17trampoline_kernelINS0_14default_configENS1_27upper_bound_config_selectorIflEEZNS1_14transform_implILb0ES3_S5_N6thrust23THRUST_200600_302600_NS6detail15normal_iteratorINS8_7pointerIfNS8_11hip_rocprim3tagENS8_11use_defaultESE_EEEENSA_INSB_IlSD_SE_SE_EEEEZNS1_13binary_searchIS3_S5_NSA_INS8_10device_ptrIfEEEESG_SI_NS1_21upper_bound_search_opENS9_16wrapped_functionINS8_7greaterIfEEbEEEE10hipError_tPvRmT1_T2_T3_mmT4_T5_P12ihipStream_tbEUlRKfE_EESS_SW_SX_mSY_S11_bEUlT_E_NS1_11comp_targetILNS1_3genE5ELNS1_11target_archE942ELNS1_3gpuE9ELNS1_3repE0EEENS1_30default_config_static_selectorELNS0_4arch9wavefront6targetE0EEEvSV_.has_recursion, 0
	.set _ZN7rocprim17ROCPRIM_400000_NS6detail17trampoline_kernelINS0_14default_configENS1_27upper_bound_config_selectorIflEEZNS1_14transform_implILb0ES3_S5_N6thrust23THRUST_200600_302600_NS6detail15normal_iteratorINS8_7pointerIfNS8_11hip_rocprim3tagENS8_11use_defaultESE_EEEENSA_INSB_IlSD_SE_SE_EEEEZNS1_13binary_searchIS3_S5_NSA_INS8_10device_ptrIfEEEESG_SI_NS1_21upper_bound_search_opENS9_16wrapped_functionINS8_7greaterIfEEbEEEE10hipError_tPvRmT1_T2_T3_mmT4_T5_P12ihipStream_tbEUlRKfE_EESS_SW_SX_mSY_S11_bEUlT_E_NS1_11comp_targetILNS1_3genE5ELNS1_11target_archE942ELNS1_3gpuE9ELNS1_3repE0EEENS1_30default_config_static_selectorELNS0_4arch9wavefront6targetE0EEEvSV_.has_indirect_call, 0
	.section	.AMDGPU.csdata,"",@progbits
; Kernel info:
; codeLenInByte = 0
; TotalNumSgprs: 0
; NumVgprs: 0
; ScratchSize: 0
; MemoryBound: 0
; FloatMode: 240
; IeeeMode: 1
; LDSByteSize: 0 bytes/workgroup (compile time only)
; SGPRBlocks: 0
; VGPRBlocks: 0
; NumSGPRsForWavesPerEU: 1
; NumVGPRsForWavesPerEU: 1
; NamedBarCnt: 0
; Occupancy: 16
; WaveLimiterHint : 0
; COMPUTE_PGM_RSRC2:SCRATCH_EN: 0
; COMPUTE_PGM_RSRC2:USER_SGPR: 2
; COMPUTE_PGM_RSRC2:TRAP_HANDLER: 0
; COMPUTE_PGM_RSRC2:TGID_X_EN: 1
; COMPUTE_PGM_RSRC2:TGID_Y_EN: 0
; COMPUTE_PGM_RSRC2:TGID_Z_EN: 0
; COMPUTE_PGM_RSRC2:TIDIG_COMP_CNT: 0
	.section	.text._ZN7rocprim17ROCPRIM_400000_NS6detail17trampoline_kernelINS0_14default_configENS1_27upper_bound_config_selectorIflEEZNS1_14transform_implILb0ES3_S5_N6thrust23THRUST_200600_302600_NS6detail15normal_iteratorINS8_7pointerIfNS8_11hip_rocprim3tagENS8_11use_defaultESE_EEEENSA_INSB_IlSD_SE_SE_EEEEZNS1_13binary_searchIS3_S5_NSA_INS8_10device_ptrIfEEEESG_SI_NS1_21upper_bound_search_opENS9_16wrapped_functionINS8_7greaterIfEEbEEEE10hipError_tPvRmT1_T2_T3_mmT4_T5_P12ihipStream_tbEUlRKfE_EESS_SW_SX_mSY_S11_bEUlT_E_NS1_11comp_targetILNS1_3genE4ELNS1_11target_archE910ELNS1_3gpuE8ELNS1_3repE0EEENS1_30default_config_static_selectorELNS0_4arch9wavefront6targetE0EEEvSV_,"axG",@progbits,_ZN7rocprim17ROCPRIM_400000_NS6detail17trampoline_kernelINS0_14default_configENS1_27upper_bound_config_selectorIflEEZNS1_14transform_implILb0ES3_S5_N6thrust23THRUST_200600_302600_NS6detail15normal_iteratorINS8_7pointerIfNS8_11hip_rocprim3tagENS8_11use_defaultESE_EEEENSA_INSB_IlSD_SE_SE_EEEEZNS1_13binary_searchIS3_S5_NSA_INS8_10device_ptrIfEEEESG_SI_NS1_21upper_bound_search_opENS9_16wrapped_functionINS8_7greaterIfEEbEEEE10hipError_tPvRmT1_T2_T3_mmT4_T5_P12ihipStream_tbEUlRKfE_EESS_SW_SX_mSY_S11_bEUlT_E_NS1_11comp_targetILNS1_3genE4ELNS1_11target_archE910ELNS1_3gpuE8ELNS1_3repE0EEENS1_30default_config_static_selectorELNS0_4arch9wavefront6targetE0EEEvSV_,comdat
	.protected	_ZN7rocprim17ROCPRIM_400000_NS6detail17trampoline_kernelINS0_14default_configENS1_27upper_bound_config_selectorIflEEZNS1_14transform_implILb0ES3_S5_N6thrust23THRUST_200600_302600_NS6detail15normal_iteratorINS8_7pointerIfNS8_11hip_rocprim3tagENS8_11use_defaultESE_EEEENSA_INSB_IlSD_SE_SE_EEEEZNS1_13binary_searchIS3_S5_NSA_INS8_10device_ptrIfEEEESG_SI_NS1_21upper_bound_search_opENS9_16wrapped_functionINS8_7greaterIfEEbEEEE10hipError_tPvRmT1_T2_T3_mmT4_T5_P12ihipStream_tbEUlRKfE_EESS_SW_SX_mSY_S11_bEUlT_E_NS1_11comp_targetILNS1_3genE4ELNS1_11target_archE910ELNS1_3gpuE8ELNS1_3repE0EEENS1_30default_config_static_selectorELNS0_4arch9wavefront6targetE0EEEvSV_ ; -- Begin function _ZN7rocprim17ROCPRIM_400000_NS6detail17trampoline_kernelINS0_14default_configENS1_27upper_bound_config_selectorIflEEZNS1_14transform_implILb0ES3_S5_N6thrust23THRUST_200600_302600_NS6detail15normal_iteratorINS8_7pointerIfNS8_11hip_rocprim3tagENS8_11use_defaultESE_EEEENSA_INSB_IlSD_SE_SE_EEEEZNS1_13binary_searchIS3_S5_NSA_INS8_10device_ptrIfEEEESG_SI_NS1_21upper_bound_search_opENS9_16wrapped_functionINS8_7greaterIfEEbEEEE10hipError_tPvRmT1_T2_T3_mmT4_T5_P12ihipStream_tbEUlRKfE_EESS_SW_SX_mSY_S11_bEUlT_E_NS1_11comp_targetILNS1_3genE4ELNS1_11target_archE910ELNS1_3gpuE8ELNS1_3repE0EEENS1_30default_config_static_selectorELNS0_4arch9wavefront6targetE0EEEvSV_
	.globl	_ZN7rocprim17ROCPRIM_400000_NS6detail17trampoline_kernelINS0_14default_configENS1_27upper_bound_config_selectorIflEEZNS1_14transform_implILb0ES3_S5_N6thrust23THRUST_200600_302600_NS6detail15normal_iteratorINS8_7pointerIfNS8_11hip_rocprim3tagENS8_11use_defaultESE_EEEENSA_INSB_IlSD_SE_SE_EEEEZNS1_13binary_searchIS3_S5_NSA_INS8_10device_ptrIfEEEESG_SI_NS1_21upper_bound_search_opENS9_16wrapped_functionINS8_7greaterIfEEbEEEE10hipError_tPvRmT1_T2_T3_mmT4_T5_P12ihipStream_tbEUlRKfE_EESS_SW_SX_mSY_S11_bEUlT_E_NS1_11comp_targetILNS1_3genE4ELNS1_11target_archE910ELNS1_3gpuE8ELNS1_3repE0EEENS1_30default_config_static_selectorELNS0_4arch9wavefront6targetE0EEEvSV_
	.p2align	8
	.type	_ZN7rocprim17ROCPRIM_400000_NS6detail17trampoline_kernelINS0_14default_configENS1_27upper_bound_config_selectorIflEEZNS1_14transform_implILb0ES3_S5_N6thrust23THRUST_200600_302600_NS6detail15normal_iteratorINS8_7pointerIfNS8_11hip_rocprim3tagENS8_11use_defaultESE_EEEENSA_INSB_IlSD_SE_SE_EEEEZNS1_13binary_searchIS3_S5_NSA_INS8_10device_ptrIfEEEESG_SI_NS1_21upper_bound_search_opENS9_16wrapped_functionINS8_7greaterIfEEbEEEE10hipError_tPvRmT1_T2_T3_mmT4_T5_P12ihipStream_tbEUlRKfE_EESS_SW_SX_mSY_S11_bEUlT_E_NS1_11comp_targetILNS1_3genE4ELNS1_11target_archE910ELNS1_3gpuE8ELNS1_3repE0EEENS1_30default_config_static_selectorELNS0_4arch9wavefront6targetE0EEEvSV_,@function
_ZN7rocprim17ROCPRIM_400000_NS6detail17trampoline_kernelINS0_14default_configENS1_27upper_bound_config_selectorIflEEZNS1_14transform_implILb0ES3_S5_N6thrust23THRUST_200600_302600_NS6detail15normal_iteratorINS8_7pointerIfNS8_11hip_rocprim3tagENS8_11use_defaultESE_EEEENSA_INSB_IlSD_SE_SE_EEEEZNS1_13binary_searchIS3_S5_NSA_INS8_10device_ptrIfEEEESG_SI_NS1_21upper_bound_search_opENS9_16wrapped_functionINS8_7greaterIfEEbEEEE10hipError_tPvRmT1_T2_T3_mmT4_T5_P12ihipStream_tbEUlRKfE_EESS_SW_SX_mSY_S11_bEUlT_E_NS1_11comp_targetILNS1_3genE4ELNS1_11target_archE910ELNS1_3gpuE8ELNS1_3repE0EEENS1_30default_config_static_selectorELNS0_4arch9wavefront6targetE0EEEvSV_: ; @_ZN7rocprim17ROCPRIM_400000_NS6detail17trampoline_kernelINS0_14default_configENS1_27upper_bound_config_selectorIflEEZNS1_14transform_implILb0ES3_S5_N6thrust23THRUST_200600_302600_NS6detail15normal_iteratorINS8_7pointerIfNS8_11hip_rocprim3tagENS8_11use_defaultESE_EEEENSA_INSB_IlSD_SE_SE_EEEEZNS1_13binary_searchIS3_S5_NSA_INS8_10device_ptrIfEEEESG_SI_NS1_21upper_bound_search_opENS9_16wrapped_functionINS8_7greaterIfEEbEEEE10hipError_tPvRmT1_T2_T3_mmT4_T5_P12ihipStream_tbEUlRKfE_EESS_SW_SX_mSY_S11_bEUlT_E_NS1_11comp_targetILNS1_3genE4ELNS1_11target_archE910ELNS1_3gpuE8ELNS1_3repE0EEENS1_30default_config_static_selectorELNS0_4arch9wavefront6targetE0EEEvSV_
; %bb.0:
	.section	.rodata,"a",@progbits
	.p2align	6, 0x0
	.amdhsa_kernel _ZN7rocprim17ROCPRIM_400000_NS6detail17trampoline_kernelINS0_14default_configENS1_27upper_bound_config_selectorIflEEZNS1_14transform_implILb0ES3_S5_N6thrust23THRUST_200600_302600_NS6detail15normal_iteratorINS8_7pointerIfNS8_11hip_rocprim3tagENS8_11use_defaultESE_EEEENSA_INSB_IlSD_SE_SE_EEEEZNS1_13binary_searchIS3_S5_NSA_INS8_10device_ptrIfEEEESG_SI_NS1_21upper_bound_search_opENS9_16wrapped_functionINS8_7greaterIfEEbEEEE10hipError_tPvRmT1_T2_T3_mmT4_T5_P12ihipStream_tbEUlRKfE_EESS_SW_SX_mSY_S11_bEUlT_E_NS1_11comp_targetILNS1_3genE4ELNS1_11target_archE910ELNS1_3gpuE8ELNS1_3repE0EEENS1_30default_config_static_selectorELNS0_4arch9wavefront6targetE0EEEvSV_
		.amdhsa_group_segment_fixed_size 0
		.amdhsa_private_segment_fixed_size 0
		.amdhsa_kernarg_size 56
		.amdhsa_user_sgpr_count 2
		.amdhsa_user_sgpr_dispatch_ptr 0
		.amdhsa_user_sgpr_queue_ptr 0
		.amdhsa_user_sgpr_kernarg_segment_ptr 1
		.amdhsa_user_sgpr_dispatch_id 0
		.amdhsa_user_sgpr_kernarg_preload_length 0
		.amdhsa_user_sgpr_kernarg_preload_offset 0
		.amdhsa_user_sgpr_private_segment_size 0
		.amdhsa_wavefront_size32 1
		.amdhsa_uses_dynamic_stack 0
		.amdhsa_enable_private_segment 0
		.amdhsa_system_sgpr_workgroup_id_x 1
		.amdhsa_system_sgpr_workgroup_id_y 0
		.amdhsa_system_sgpr_workgroup_id_z 0
		.amdhsa_system_sgpr_workgroup_info 0
		.amdhsa_system_vgpr_workitem_id 0
		.amdhsa_next_free_vgpr 1
		.amdhsa_next_free_sgpr 1
		.amdhsa_named_barrier_count 0
		.amdhsa_reserve_vcc 0
		.amdhsa_float_round_mode_32 0
		.amdhsa_float_round_mode_16_64 0
		.amdhsa_float_denorm_mode_32 3
		.amdhsa_float_denorm_mode_16_64 3
		.amdhsa_fp16_overflow 0
		.amdhsa_memory_ordered 1
		.amdhsa_forward_progress 1
		.amdhsa_inst_pref_size 0
		.amdhsa_round_robin_scheduling 0
		.amdhsa_exception_fp_ieee_invalid_op 0
		.amdhsa_exception_fp_denorm_src 0
		.amdhsa_exception_fp_ieee_div_zero 0
		.amdhsa_exception_fp_ieee_overflow 0
		.amdhsa_exception_fp_ieee_underflow 0
		.amdhsa_exception_fp_ieee_inexact 0
		.amdhsa_exception_int_div_zero 0
	.end_amdhsa_kernel
	.section	.text._ZN7rocprim17ROCPRIM_400000_NS6detail17trampoline_kernelINS0_14default_configENS1_27upper_bound_config_selectorIflEEZNS1_14transform_implILb0ES3_S5_N6thrust23THRUST_200600_302600_NS6detail15normal_iteratorINS8_7pointerIfNS8_11hip_rocprim3tagENS8_11use_defaultESE_EEEENSA_INSB_IlSD_SE_SE_EEEEZNS1_13binary_searchIS3_S5_NSA_INS8_10device_ptrIfEEEESG_SI_NS1_21upper_bound_search_opENS9_16wrapped_functionINS8_7greaterIfEEbEEEE10hipError_tPvRmT1_T2_T3_mmT4_T5_P12ihipStream_tbEUlRKfE_EESS_SW_SX_mSY_S11_bEUlT_E_NS1_11comp_targetILNS1_3genE4ELNS1_11target_archE910ELNS1_3gpuE8ELNS1_3repE0EEENS1_30default_config_static_selectorELNS0_4arch9wavefront6targetE0EEEvSV_,"axG",@progbits,_ZN7rocprim17ROCPRIM_400000_NS6detail17trampoline_kernelINS0_14default_configENS1_27upper_bound_config_selectorIflEEZNS1_14transform_implILb0ES3_S5_N6thrust23THRUST_200600_302600_NS6detail15normal_iteratorINS8_7pointerIfNS8_11hip_rocprim3tagENS8_11use_defaultESE_EEEENSA_INSB_IlSD_SE_SE_EEEEZNS1_13binary_searchIS3_S5_NSA_INS8_10device_ptrIfEEEESG_SI_NS1_21upper_bound_search_opENS9_16wrapped_functionINS8_7greaterIfEEbEEEE10hipError_tPvRmT1_T2_T3_mmT4_T5_P12ihipStream_tbEUlRKfE_EESS_SW_SX_mSY_S11_bEUlT_E_NS1_11comp_targetILNS1_3genE4ELNS1_11target_archE910ELNS1_3gpuE8ELNS1_3repE0EEENS1_30default_config_static_selectorELNS0_4arch9wavefront6targetE0EEEvSV_,comdat
.Lfunc_end106:
	.size	_ZN7rocprim17ROCPRIM_400000_NS6detail17trampoline_kernelINS0_14default_configENS1_27upper_bound_config_selectorIflEEZNS1_14transform_implILb0ES3_S5_N6thrust23THRUST_200600_302600_NS6detail15normal_iteratorINS8_7pointerIfNS8_11hip_rocprim3tagENS8_11use_defaultESE_EEEENSA_INSB_IlSD_SE_SE_EEEEZNS1_13binary_searchIS3_S5_NSA_INS8_10device_ptrIfEEEESG_SI_NS1_21upper_bound_search_opENS9_16wrapped_functionINS8_7greaterIfEEbEEEE10hipError_tPvRmT1_T2_T3_mmT4_T5_P12ihipStream_tbEUlRKfE_EESS_SW_SX_mSY_S11_bEUlT_E_NS1_11comp_targetILNS1_3genE4ELNS1_11target_archE910ELNS1_3gpuE8ELNS1_3repE0EEENS1_30default_config_static_selectorELNS0_4arch9wavefront6targetE0EEEvSV_, .Lfunc_end106-_ZN7rocprim17ROCPRIM_400000_NS6detail17trampoline_kernelINS0_14default_configENS1_27upper_bound_config_selectorIflEEZNS1_14transform_implILb0ES3_S5_N6thrust23THRUST_200600_302600_NS6detail15normal_iteratorINS8_7pointerIfNS8_11hip_rocprim3tagENS8_11use_defaultESE_EEEENSA_INSB_IlSD_SE_SE_EEEEZNS1_13binary_searchIS3_S5_NSA_INS8_10device_ptrIfEEEESG_SI_NS1_21upper_bound_search_opENS9_16wrapped_functionINS8_7greaterIfEEbEEEE10hipError_tPvRmT1_T2_T3_mmT4_T5_P12ihipStream_tbEUlRKfE_EESS_SW_SX_mSY_S11_bEUlT_E_NS1_11comp_targetILNS1_3genE4ELNS1_11target_archE910ELNS1_3gpuE8ELNS1_3repE0EEENS1_30default_config_static_selectorELNS0_4arch9wavefront6targetE0EEEvSV_
                                        ; -- End function
	.set _ZN7rocprim17ROCPRIM_400000_NS6detail17trampoline_kernelINS0_14default_configENS1_27upper_bound_config_selectorIflEEZNS1_14transform_implILb0ES3_S5_N6thrust23THRUST_200600_302600_NS6detail15normal_iteratorINS8_7pointerIfNS8_11hip_rocprim3tagENS8_11use_defaultESE_EEEENSA_INSB_IlSD_SE_SE_EEEEZNS1_13binary_searchIS3_S5_NSA_INS8_10device_ptrIfEEEESG_SI_NS1_21upper_bound_search_opENS9_16wrapped_functionINS8_7greaterIfEEbEEEE10hipError_tPvRmT1_T2_T3_mmT4_T5_P12ihipStream_tbEUlRKfE_EESS_SW_SX_mSY_S11_bEUlT_E_NS1_11comp_targetILNS1_3genE4ELNS1_11target_archE910ELNS1_3gpuE8ELNS1_3repE0EEENS1_30default_config_static_selectorELNS0_4arch9wavefront6targetE0EEEvSV_.num_vgpr, 0
	.set _ZN7rocprim17ROCPRIM_400000_NS6detail17trampoline_kernelINS0_14default_configENS1_27upper_bound_config_selectorIflEEZNS1_14transform_implILb0ES3_S5_N6thrust23THRUST_200600_302600_NS6detail15normal_iteratorINS8_7pointerIfNS8_11hip_rocprim3tagENS8_11use_defaultESE_EEEENSA_INSB_IlSD_SE_SE_EEEEZNS1_13binary_searchIS3_S5_NSA_INS8_10device_ptrIfEEEESG_SI_NS1_21upper_bound_search_opENS9_16wrapped_functionINS8_7greaterIfEEbEEEE10hipError_tPvRmT1_T2_T3_mmT4_T5_P12ihipStream_tbEUlRKfE_EESS_SW_SX_mSY_S11_bEUlT_E_NS1_11comp_targetILNS1_3genE4ELNS1_11target_archE910ELNS1_3gpuE8ELNS1_3repE0EEENS1_30default_config_static_selectorELNS0_4arch9wavefront6targetE0EEEvSV_.num_agpr, 0
	.set _ZN7rocprim17ROCPRIM_400000_NS6detail17trampoline_kernelINS0_14default_configENS1_27upper_bound_config_selectorIflEEZNS1_14transform_implILb0ES3_S5_N6thrust23THRUST_200600_302600_NS6detail15normal_iteratorINS8_7pointerIfNS8_11hip_rocprim3tagENS8_11use_defaultESE_EEEENSA_INSB_IlSD_SE_SE_EEEEZNS1_13binary_searchIS3_S5_NSA_INS8_10device_ptrIfEEEESG_SI_NS1_21upper_bound_search_opENS9_16wrapped_functionINS8_7greaterIfEEbEEEE10hipError_tPvRmT1_T2_T3_mmT4_T5_P12ihipStream_tbEUlRKfE_EESS_SW_SX_mSY_S11_bEUlT_E_NS1_11comp_targetILNS1_3genE4ELNS1_11target_archE910ELNS1_3gpuE8ELNS1_3repE0EEENS1_30default_config_static_selectorELNS0_4arch9wavefront6targetE0EEEvSV_.numbered_sgpr, 0
	.set _ZN7rocprim17ROCPRIM_400000_NS6detail17trampoline_kernelINS0_14default_configENS1_27upper_bound_config_selectorIflEEZNS1_14transform_implILb0ES3_S5_N6thrust23THRUST_200600_302600_NS6detail15normal_iteratorINS8_7pointerIfNS8_11hip_rocprim3tagENS8_11use_defaultESE_EEEENSA_INSB_IlSD_SE_SE_EEEEZNS1_13binary_searchIS3_S5_NSA_INS8_10device_ptrIfEEEESG_SI_NS1_21upper_bound_search_opENS9_16wrapped_functionINS8_7greaterIfEEbEEEE10hipError_tPvRmT1_T2_T3_mmT4_T5_P12ihipStream_tbEUlRKfE_EESS_SW_SX_mSY_S11_bEUlT_E_NS1_11comp_targetILNS1_3genE4ELNS1_11target_archE910ELNS1_3gpuE8ELNS1_3repE0EEENS1_30default_config_static_selectorELNS0_4arch9wavefront6targetE0EEEvSV_.num_named_barrier, 0
	.set _ZN7rocprim17ROCPRIM_400000_NS6detail17trampoline_kernelINS0_14default_configENS1_27upper_bound_config_selectorIflEEZNS1_14transform_implILb0ES3_S5_N6thrust23THRUST_200600_302600_NS6detail15normal_iteratorINS8_7pointerIfNS8_11hip_rocprim3tagENS8_11use_defaultESE_EEEENSA_INSB_IlSD_SE_SE_EEEEZNS1_13binary_searchIS3_S5_NSA_INS8_10device_ptrIfEEEESG_SI_NS1_21upper_bound_search_opENS9_16wrapped_functionINS8_7greaterIfEEbEEEE10hipError_tPvRmT1_T2_T3_mmT4_T5_P12ihipStream_tbEUlRKfE_EESS_SW_SX_mSY_S11_bEUlT_E_NS1_11comp_targetILNS1_3genE4ELNS1_11target_archE910ELNS1_3gpuE8ELNS1_3repE0EEENS1_30default_config_static_selectorELNS0_4arch9wavefront6targetE0EEEvSV_.private_seg_size, 0
	.set _ZN7rocprim17ROCPRIM_400000_NS6detail17trampoline_kernelINS0_14default_configENS1_27upper_bound_config_selectorIflEEZNS1_14transform_implILb0ES3_S5_N6thrust23THRUST_200600_302600_NS6detail15normal_iteratorINS8_7pointerIfNS8_11hip_rocprim3tagENS8_11use_defaultESE_EEEENSA_INSB_IlSD_SE_SE_EEEEZNS1_13binary_searchIS3_S5_NSA_INS8_10device_ptrIfEEEESG_SI_NS1_21upper_bound_search_opENS9_16wrapped_functionINS8_7greaterIfEEbEEEE10hipError_tPvRmT1_T2_T3_mmT4_T5_P12ihipStream_tbEUlRKfE_EESS_SW_SX_mSY_S11_bEUlT_E_NS1_11comp_targetILNS1_3genE4ELNS1_11target_archE910ELNS1_3gpuE8ELNS1_3repE0EEENS1_30default_config_static_selectorELNS0_4arch9wavefront6targetE0EEEvSV_.uses_vcc, 0
	.set _ZN7rocprim17ROCPRIM_400000_NS6detail17trampoline_kernelINS0_14default_configENS1_27upper_bound_config_selectorIflEEZNS1_14transform_implILb0ES3_S5_N6thrust23THRUST_200600_302600_NS6detail15normal_iteratorINS8_7pointerIfNS8_11hip_rocprim3tagENS8_11use_defaultESE_EEEENSA_INSB_IlSD_SE_SE_EEEEZNS1_13binary_searchIS3_S5_NSA_INS8_10device_ptrIfEEEESG_SI_NS1_21upper_bound_search_opENS9_16wrapped_functionINS8_7greaterIfEEbEEEE10hipError_tPvRmT1_T2_T3_mmT4_T5_P12ihipStream_tbEUlRKfE_EESS_SW_SX_mSY_S11_bEUlT_E_NS1_11comp_targetILNS1_3genE4ELNS1_11target_archE910ELNS1_3gpuE8ELNS1_3repE0EEENS1_30default_config_static_selectorELNS0_4arch9wavefront6targetE0EEEvSV_.uses_flat_scratch, 0
	.set _ZN7rocprim17ROCPRIM_400000_NS6detail17trampoline_kernelINS0_14default_configENS1_27upper_bound_config_selectorIflEEZNS1_14transform_implILb0ES3_S5_N6thrust23THRUST_200600_302600_NS6detail15normal_iteratorINS8_7pointerIfNS8_11hip_rocprim3tagENS8_11use_defaultESE_EEEENSA_INSB_IlSD_SE_SE_EEEEZNS1_13binary_searchIS3_S5_NSA_INS8_10device_ptrIfEEEESG_SI_NS1_21upper_bound_search_opENS9_16wrapped_functionINS8_7greaterIfEEbEEEE10hipError_tPvRmT1_T2_T3_mmT4_T5_P12ihipStream_tbEUlRKfE_EESS_SW_SX_mSY_S11_bEUlT_E_NS1_11comp_targetILNS1_3genE4ELNS1_11target_archE910ELNS1_3gpuE8ELNS1_3repE0EEENS1_30default_config_static_selectorELNS0_4arch9wavefront6targetE0EEEvSV_.has_dyn_sized_stack, 0
	.set _ZN7rocprim17ROCPRIM_400000_NS6detail17trampoline_kernelINS0_14default_configENS1_27upper_bound_config_selectorIflEEZNS1_14transform_implILb0ES3_S5_N6thrust23THRUST_200600_302600_NS6detail15normal_iteratorINS8_7pointerIfNS8_11hip_rocprim3tagENS8_11use_defaultESE_EEEENSA_INSB_IlSD_SE_SE_EEEEZNS1_13binary_searchIS3_S5_NSA_INS8_10device_ptrIfEEEESG_SI_NS1_21upper_bound_search_opENS9_16wrapped_functionINS8_7greaterIfEEbEEEE10hipError_tPvRmT1_T2_T3_mmT4_T5_P12ihipStream_tbEUlRKfE_EESS_SW_SX_mSY_S11_bEUlT_E_NS1_11comp_targetILNS1_3genE4ELNS1_11target_archE910ELNS1_3gpuE8ELNS1_3repE0EEENS1_30default_config_static_selectorELNS0_4arch9wavefront6targetE0EEEvSV_.has_recursion, 0
	.set _ZN7rocprim17ROCPRIM_400000_NS6detail17trampoline_kernelINS0_14default_configENS1_27upper_bound_config_selectorIflEEZNS1_14transform_implILb0ES3_S5_N6thrust23THRUST_200600_302600_NS6detail15normal_iteratorINS8_7pointerIfNS8_11hip_rocprim3tagENS8_11use_defaultESE_EEEENSA_INSB_IlSD_SE_SE_EEEEZNS1_13binary_searchIS3_S5_NSA_INS8_10device_ptrIfEEEESG_SI_NS1_21upper_bound_search_opENS9_16wrapped_functionINS8_7greaterIfEEbEEEE10hipError_tPvRmT1_T2_T3_mmT4_T5_P12ihipStream_tbEUlRKfE_EESS_SW_SX_mSY_S11_bEUlT_E_NS1_11comp_targetILNS1_3genE4ELNS1_11target_archE910ELNS1_3gpuE8ELNS1_3repE0EEENS1_30default_config_static_selectorELNS0_4arch9wavefront6targetE0EEEvSV_.has_indirect_call, 0
	.section	.AMDGPU.csdata,"",@progbits
; Kernel info:
; codeLenInByte = 0
; TotalNumSgprs: 0
; NumVgprs: 0
; ScratchSize: 0
; MemoryBound: 0
; FloatMode: 240
; IeeeMode: 1
; LDSByteSize: 0 bytes/workgroup (compile time only)
; SGPRBlocks: 0
; VGPRBlocks: 0
; NumSGPRsForWavesPerEU: 1
; NumVGPRsForWavesPerEU: 1
; NamedBarCnt: 0
; Occupancy: 16
; WaveLimiterHint : 0
; COMPUTE_PGM_RSRC2:SCRATCH_EN: 0
; COMPUTE_PGM_RSRC2:USER_SGPR: 2
; COMPUTE_PGM_RSRC2:TRAP_HANDLER: 0
; COMPUTE_PGM_RSRC2:TGID_X_EN: 1
; COMPUTE_PGM_RSRC2:TGID_Y_EN: 0
; COMPUTE_PGM_RSRC2:TGID_Z_EN: 0
; COMPUTE_PGM_RSRC2:TIDIG_COMP_CNT: 0
	.section	.text._ZN7rocprim17ROCPRIM_400000_NS6detail17trampoline_kernelINS0_14default_configENS1_27upper_bound_config_selectorIflEEZNS1_14transform_implILb0ES3_S5_N6thrust23THRUST_200600_302600_NS6detail15normal_iteratorINS8_7pointerIfNS8_11hip_rocprim3tagENS8_11use_defaultESE_EEEENSA_INSB_IlSD_SE_SE_EEEEZNS1_13binary_searchIS3_S5_NSA_INS8_10device_ptrIfEEEESG_SI_NS1_21upper_bound_search_opENS9_16wrapped_functionINS8_7greaterIfEEbEEEE10hipError_tPvRmT1_T2_T3_mmT4_T5_P12ihipStream_tbEUlRKfE_EESS_SW_SX_mSY_S11_bEUlT_E_NS1_11comp_targetILNS1_3genE3ELNS1_11target_archE908ELNS1_3gpuE7ELNS1_3repE0EEENS1_30default_config_static_selectorELNS0_4arch9wavefront6targetE0EEEvSV_,"axG",@progbits,_ZN7rocprim17ROCPRIM_400000_NS6detail17trampoline_kernelINS0_14default_configENS1_27upper_bound_config_selectorIflEEZNS1_14transform_implILb0ES3_S5_N6thrust23THRUST_200600_302600_NS6detail15normal_iteratorINS8_7pointerIfNS8_11hip_rocprim3tagENS8_11use_defaultESE_EEEENSA_INSB_IlSD_SE_SE_EEEEZNS1_13binary_searchIS3_S5_NSA_INS8_10device_ptrIfEEEESG_SI_NS1_21upper_bound_search_opENS9_16wrapped_functionINS8_7greaterIfEEbEEEE10hipError_tPvRmT1_T2_T3_mmT4_T5_P12ihipStream_tbEUlRKfE_EESS_SW_SX_mSY_S11_bEUlT_E_NS1_11comp_targetILNS1_3genE3ELNS1_11target_archE908ELNS1_3gpuE7ELNS1_3repE0EEENS1_30default_config_static_selectorELNS0_4arch9wavefront6targetE0EEEvSV_,comdat
	.protected	_ZN7rocprim17ROCPRIM_400000_NS6detail17trampoline_kernelINS0_14default_configENS1_27upper_bound_config_selectorIflEEZNS1_14transform_implILb0ES3_S5_N6thrust23THRUST_200600_302600_NS6detail15normal_iteratorINS8_7pointerIfNS8_11hip_rocprim3tagENS8_11use_defaultESE_EEEENSA_INSB_IlSD_SE_SE_EEEEZNS1_13binary_searchIS3_S5_NSA_INS8_10device_ptrIfEEEESG_SI_NS1_21upper_bound_search_opENS9_16wrapped_functionINS8_7greaterIfEEbEEEE10hipError_tPvRmT1_T2_T3_mmT4_T5_P12ihipStream_tbEUlRKfE_EESS_SW_SX_mSY_S11_bEUlT_E_NS1_11comp_targetILNS1_3genE3ELNS1_11target_archE908ELNS1_3gpuE7ELNS1_3repE0EEENS1_30default_config_static_selectorELNS0_4arch9wavefront6targetE0EEEvSV_ ; -- Begin function _ZN7rocprim17ROCPRIM_400000_NS6detail17trampoline_kernelINS0_14default_configENS1_27upper_bound_config_selectorIflEEZNS1_14transform_implILb0ES3_S5_N6thrust23THRUST_200600_302600_NS6detail15normal_iteratorINS8_7pointerIfNS8_11hip_rocprim3tagENS8_11use_defaultESE_EEEENSA_INSB_IlSD_SE_SE_EEEEZNS1_13binary_searchIS3_S5_NSA_INS8_10device_ptrIfEEEESG_SI_NS1_21upper_bound_search_opENS9_16wrapped_functionINS8_7greaterIfEEbEEEE10hipError_tPvRmT1_T2_T3_mmT4_T5_P12ihipStream_tbEUlRKfE_EESS_SW_SX_mSY_S11_bEUlT_E_NS1_11comp_targetILNS1_3genE3ELNS1_11target_archE908ELNS1_3gpuE7ELNS1_3repE0EEENS1_30default_config_static_selectorELNS0_4arch9wavefront6targetE0EEEvSV_
	.globl	_ZN7rocprim17ROCPRIM_400000_NS6detail17trampoline_kernelINS0_14default_configENS1_27upper_bound_config_selectorIflEEZNS1_14transform_implILb0ES3_S5_N6thrust23THRUST_200600_302600_NS6detail15normal_iteratorINS8_7pointerIfNS8_11hip_rocprim3tagENS8_11use_defaultESE_EEEENSA_INSB_IlSD_SE_SE_EEEEZNS1_13binary_searchIS3_S5_NSA_INS8_10device_ptrIfEEEESG_SI_NS1_21upper_bound_search_opENS9_16wrapped_functionINS8_7greaterIfEEbEEEE10hipError_tPvRmT1_T2_T3_mmT4_T5_P12ihipStream_tbEUlRKfE_EESS_SW_SX_mSY_S11_bEUlT_E_NS1_11comp_targetILNS1_3genE3ELNS1_11target_archE908ELNS1_3gpuE7ELNS1_3repE0EEENS1_30default_config_static_selectorELNS0_4arch9wavefront6targetE0EEEvSV_
	.p2align	8
	.type	_ZN7rocprim17ROCPRIM_400000_NS6detail17trampoline_kernelINS0_14default_configENS1_27upper_bound_config_selectorIflEEZNS1_14transform_implILb0ES3_S5_N6thrust23THRUST_200600_302600_NS6detail15normal_iteratorINS8_7pointerIfNS8_11hip_rocprim3tagENS8_11use_defaultESE_EEEENSA_INSB_IlSD_SE_SE_EEEEZNS1_13binary_searchIS3_S5_NSA_INS8_10device_ptrIfEEEESG_SI_NS1_21upper_bound_search_opENS9_16wrapped_functionINS8_7greaterIfEEbEEEE10hipError_tPvRmT1_T2_T3_mmT4_T5_P12ihipStream_tbEUlRKfE_EESS_SW_SX_mSY_S11_bEUlT_E_NS1_11comp_targetILNS1_3genE3ELNS1_11target_archE908ELNS1_3gpuE7ELNS1_3repE0EEENS1_30default_config_static_selectorELNS0_4arch9wavefront6targetE0EEEvSV_,@function
_ZN7rocprim17ROCPRIM_400000_NS6detail17trampoline_kernelINS0_14default_configENS1_27upper_bound_config_selectorIflEEZNS1_14transform_implILb0ES3_S5_N6thrust23THRUST_200600_302600_NS6detail15normal_iteratorINS8_7pointerIfNS8_11hip_rocprim3tagENS8_11use_defaultESE_EEEENSA_INSB_IlSD_SE_SE_EEEEZNS1_13binary_searchIS3_S5_NSA_INS8_10device_ptrIfEEEESG_SI_NS1_21upper_bound_search_opENS9_16wrapped_functionINS8_7greaterIfEEbEEEE10hipError_tPvRmT1_T2_T3_mmT4_T5_P12ihipStream_tbEUlRKfE_EESS_SW_SX_mSY_S11_bEUlT_E_NS1_11comp_targetILNS1_3genE3ELNS1_11target_archE908ELNS1_3gpuE7ELNS1_3repE0EEENS1_30default_config_static_selectorELNS0_4arch9wavefront6targetE0EEEvSV_: ; @_ZN7rocprim17ROCPRIM_400000_NS6detail17trampoline_kernelINS0_14default_configENS1_27upper_bound_config_selectorIflEEZNS1_14transform_implILb0ES3_S5_N6thrust23THRUST_200600_302600_NS6detail15normal_iteratorINS8_7pointerIfNS8_11hip_rocprim3tagENS8_11use_defaultESE_EEEENSA_INSB_IlSD_SE_SE_EEEEZNS1_13binary_searchIS3_S5_NSA_INS8_10device_ptrIfEEEESG_SI_NS1_21upper_bound_search_opENS9_16wrapped_functionINS8_7greaterIfEEbEEEE10hipError_tPvRmT1_T2_T3_mmT4_T5_P12ihipStream_tbEUlRKfE_EESS_SW_SX_mSY_S11_bEUlT_E_NS1_11comp_targetILNS1_3genE3ELNS1_11target_archE908ELNS1_3gpuE7ELNS1_3repE0EEENS1_30default_config_static_selectorELNS0_4arch9wavefront6targetE0EEEvSV_
; %bb.0:
	.section	.rodata,"a",@progbits
	.p2align	6, 0x0
	.amdhsa_kernel _ZN7rocprim17ROCPRIM_400000_NS6detail17trampoline_kernelINS0_14default_configENS1_27upper_bound_config_selectorIflEEZNS1_14transform_implILb0ES3_S5_N6thrust23THRUST_200600_302600_NS6detail15normal_iteratorINS8_7pointerIfNS8_11hip_rocprim3tagENS8_11use_defaultESE_EEEENSA_INSB_IlSD_SE_SE_EEEEZNS1_13binary_searchIS3_S5_NSA_INS8_10device_ptrIfEEEESG_SI_NS1_21upper_bound_search_opENS9_16wrapped_functionINS8_7greaterIfEEbEEEE10hipError_tPvRmT1_T2_T3_mmT4_T5_P12ihipStream_tbEUlRKfE_EESS_SW_SX_mSY_S11_bEUlT_E_NS1_11comp_targetILNS1_3genE3ELNS1_11target_archE908ELNS1_3gpuE7ELNS1_3repE0EEENS1_30default_config_static_selectorELNS0_4arch9wavefront6targetE0EEEvSV_
		.amdhsa_group_segment_fixed_size 0
		.amdhsa_private_segment_fixed_size 0
		.amdhsa_kernarg_size 56
		.amdhsa_user_sgpr_count 2
		.amdhsa_user_sgpr_dispatch_ptr 0
		.amdhsa_user_sgpr_queue_ptr 0
		.amdhsa_user_sgpr_kernarg_segment_ptr 1
		.amdhsa_user_sgpr_dispatch_id 0
		.amdhsa_user_sgpr_kernarg_preload_length 0
		.amdhsa_user_sgpr_kernarg_preload_offset 0
		.amdhsa_user_sgpr_private_segment_size 0
		.amdhsa_wavefront_size32 1
		.amdhsa_uses_dynamic_stack 0
		.amdhsa_enable_private_segment 0
		.amdhsa_system_sgpr_workgroup_id_x 1
		.amdhsa_system_sgpr_workgroup_id_y 0
		.amdhsa_system_sgpr_workgroup_id_z 0
		.amdhsa_system_sgpr_workgroup_info 0
		.amdhsa_system_vgpr_workitem_id 0
		.amdhsa_next_free_vgpr 1
		.amdhsa_next_free_sgpr 1
		.amdhsa_named_barrier_count 0
		.amdhsa_reserve_vcc 0
		.amdhsa_float_round_mode_32 0
		.amdhsa_float_round_mode_16_64 0
		.amdhsa_float_denorm_mode_32 3
		.amdhsa_float_denorm_mode_16_64 3
		.amdhsa_fp16_overflow 0
		.amdhsa_memory_ordered 1
		.amdhsa_forward_progress 1
		.amdhsa_inst_pref_size 0
		.amdhsa_round_robin_scheduling 0
		.amdhsa_exception_fp_ieee_invalid_op 0
		.amdhsa_exception_fp_denorm_src 0
		.amdhsa_exception_fp_ieee_div_zero 0
		.amdhsa_exception_fp_ieee_overflow 0
		.amdhsa_exception_fp_ieee_underflow 0
		.amdhsa_exception_fp_ieee_inexact 0
		.amdhsa_exception_int_div_zero 0
	.end_amdhsa_kernel
	.section	.text._ZN7rocprim17ROCPRIM_400000_NS6detail17trampoline_kernelINS0_14default_configENS1_27upper_bound_config_selectorIflEEZNS1_14transform_implILb0ES3_S5_N6thrust23THRUST_200600_302600_NS6detail15normal_iteratorINS8_7pointerIfNS8_11hip_rocprim3tagENS8_11use_defaultESE_EEEENSA_INSB_IlSD_SE_SE_EEEEZNS1_13binary_searchIS3_S5_NSA_INS8_10device_ptrIfEEEESG_SI_NS1_21upper_bound_search_opENS9_16wrapped_functionINS8_7greaterIfEEbEEEE10hipError_tPvRmT1_T2_T3_mmT4_T5_P12ihipStream_tbEUlRKfE_EESS_SW_SX_mSY_S11_bEUlT_E_NS1_11comp_targetILNS1_3genE3ELNS1_11target_archE908ELNS1_3gpuE7ELNS1_3repE0EEENS1_30default_config_static_selectorELNS0_4arch9wavefront6targetE0EEEvSV_,"axG",@progbits,_ZN7rocprim17ROCPRIM_400000_NS6detail17trampoline_kernelINS0_14default_configENS1_27upper_bound_config_selectorIflEEZNS1_14transform_implILb0ES3_S5_N6thrust23THRUST_200600_302600_NS6detail15normal_iteratorINS8_7pointerIfNS8_11hip_rocprim3tagENS8_11use_defaultESE_EEEENSA_INSB_IlSD_SE_SE_EEEEZNS1_13binary_searchIS3_S5_NSA_INS8_10device_ptrIfEEEESG_SI_NS1_21upper_bound_search_opENS9_16wrapped_functionINS8_7greaterIfEEbEEEE10hipError_tPvRmT1_T2_T3_mmT4_T5_P12ihipStream_tbEUlRKfE_EESS_SW_SX_mSY_S11_bEUlT_E_NS1_11comp_targetILNS1_3genE3ELNS1_11target_archE908ELNS1_3gpuE7ELNS1_3repE0EEENS1_30default_config_static_selectorELNS0_4arch9wavefront6targetE0EEEvSV_,comdat
.Lfunc_end107:
	.size	_ZN7rocprim17ROCPRIM_400000_NS6detail17trampoline_kernelINS0_14default_configENS1_27upper_bound_config_selectorIflEEZNS1_14transform_implILb0ES3_S5_N6thrust23THRUST_200600_302600_NS6detail15normal_iteratorINS8_7pointerIfNS8_11hip_rocprim3tagENS8_11use_defaultESE_EEEENSA_INSB_IlSD_SE_SE_EEEEZNS1_13binary_searchIS3_S5_NSA_INS8_10device_ptrIfEEEESG_SI_NS1_21upper_bound_search_opENS9_16wrapped_functionINS8_7greaterIfEEbEEEE10hipError_tPvRmT1_T2_T3_mmT4_T5_P12ihipStream_tbEUlRKfE_EESS_SW_SX_mSY_S11_bEUlT_E_NS1_11comp_targetILNS1_3genE3ELNS1_11target_archE908ELNS1_3gpuE7ELNS1_3repE0EEENS1_30default_config_static_selectorELNS0_4arch9wavefront6targetE0EEEvSV_, .Lfunc_end107-_ZN7rocprim17ROCPRIM_400000_NS6detail17trampoline_kernelINS0_14default_configENS1_27upper_bound_config_selectorIflEEZNS1_14transform_implILb0ES3_S5_N6thrust23THRUST_200600_302600_NS6detail15normal_iteratorINS8_7pointerIfNS8_11hip_rocprim3tagENS8_11use_defaultESE_EEEENSA_INSB_IlSD_SE_SE_EEEEZNS1_13binary_searchIS3_S5_NSA_INS8_10device_ptrIfEEEESG_SI_NS1_21upper_bound_search_opENS9_16wrapped_functionINS8_7greaterIfEEbEEEE10hipError_tPvRmT1_T2_T3_mmT4_T5_P12ihipStream_tbEUlRKfE_EESS_SW_SX_mSY_S11_bEUlT_E_NS1_11comp_targetILNS1_3genE3ELNS1_11target_archE908ELNS1_3gpuE7ELNS1_3repE0EEENS1_30default_config_static_selectorELNS0_4arch9wavefront6targetE0EEEvSV_
                                        ; -- End function
	.set _ZN7rocprim17ROCPRIM_400000_NS6detail17trampoline_kernelINS0_14default_configENS1_27upper_bound_config_selectorIflEEZNS1_14transform_implILb0ES3_S5_N6thrust23THRUST_200600_302600_NS6detail15normal_iteratorINS8_7pointerIfNS8_11hip_rocprim3tagENS8_11use_defaultESE_EEEENSA_INSB_IlSD_SE_SE_EEEEZNS1_13binary_searchIS3_S5_NSA_INS8_10device_ptrIfEEEESG_SI_NS1_21upper_bound_search_opENS9_16wrapped_functionINS8_7greaterIfEEbEEEE10hipError_tPvRmT1_T2_T3_mmT4_T5_P12ihipStream_tbEUlRKfE_EESS_SW_SX_mSY_S11_bEUlT_E_NS1_11comp_targetILNS1_3genE3ELNS1_11target_archE908ELNS1_3gpuE7ELNS1_3repE0EEENS1_30default_config_static_selectorELNS0_4arch9wavefront6targetE0EEEvSV_.num_vgpr, 0
	.set _ZN7rocprim17ROCPRIM_400000_NS6detail17trampoline_kernelINS0_14default_configENS1_27upper_bound_config_selectorIflEEZNS1_14transform_implILb0ES3_S5_N6thrust23THRUST_200600_302600_NS6detail15normal_iteratorINS8_7pointerIfNS8_11hip_rocprim3tagENS8_11use_defaultESE_EEEENSA_INSB_IlSD_SE_SE_EEEEZNS1_13binary_searchIS3_S5_NSA_INS8_10device_ptrIfEEEESG_SI_NS1_21upper_bound_search_opENS9_16wrapped_functionINS8_7greaterIfEEbEEEE10hipError_tPvRmT1_T2_T3_mmT4_T5_P12ihipStream_tbEUlRKfE_EESS_SW_SX_mSY_S11_bEUlT_E_NS1_11comp_targetILNS1_3genE3ELNS1_11target_archE908ELNS1_3gpuE7ELNS1_3repE0EEENS1_30default_config_static_selectorELNS0_4arch9wavefront6targetE0EEEvSV_.num_agpr, 0
	.set _ZN7rocprim17ROCPRIM_400000_NS6detail17trampoline_kernelINS0_14default_configENS1_27upper_bound_config_selectorIflEEZNS1_14transform_implILb0ES3_S5_N6thrust23THRUST_200600_302600_NS6detail15normal_iteratorINS8_7pointerIfNS8_11hip_rocprim3tagENS8_11use_defaultESE_EEEENSA_INSB_IlSD_SE_SE_EEEEZNS1_13binary_searchIS3_S5_NSA_INS8_10device_ptrIfEEEESG_SI_NS1_21upper_bound_search_opENS9_16wrapped_functionINS8_7greaterIfEEbEEEE10hipError_tPvRmT1_T2_T3_mmT4_T5_P12ihipStream_tbEUlRKfE_EESS_SW_SX_mSY_S11_bEUlT_E_NS1_11comp_targetILNS1_3genE3ELNS1_11target_archE908ELNS1_3gpuE7ELNS1_3repE0EEENS1_30default_config_static_selectorELNS0_4arch9wavefront6targetE0EEEvSV_.numbered_sgpr, 0
	.set _ZN7rocprim17ROCPRIM_400000_NS6detail17trampoline_kernelINS0_14default_configENS1_27upper_bound_config_selectorIflEEZNS1_14transform_implILb0ES3_S5_N6thrust23THRUST_200600_302600_NS6detail15normal_iteratorINS8_7pointerIfNS8_11hip_rocprim3tagENS8_11use_defaultESE_EEEENSA_INSB_IlSD_SE_SE_EEEEZNS1_13binary_searchIS3_S5_NSA_INS8_10device_ptrIfEEEESG_SI_NS1_21upper_bound_search_opENS9_16wrapped_functionINS8_7greaterIfEEbEEEE10hipError_tPvRmT1_T2_T3_mmT4_T5_P12ihipStream_tbEUlRKfE_EESS_SW_SX_mSY_S11_bEUlT_E_NS1_11comp_targetILNS1_3genE3ELNS1_11target_archE908ELNS1_3gpuE7ELNS1_3repE0EEENS1_30default_config_static_selectorELNS0_4arch9wavefront6targetE0EEEvSV_.num_named_barrier, 0
	.set _ZN7rocprim17ROCPRIM_400000_NS6detail17trampoline_kernelINS0_14default_configENS1_27upper_bound_config_selectorIflEEZNS1_14transform_implILb0ES3_S5_N6thrust23THRUST_200600_302600_NS6detail15normal_iteratorINS8_7pointerIfNS8_11hip_rocprim3tagENS8_11use_defaultESE_EEEENSA_INSB_IlSD_SE_SE_EEEEZNS1_13binary_searchIS3_S5_NSA_INS8_10device_ptrIfEEEESG_SI_NS1_21upper_bound_search_opENS9_16wrapped_functionINS8_7greaterIfEEbEEEE10hipError_tPvRmT1_T2_T3_mmT4_T5_P12ihipStream_tbEUlRKfE_EESS_SW_SX_mSY_S11_bEUlT_E_NS1_11comp_targetILNS1_3genE3ELNS1_11target_archE908ELNS1_3gpuE7ELNS1_3repE0EEENS1_30default_config_static_selectorELNS0_4arch9wavefront6targetE0EEEvSV_.private_seg_size, 0
	.set _ZN7rocprim17ROCPRIM_400000_NS6detail17trampoline_kernelINS0_14default_configENS1_27upper_bound_config_selectorIflEEZNS1_14transform_implILb0ES3_S5_N6thrust23THRUST_200600_302600_NS6detail15normal_iteratorINS8_7pointerIfNS8_11hip_rocprim3tagENS8_11use_defaultESE_EEEENSA_INSB_IlSD_SE_SE_EEEEZNS1_13binary_searchIS3_S5_NSA_INS8_10device_ptrIfEEEESG_SI_NS1_21upper_bound_search_opENS9_16wrapped_functionINS8_7greaterIfEEbEEEE10hipError_tPvRmT1_T2_T3_mmT4_T5_P12ihipStream_tbEUlRKfE_EESS_SW_SX_mSY_S11_bEUlT_E_NS1_11comp_targetILNS1_3genE3ELNS1_11target_archE908ELNS1_3gpuE7ELNS1_3repE0EEENS1_30default_config_static_selectorELNS0_4arch9wavefront6targetE0EEEvSV_.uses_vcc, 0
	.set _ZN7rocprim17ROCPRIM_400000_NS6detail17trampoline_kernelINS0_14default_configENS1_27upper_bound_config_selectorIflEEZNS1_14transform_implILb0ES3_S5_N6thrust23THRUST_200600_302600_NS6detail15normal_iteratorINS8_7pointerIfNS8_11hip_rocprim3tagENS8_11use_defaultESE_EEEENSA_INSB_IlSD_SE_SE_EEEEZNS1_13binary_searchIS3_S5_NSA_INS8_10device_ptrIfEEEESG_SI_NS1_21upper_bound_search_opENS9_16wrapped_functionINS8_7greaterIfEEbEEEE10hipError_tPvRmT1_T2_T3_mmT4_T5_P12ihipStream_tbEUlRKfE_EESS_SW_SX_mSY_S11_bEUlT_E_NS1_11comp_targetILNS1_3genE3ELNS1_11target_archE908ELNS1_3gpuE7ELNS1_3repE0EEENS1_30default_config_static_selectorELNS0_4arch9wavefront6targetE0EEEvSV_.uses_flat_scratch, 0
	.set _ZN7rocprim17ROCPRIM_400000_NS6detail17trampoline_kernelINS0_14default_configENS1_27upper_bound_config_selectorIflEEZNS1_14transform_implILb0ES3_S5_N6thrust23THRUST_200600_302600_NS6detail15normal_iteratorINS8_7pointerIfNS8_11hip_rocprim3tagENS8_11use_defaultESE_EEEENSA_INSB_IlSD_SE_SE_EEEEZNS1_13binary_searchIS3_S5_NSA_INS8_10device_ptrIfEEEESG_SI_NS1_21upper_bound_search_opENS9_16wrapped_functionINS8_7greaterIfEEbEEEE10hipError_tPvRmT1_T2_T3_mmT4_T5_P12ihipStream_tbEUlRKfE_EESS_SW_SX_mSY_S11_bEUlT_E_NS1_11comp_targetILNS1_3genE3ELNS1_11target_archE908ELNS1_3gpuE7ELNS1_3repE0EEENS1_30default_config_static_selectorELNS0_4arch9wavefront6targetE0EEEvSV_.has_dyn_sized_stack, 0
	.set _ZN7rocprim17ROCPRIM_400000_NS6detail17trampoline_kernelINS0_14default_configENS1_27upper_bound_config_selectorIflEEZNS1_14transform_implILb0ES3_S5_N6thrust23THRUST_200600_302600_NS6detail15normal_iteratorINS8_7pointerIfNS8_11hip_rocprim3tagENS8_11use_defaultESE_EEEENSA_INSB_IlSD_SE_SE_EEEEZNS1_13binary_searchIS3_S5_NSA_INS8_10device_ptrIfEEEESG_SI_NS1_21upper_bound_search_opENS9_16wrapped_functionINS8_7greaterIfEEbEEEE10hipError_tPvRmT1_T2_T3_mmT4_T5_P12ihipStream_tbEUlRKfE_EESS_SW_SX_mSY_S11_bEUlT_E_NS1_11comp_targetILNS1_3genE3ELNS1_11target_archE908ELNS1_3gpuE7ELNS1_3repE0EEENS1_30default_config_static_selectorELNS0_4arch9wavefront6targetE0EEEvSV_.has_recursion, 0
	.set _ZN7rocprim17ROCPRIM_400000_NS6detail17trampoline_kernelINS0_14default_configENS1_27upper_bound_config_selectorIflEEZNS1_14transform_implILb0ES3_S5_N6thrust23THRUST_200600_302600_NS6detail15normal_iteratorINS8_7pointerIfNS8_11hip_rocprim3tagENS8_11use_defaultESE_EEEENSA_INSB_IlSD_SE_SE_EEEEZNS1_13binary_searchIS3_S5_NSA_INS8_10device_ptrIfEEEESG_SI_NS1_21upper_bound_search_opENS9_16wrapped_functionINS8_7greaterIfEEbEEEE10hipError_tPvRmT1_T2_T3_mmT4_T5_P12ihipStream_tbEUlRKfE_EESS_SW_SX_mSY_S11_bEUlT_E_NS1_11comp_targetILNS1_3genE3ELNS1_11target_archE908ELNS1_3gpuE7ELNS1_3repE0EEENS1_30default_config_static_selectorELNS0_4arch9wavefront6targetE0EEEvSV_.has_indirect_call, 0
	.section	.AMDGPU.csdata,"",@progbits
; Kernel info:
; codeLenInByte = 0
; TotalNumSgprs: 0
; NumVgprs: 0
; ScratchSize: 0
; MemoryBound: 0
; FloatMode: 240
; IeeeMode: 1
; LDSByteSize: 0 bytes/workgroup (compile time only)
; SGPRBlocks: 0
; VGPRBlocks: 0
; NumSGPRsForWavesPerEU: 1
; NumVGPRsForWavesPerEU: 1
; NamedBarCnt: 0
; Occupancy: 16
; WaveLimiterHint : 0
; COMPUTE_PGM_RSRC2:SCRATCH_EN: 0
; COMPUTE_PGM_RSRC2:USER_SGPR: 2
; COMPUTE_PGM_RSRC2:TRAP_HANDLER: 0
; COMPUTE_PGM_RSRC2:TGID_X_EN: 1
; COMPUTE_PGM_RSRC2:TGID_Y_EN: 0
; COMPUTE_PGM_RSRC2:TGID_Z_EN: 0
; COMPUTE_PGM_RSRC2:TIDIG_COMP_CNT: 0
	.section	.text._ZN7rocprim17ROCPRIM_400000_NS6detail17trampoline_kernelINS0_14default_configENS1_27upper_bound_config_selectorIflEEZNS1_14transform_implILb0ES3_S5_N6thrust23THRUST_200600_302600_NS6detail15normal_iteratorINS8_7pointerIfNS8_11hip_rocprim3tagENS8_11use_defaultESE_EEEENSA_INSB_IlSD_SE_SE_EEEEZNS1_13binary_searchIS3_S5_NSA_INS8_10device_ptrIfEEEESG_SI_NS1_21upper_bound_search_opENS9_16wrapped_functionINS8_7greaterIfEEbEEEE10hipError_tPvRmT1_T2_T3_mmT4_T5_P12ihipStream_tbEUlRKfE_EESS_SW_SX_mSY_S11_bEUlT_E_NS1_11comp_targetILNS1_3genE2ELNS1_11target_archE906ELNS1_3gpuE6ELNS1_3repE0EEENS1_30default_config_static_selectorELNS0_4arch9wavefront6targetE0EEEvSV_,"axG",@progbits,_ZN7rocprim17ROCPRIM_400000_NS6detail17trampoline_kernelINS0_14default_configENS1_27upper_bound_config_selectorIflEEZNS1_14transform_implILb0ES3_S5_N6thrust23THRUST_200600_302600_NS6detail15normal_iteratorINS8_7pointerIfNS8_11hip_rocprim3tagENS8_11use_defaultESE_EEEENSA_INSB_IlSD_SE_SE_EEEEZNS1_13binary_searchIS3_S5_NSA_INS8_10device_ptrIfEEEESG_SI_NS1_21upper_bound_search_opENS9_16wrapped_functionINS8_7greaterIfEEbEEEE10hipError_tPvRmT1_T2_T3_mmT4_T5_P12ihipStream_tbEUlRKfE_EESS_SW_SX_mSY_S11_bEUlT_E_NS1_11comp_targetILNS1_3genE2ELNS1_11target_archE906ELNS1_3gpuE6ELNS1_3repE0EEENS1_30default_config_static_selectorELNS0_4arch9wavefront6targetE0EEEvSV_,comdat
	.protected	_ZN7rocprim17ROCPRIM_400000_NS6detail17trampoline_kernelINS0_14default_configENS1_27upper_bound_config_selectorIflEEZNS1_14transform_implILb0ES3_S5_N6thrust23THRUST_200600_302600_NS6detail15normal_iteratorINS8_7pointerIfNS8_11hip_rocprim3tagENS8_11use_defaultESE_EEEENSA_INSB_IlSD_SE_SE_EEEEZNS1_13binary_searchIS3_S5_NSA_INS8_10device_ptrIfEEEESG_SI_NS1_21upper_bound_search_opENS9_16wrapped_functionINS8_7greaterIfEEbEEEE10hipError_tPvRmT1_T2_T3_mmT4_T5_P12ihipStream_tbEUlRKfE_EESS_SW_SX_mSY_S11_bEUlT_E_NS1_11comp_targetILNS1_3genE2ELNS1_11target_archE906ELNS1_3gpuE6ELNS1_3repE0EEENS1_30default_config_static_selectorELNS0_4arch9wavefront6targetE0EEEvSV_ ; -- Begin function _ZN7rocprim17ROCPRIM_400000_NS6detail17trampoline_kernelINS0_14default_configENS1_27upper_bound_config_selectorIflEEZNS1_14transform_implILb0ES3_S5_N6thrust23THRUST_200600_302600_NS6detail15normal_iteratorINS8_7pointerIfNS8_11hip_rocprim3tagENS8_11use_defaultESE_EEEENSA_INSB_IlSD_SE_SE_EEEEZNS1_13binary_searchIS3_S5_NSA_INS8_10device_ptrIfEEEESG_SI_NS1_21upper_bound_search_opENS9_16wrapped_functionINS8_7greaterIfEEbEEEE10hipError_tPvRmT1_T2_T3_mmT4_T5_P12ihipStream_tbEUlRKfE_EESS_SW_SX_mSY_S11_bEUlT_E_NS1_11comp_targetILNS1_3genE2ELNS1_11target_archE906ELNS1_3gpuE6ELNS1_3repE0EEENS1_30default_config_static_selectorELNS0_4arch9wavefront6targetE0EEEvSV_
	.globl	_ZN7rocprim17ROCPRIM_400000_NS6detail17trampoline_kernelINS0_14default_configENS1_27upper_bound_config_selectorIflEEZNS1_14transform_implILb0ES3_S5_N6thrust23THRUST_200600_302600_NS6detail15normal_iteratorINS8_7pointerIfNS8_11hip_rocprim3tagENS8_11use_defaultESE_EEEENSA_INSB_IlSD_SE_SE_EEEEZNS1_13binary_searchIS3_S5_NSA_INS8_10device_ptrIfEEEESG_SI_NS1_21upper_bound_search_opENS9_16wrapped_functionINS8_7greaterIfEEbEEEE10hipError_tPvRmT1_T2_T3_mmT4_T5_P12ihipStream_tbEUlRKfE_EESS_SW_SX_mSY_S11_bEUlT_E_NS1_11comp_targetILNS1_3genE2ELNS1_11target_archE906ELNS1_3gpuE6ELNS1_3repE0EEENS1_30default_config_static_selectorELNS0_4arch9wavefront6targetE0EEEvSV_
	.p2align	8
	.type	_ZN7rocprim17ROCPRIM_400000_NS6detail17trampoline_kernelINS0_14default_configENS1_27upper_bound_config_selectorIflEEZNS1_14transform_implILb0ES3_S5_N6thrust23THRUST_200600_302600_NS6detail15normal_iteratorINS8_7pointerIfNS8_11hip_rocprim3tagENS8_11use_defaultESE_EEEENSA_INSB_IlSD_SE_SE_EEEEZNS1_13binary_searchIS3_S5_NSA_INS8_10device_ptrIfEEEESG_SI_NS1_21upper_bound_search_opENS9_16wrapped_functionINS8_7greaterIfEEbEEEE10hipError_tPvRmT1_T2_T3_mmT4_T5_P12ihipStream_tbEUlRKfE_EESS_SW_SX_mSY_S11_bEUlT_E_NS1_11comp_targetILNS1_3genE2ELNS1_11target_archE906ELNS1_3gpuE6ELNS1_3repE0EEENS1_30default_config_static_selectorELNS0_4arch9wavefront6targetE0EEEvSV_,@function
_ZN7rocprim17ROCPRIM_400000_NS6detail17trampoline_kernelINS0_14default_configENS1_27upper_bound_config_selectorIflEEZNS1_14transform_implILb0ES3_S5_N6thrust23THRUST_200600_302600_NS6detail15normal_iteratorINS8_7pointerIfNS8_11hip_rocprim3tagENS8_11use_defaultESE_EEEENSA_INSB_IlSD_SE_SE_EEEEZNS1_13binary_searchIS3_S5_NSA_INS8_10device_ptrIfEEEESG_SI_NS1_21upper_bound_search_opENS9_16wrapped_functionINS8_7greaterIfEEbEEEE10hipError_tPvRmT1_T2_T3_mmT4_T5_P12ihipStream_tbEUlRKfE_EESS_SW_SX_mSY_S11_bEUlT_E_NS1_11comp_targetILNS1_3genE2ELNS1_11target_archE906ELNS1_3gpuE6ELNS1_3repE0EEENS1_30default_config_static_selectorELNS0_4arch9wavefront6targetE0EEEvSV_: ; @_ZN7rocprim17ROCPRIM_400000_NS6detail17trampoline_kernelINS0_14default_configENS1_27upper_bound_config_selectorIflEEZNS1_14transform_implILb0ES3_S5_N6thrust23THRUST_200600_302600_NS6detail15normal_iteratorINS8_7pointerIfNS8_11hip_rocprim3tagENS8_11use_defaultESE_EEEENSA_INSB_IlSD_SE_SE_EEEEZNS1_13binary_searchIS3_S5_NSA_INS8_10device_ptrIfEEEESG_SI_NS1_21upper_bound_search_opENS9_16wrapped_functionINS8_7greaterIfEEbEEEE10hipError_tPvRmT1_T2_T3_mmT4_T5_P12ihipStream_tbEUlRKfE_EESS_SW_SX_mSY_S11_bEUlT_E_NS1_11comp_targetILNS1_3genE2ELNS1_11target_archE906ELNS1_3gpuE6ELNS1_3repE0EEENS1_30default_config_static_selectorELNS0_4arch9wavefront6targetE0EEEvSV_
; %bb.0:
	.section	.rodata,"a",@progbits
	.p2align	6, 0x0
	.amdhsa_kernel _ZN7rocprim17ROCPRIM_400000_NS6detail17trampoline_kernelINS0_14default_configENS1_27upper_bound_config_selectorIflEEZNS1_14transform_implILb0ES3_S5_N6thrust23THRUST_200600_302600_NS6detail15normal_iteratorINS8_7pointerIfNS8_11hip_rocprim3tagENS8_11use_defaultESE_EEEENSA_INSB_IlSD_SE_SE_EEEEZNS1_13binary_searchIS3_S5_NSA_INS8_10device_ptrIfEEEESG_SI_NS1_21upper_bound_search_opENS9_16wrapped_functionINS8_7greaterIfEEbEEEE10hipError_tPvRmT1_T2_T3_mmT4_T5_P12ihipStream_tbEUlRKfE_EESS_SW_SX_mSY_S11_bEUlT_E_NS1_11comp_targetILNS1_3genE2ELNS1_11target_archE906ELNS1_3gpuE6ELNS1_3repE0EEENS1_30default_config_static_selectorELNS0_4arch9wavefront6targetE0EEEvSV_
		.amdhsa_group_segment_fixed_size 0
		.amdhsa_private_segment_fixed_size 0
		.amdhsa_kernarg_size 56
		.amdhsa_user_sgpr_count 2
		.amdhsa_user_sgpr_dispatch_ptr 0
		.amdhsa_user_sgpr_queue_ptr 0
		.amdhsa_user_sgpr_kernarg_segment_ptr 1
		.amdhsa_user_sgpr_dispatch_id 0
		.amdhsa_user_sgpr_kernarg_preload_length 0
		.amdhsa_user_sgpr_kernarg_preload_offset 0
		.amdhsa_user_sgpr_private_segment_size 0
		.amdhsa_wavefront_size32 1
		.amdhsa_uses_dynamic_stack 0
		.amdhsa_enable_private_segment 0
		.amdhsa_system_sgpr_workgroup_id_x 1
		.amdhsa_system_sgpr_workgroup_id_y 0
		.amdhsa_system_sgpr_workgroup_id_z 0
		.amdhsa_system_sgpr_workgroup_info 0
		.amdhsa_system_vgpr_workitem_id 0
		.amdhsa_next_free_vgpr 1
		.amdhsa_next_free_sgpr 1
		.amdhsa_named_barrier_count 0
		.amdhsa_reserve_vcc 0
		.amdhsa_float_round_mode_32 0
		.amdhsa_float_round_mode_16_64 0
		.amdhsa_float_denorm_mode_32 3
		.amdhsa_float_denorm_mode_16_64 3
		.amdhsa_fp16_overflow 0
		.amdhsa_memory_ordered 1
		.amdhsa_forward_progress 1
		.amdhsa_inst_pref_size 0
		.amdhsa_round_robin_scheduling 0
		.amdhsa_exception_fp_ieee_invalid_op 0
		.amdhsa_exception_fp_denorm_src 0
		.amdhsa_exception_fp_ieee_div_zero 0
		.amdhsa_exception_fp_ieee_overflow 0
		.amdhsa_exception_fp_ieee_underflow 0
		.amdhsa_exception_fp_ieee_inexact 0
		.amdhsa_exception_int_div_zero 0
	.end_amdhsa_kernel
	.section	.text._ZN7rocprim17ROCPRIM_400000_NS6detail17trampoline_kernelINS0_14default_configENS1_27upper_bound_config_selectorIflEEZNS1_14transform_implILb0ES3_S5_N6thrust23THRUST_200600_302600_NS6detail15normal_iteratorINS8_7pointerIfNS8_11hip_rocprim3tagENS8_11use_defaultESE_EEEENSA_INSB_IlSD_SE_SE_EEEEZNS1_13binary_searchIS3_S5_NSA_INS8_10device_ptrIfEEEESG_SI_NS1_21upper_bound_search_opENS9_16wrapped_functionINS8_7greaterIfEEbEEEE10hipError_tPvRmT1_T2_T3_mmT4_T5_P12ihipStream_tbEUlRKfE_EESS_SW_SX_mSY_S11_bEUlT_E_NS1_11comp_targetILNS1_3genE2ELNS1_11target_archE906ELNS1_3gpuE6ELNS1_3repE0EEENS1_30default_config_static_selectorELNS0_4arch9wavefront6targetE0EEEvSV_,"axG",@progbits,_ZN7rocprim17ROCPRIM_400000_NS6detail17trampoline_kernelINS0_14default_configENS1_27upper_bound_config_selectorIflEEZNS1_14transform_implILb0ES3_S5_N6thrust23THRUST_200600_302600_NS6detail15normal_iteratorINS8_7pointerIfNS8_11hip_rocprim3tagENS8_11use_defaultESE_EEEENSA_INSB_IlSD_SE_SE_EEEEZNS1_13binary_searchIS3_S5_NSA_INS8_10device_ptrIfEEEESG_SI_NS1_21upper_bound_search_opENS9_16wrapped_functionINS8_7greaterIfEEbEEEE10hipError_tPvRmT1_T2_T3_mmT4_T5_P12ihipStream_tbEUlRKfE_EESS_SW_SX_mSY_S11_bEUlT_E_NS1_11comp_targetILNS1_3genE2ELNS1_11target_archE906ELNS1_3gpuE6ELNS1_3repE0EEENS1_30default_config_static_selectorELNS0_4arch9wavefront6targetE0EEEvSV_,comdat
.Lfunc_end108:
	.size	_ZN7rocprim17ROCPRIM_400000_NS6detail17trampoline_kernelINS0_14default_configENS1_27upper_bound_config_selectorIflEEZNS1_14transform_implILb0ES3_S5_N6thrust23THRUST_200600_302600_NS6detail15normal_iteratorINS8_7pointerIfNS8_11hip_rocprim3tagENS8_11use_defaultESE_EEEENSA_INSB_IlSD_SE_SE_EEEEZNS1_13binary_searchIS3_S5_NSA_INS8_10device_ptrIfEEEESG_SI_NS1_21upper_bound_search_opENS9_16wrapped_functionINS8_7greaterIfEEbEEEE10hipError_tPvRmT1_T2_T3_mmT4_T5_P12ihipStream_tbEUlRKfE_EESS_SW_SX_mSY_S11_bEUlT_E_NS1_11comp_targetILNS1_3genE2ELNS1_11target_archE906ELNS1_3gpuE6ELNS1_3repE0EEENS1_30default_config_static_selectorELNS0_4arch9wavefront6targetE0EEEvSV_, .Lfunc_end108-_ZN7rocprim17ROCPRIM_400000_NS6detail17trampoline_kernelINS0_14default_configENS1_27upper_bound_config_selectorIflEEZNS1_14transform_implILb0ES3_S5_N6thrust23THRUST_200600_302600_NS6detail15normal_iteratorINS8_7pointerIfNS8_11hip_rocprim3tagENS8_11use_defaultESE_EEEENSA_INSB_IlSD_SE_SE_EEEEZNS1_13binary_searchIS3_S5_NSA_INS8_10device_ptrIfEEEESG_SI_NS1_21upper_bound_search_opENS9_16wrapped_functionINS8_7greaterIfEEbEEEE10hipError_tPvRmT1_T2_T3_mmT4_T5_P12ihipStream_tbEUlRKfE_EESS_SW_SX_mSY_S11_bEUlT_E_NS1_11comp_targetILNS1_3genE2ELNS1_11target_archE906ELNS1_3gpuE6ELNS1_3repE0EEENS1_30default_config_static_selectorELNS0_4arch9wavefront6targetE0EEEvSV_
                                        ; -- End function
	.set _ZN7rocprim17ROCPRIM_400000_NS6detail17trampoline_kernelINS0_14default_configENS1_27upper_bound_config_selectorIflEEZNS1_14transform_implILb0ES3_S5_N6thrust23THRUST_200600_302600_NS6detail15normal_iteratorINS8_7pointerIfNS8_11hip_rocprim3tagENS8_11use_defaultESE_EEEENSA_INSB_IlSD_SE_SE_EEEEZNS1_13binary_searchIS3_S5_NSA_INS8_10device_ptrIfEEEESG_SI_NS1_21upper_bound_search_opENS9_16wrapped_functionINS8_7greaterIfEEbEEEE10hipError_tPvRmT1_T2_T3_mmT4_T5_P12ihipStream_tbEUlRKfE_EESS_SW_SX_mSY_S11_bEUlT_E_NS1_11comp_targetILNS1_3genE2ELNS1_11target_archE906ELNS1_3gpuE6ELNS1_3repE0EEENS1_30default_config_static_selectorELNS0_4arch9wavefront6targetE0EEEvSV_.num_vgpr, 0
	.set _ZN7rocprim17ROCPRIM_400000_NS6detail17trampoline_kernelINS0_14default_configENS1_27upper_bound_config_selectorIflEEZNS1_14transform_implILb0ES3_S5_N6thrust23THRUST_200600_302600_NS6detail15normal_iteratorINS8_7pointerIfNS8_11hip_rocprim3tagENS8_11use_defaultESE_EEEENSA_INSB_IlSD_SE_SE_EEEEZNS1_13binary_searchIS3_S5_NSA_INS8_10device_ptrIfEEEESG_SI_NS1_21upper_bound_search_opENS9_16wrapped_functionINS8_7greaterIfEEbEEEE10hipError_tPvRmT1_T2_T3_mmT4_T5_P12ihipStream_tbEUlRKfE_EESS_SW_SX_mSY_S11_bEUlT_E_NS1_11comp_targetILNS1_3genE2ELNS1_11target_archE906ELNS1_3gpuE6ELNS1_3repE0EEENS1_30default_config_static_selectorELNS0_4arch9wavefront6targetE0EEEvSV_.num_agpr, 0
	.set _ZN7rocprim17ROCPRIM_400000_NS6detail17trampoline_kernelINS0_14default_configENS1_27upper_bound_config_selectorIflEEZNS1_14transform_implILb0ES3_S5_N6thrust23THRUST_200600_302600_NS6detail15normal_iteratorINS8_7pointerIfNS8_11hip_rocprim3tagENS8_11use_defaultESE_EEEENSA_INSB_IlSD_SE_SE_EEEEZNS1_13binary_searchIS3_S5_NSA_INS8_10device_ptrIfEEEESG_SI_NS1_21upper_bound_search_opENS9_16wrapped_functionINS8_7greaterIfEEbEEEE10hipError_tPvRmT1_T2_T3_mmT4_T5_P12ihipStream_tbEUlRKfE_EESS_SW_SX_mSY_S11_bEUlT_E_NS1_11comp_targetILNS1_3genE2ELNS1_11target_archE906ELNS1_3gpuE6ELNS1_3repE0EEENS1_30default_config_static_selectorELNS0_4arch9wavefront6targetE0EEEvSV_.numbered_sgpr, 0
	.set _ZN7rocprim17ROCPRIM_400000_NS6detail17trampoline_kernelINS0_14default_configENS1_27upper_bound_config_selectorIflEEZNS1_14transform_implILb0ES3_S5_N6thrust23THRUST_200600_302600_NS6detail15normal_iteratorINS8_7pointerIfNS8_11hip_rocprim3tagENS8_11use_defaultESE_EEEENSA_INSB_IlSD_SE_SE_EEEEZNS1_13binary_searchIS3_S5_NSA_INS8_10device_ptrIfEEEESG_SI_NS1_21upper_bound_search_opENS9_16wrapped_functionINS8_7greaterIfEEbEEEE10hipError_tPvRmT1_T2_T3_mmT4_T5_P12ihipStream_tbEUlRKfE_EESS_SW_SX_mSY_S11_bEUlT_E_NS1_11comp_targetILNS1_3genE2ELNS1_11target_archE906ELNS1_3gpuE6ELNS1_3repE0EEENS1_30default_config_static_selectorELNS0_4arch9wavefront6targetE0EEEvSV_.num_named_barrier, 0
	.set _ZN7rocprim17ROCPRIM_400000_NS6detail17trampoline_kernelINS0_14default_configENS1_27upper_bound_config_selectorIflEEZNS1_14transform_implILb0ES3_S5_N6thrust23THRUST_200600_302600_NS6detail15normal_iteratorINS8_7pointerIfNS8_11hip_rocprim3tagENS8_11use_defaultESE_EEEENSA_INSB_IlSD_SE_SE_EEEEZNS1_13binary_searchIS3_S5_NSA_INS8_10device_ptrIfEEEESG_SI_NS1_21upper_bound_search_opENS9_16wrapped_functionINS8_7greaterIfEEbEEEE10hipError_tPvRmT1_T2_T3_mmT4_T5_P12ihipStream_tbEUlRKfE_EESS_SW_SX_mSY_S11_bEUlT_E_NS1_11comp_targetILNS1_3genE2ELNS1_11target_archE906ELNS1_3gpuE6ELNS1_3repE0EEENS1_30default_config_static_selectorELNS0_4arch9wavefront6targetE0EEEvSV_.private_seg_size, 0
	.set _ZN7rocprim17ROCPRIM_400000_NS6detail17trampoline_kernelINS0_14default_configENS1_27upper_bound_config_selectorIflEEZNS1_14transform_implILb0ES3_S5_N6thrust23THRUST_200600_302600_NS6detail15normal_iteratorINS8_7pointerIfNS8_11hip_rocprim3tagENS8_11use_defaultESE_EEEENSA_INSB_IlSD_SE_SE_EEEEZNS1_13binary_searchIS3_S5_NSA_INS8_10device_ptrIfEEEESG_SI_NS1_21upper_bound_search_opENS9_16wrapped_functionINS8_7greaterIfEEbEEEE10hipError_tPvRmT1_T2_T3_mmT4_T5_P12ihipStream_tbEUlRKfE_EESS_SW_SX_mSY_S11_bEUlT_E_NS1_11comp_targetILNS1_3genE2ELNS1_11target_archE906ELNS1_3gpuE6ELNS1_3repE0EEENS1_30default_config_static_selectorELNS0_4arch9wavefront6targetE0EEEvSV_.uses_vcc, 0
	.set _ZN7rocprim17ROCPRIM_400000_NS6detail17trampoline_kernelINS0_14default_configENS1_27upper_bound_config_selectorIflEEZNS1_14transform_implILb0ES3_S5_N6thrust23THRUST_200600_302600_NS6detail15normal_iteratorINS8_7pointerIfNS8_11hip_rocprim3tagENS8_11use_defaultESE_EEEENSA_INSB_IlSD_SE_SE_EEEEZNS1_13binary_searchIS3_S5_NSA_INS8_10device_ptrIfEEEESG_SI_NS1_21upper_bound_search_opENS9_16wrapped_functionINS8_7greaterIfEEbEEEE10hipError_tPvRmT1_T2_T3_mmT4_T5_P12ihipStream_tbEUlRKfE_EESS_SW_SX_mSY_S11_bEUlT_E_NS1_11comp_targetILNS1_3genE2ELNS1_11target_archE906ELNS1_3gpuE6ELNS1_3repE0EEENS1_30default_config_static_selectorELNS0_4arch9wavefront6targetE0EEEvSV_.uses_flat_scratch, 0
	.set _ZN7rocprim17ROCPRIM_400000_NS6detail17trampoline_kernelINS0_14default_configENS1_27upper_bound_config_selectorIflEEZNS1_14transform_implILb0ES3_S5_N6thrust23THRUST_200600_302600_NS6detail15normal_iteratorINS8_7pointerIfNS8_11hip_rocprim3tagENS8_11use_defaultESE_EEEENSA_INSB_IlSD_SE_SE_EEEEZNS1_13binary_searchIS3_S5_NSA_INS8_10device_ptrIfEEEESG_SI_NS1_21upper_bound_search_opENS9_16wrapped_functionINS8_7greaterIfEEbEEEE10hipError_tPvRmT1_T2_T3_mmT4_T5_P12ihipStream_tbEUlRKfE_EESS_SW_SX_mSY_S11_bEUlT_E_NS1_11comp_targetILNS1_3genE2ELNS1_11target_archE906ELNS1_3gpuE6ELNS1_3repE0EEENS1_30default_config_static_selectorELNS0_4arch9wavefront6targetE0EEEvSV_.has_dyn_sized_stack, 0
	.set _ZN7rocprim17ROCPRIM_400000_NS6detail17trampoline_kernelINS0_14default_configENS1_27upper_bound_config_selectorIflEEZNS1_14transform_implILb0ES3_S5_N6thrust23THRUST_200600_302600_NS6detail15normal_iteratorINS8_7pointerIfNS8_11hip_rocprim3tagENS8_11use_defaultESE_EEEENSA_INSB_IlSD_SE_SE_EEEEZNS1_13binary_searchIS3_S5_NSA_INS8_10device_ptrIfEEEESG_SI_NS1_21upper_bound_search_opENS9_16wrapped_functionINS8_7greaterIfEEbEEEE10hipError_tPvRmT1_T2_T3_mmT4_T5_P12ihipStream_tbEUlRKfE_EESS_SW_SX_mSY_S11_bEUlT_E_NS1_11comp_targetILNS1_3genE2ELNS1_11target_archE906ELNS1_3gpuE6ELNS1_3repE0EEENS1_30default_config_static_selectorELNS0_4arch9wavefront6targetE0EEEvSV_.has_recursion, 0
	.set _ZN7rocprim17ROCPRIM_400000_NS6detail17trampoline_kernelINS0_14default_configENS1_27upper_bound_config_selectorIflEEZNS1_14transform_implILb0ES3_S5_N6thrust23THRUST_200600_302600_NS6detail15normal_iteratorINS8_7pointerIfNS8_11hip_rocprim3tagENS8_11use_defaultESE_EEEENSA_INSB_IlSD_SE_SE_EEEEZNS1_13binary_searchIS3_S5_NSA_INS8_10device_ptrIfEEEESG_SI_NS1_21upper_bound_search_opENS9_16wrapped_functionINS8_7greaterIfEEbEEEE10hipError_tPvRmT1_T2_T3_mmT4_T5_P12ihipStream_tbEUlRKfE_EESS_SW_SX_mSY_S11_bEUlT_E_NS1_11comp_targetILNS1_3genE2ELNS1_11target_archE906ELNS1_3gpuE6ELNS1_3repE0EEENS1_30default_config_static_selectorELNS0_4arch9wavefront6targetE0EEEvSV_.has_indirect_call, 0
	.section	.AMDGPU.csdata,"",@progbits
; Kernel info:
; codeLenInByte = 0
; TotalNumSgprs: 0
; NumVgprs: 0
; ScratchSize: 0
; MemoryBound: 0
; FloatMode: 240
; IeeeMode: 1
; LDSByteSize: 0 bytes/workgroup (compile time only)
; SGPRBlocks: 0
; VGPRBlocks: 0
; NumSGPRsForWavesPerEU: 1
; NumVGPRsForWavesPerEU: 1
; NamedBarCnt: 0
; Occupancy: 16
; WaveLimiterHint : 0
; COMPUTE_PGM_RSRC2:SCRATCH_EN: 0
; COMPUTE_PGM_RSRC2:USER_SGPR: 2
; COMPUTE_PGM_RSRC2:TRAP_HANDLER: 0
; COMPUTE_PGM_RSRC2:TGID_X_EN: 1
; COMPUTE_PGM_RSRC2:TGID_Y_EN: 0
; COMPUTE_PGM_RSRC2:TGID_Z_EN: 0
; COMPUTE_PGM_RSRC2:TIDIG_COMP_CNT: 0
	.section	.text._ZN7rocprim17ROCPRIM_400000_NS6detail17trampoline_kernelINS0_14default_configENS1_27upper_bound_config_selectorIflEEZNS1_14transform_implILb0ES3_S5_N6thrust23THRUST_200600_302600_NS6detail15normal_iteratorINS8_7pointerIfNS8_11hip_rocprim3tagENS8_11use_defaultESE_EEEENSA_INSB_IlSD_SE_SE_EEEEZNS1_13binary_searchIS3_S5_NSA_INS8_10device_ptrIfEEEESG_SI_NS1_21upper_bound_search_opENS9_16wrapped_functionINS8_7greaterIfEEbEEEE10hipError_tPvRmT1_T2_T3_mmT4_T5_P12ihipStream_tbEUlRKfE_EESS_SW_SX_mSY_S11_bEUlT_E_NS1_11comp_targetILNS1_3genE10ELNS1_11target_archE1201ELNS1_3gpuE5ELNS1_3repE0EEENS1_30default_config_static_selectorELNS0_4arch9wavefront6targetE0EEEvSV_,"axG",@progbits,_ZN7rocprim17ROCPRIM_400000_NS6detail17trampoline_kernelINS0_14default_configENS1_27upper_bound_config_selectorIflEEZNS1_14transform_implILb0ES3_S5_N6thrust23THRUST_200600_302600_NS6detail15normal_iteratorINS8_7pointerIfNS8_11hip_rocprim3tagENS8_11use_defaultESE_EEEENSA_INSB_IlSD_SE_SE_EEEEZNS1_13binary_searchIS3_S5_NSA_INS8_10device_ptrIfEEEESG_SI_NS1_21upper_bound_search_opENS9_16wrapped_functionINS8_7greaterIfEEbEEEE10hipError_tPvRmT1_T2_T3_mmT4_T5_P12ihipStream_tbEUlRKfE_EESS_SW_SX_mSY_S11_bEUlT_E_NS1_11comp_targetILNS1_3genE10ELNS1_11target_archE1201ELNS1_3gpuE5ELNS1_3repE0EEENS1_30default_config_static_selectorELNS0_4arch9wavefront6targetE0EEEvSV_,comdat
	.protected	_ZN7rocprim17ROCPRIM_400000_NS6detail17trampoline_kernelINS0_14default_configENS1_27upper_bound_config_selectorIflEEZNS1_14transform_implILb0ES3_S5_N6thrust23THRUST_200600_302600_NS6detail15normal_iteratorINS8_7pointerIfNS8_11hip_rocprim3tagENS8_11use_defaultESE_EEEENSA_INSB_IlSD_SE_SE_EEEEZNS1_13binary_searchIS3_S5_NSA_INS8_10device_ptrIfEEEESG_SI_NS1_21upper_bound_search_opENS9_16wrapped_functionINS8_7greaterIfEEbEEEE10hipError_tPvRmT1_T2_T3_mmT4_T5_P12ihipStream_tbEUlRKfE_EESS_SW_SX_mSY_S11_bEUlT_E_NS1_11comp_targetILNS1_3genE10ELNS1_11target_archE1201ELNS1_3gpuE5ELNS1_3repE0EEENS1_30default_config_static_selectorELNS0_4arch9wavefront6targetE0EEEvSV_ ; -- Begin function _ZN7rocprim17ROCPRIM_400000_NS6detail17trampoline_kernelINS0_14default_configENS1_27upper_bound_config_selectorIflEEZNS1_14transform_implILb0ES3_S5_N6thrust23THRUST_200600_302600_NS6detail15normal_iteratorINS8_7pointerIfNS8_11hip_rocprim3tagENS8_11use_defaultESE_EEEENSA_INSB_IlSD_SE_SE_EEEEZNS1_13binary_searchIS3_S5_NSA_INS8_10device_ptrIfEEEESG_SI_NS1_21upper_bound_search_opENS9_16wrapped_functionINS8_7greaterIfEEbEEEE10hipError_tPvRmT1_T2_T3_mmT4_T5_P12ihipStream_tbEUlRKfE_EESS_SW_SX_mSY_S11_bEUlT_E_NS1_11comp_targetILNS1_3genE10ELNS1_11target_archE1201ELNS1_3gpuE5ELNS1_3repE0EEENS1_30default_config_static_selectorELNS0_4arch9wavefront6targetE0EEEvSV_
	.globl	_ZN7rocprim17ROCPRIM_400000_NS6detail17trampoline_kernelINS0_14default_configENS1_27upper_bound_config_selectorIflEEZNS1_14transform_implILb0ES3_S5_N6thrust23THRUST_200600_302600_NS6detail15normal_iteratorINS8_7pointerIfNS8_11hip_rocprim3tagENS8_11use_defaultESE_EEEENSA_INSB_IlSD_SE_SE_EEEEZNS1_13binary_searchIS3_S5_NSA_INS8_10device_ptrIfEEEESG_SI_NS1_21upper_bound_search_opENS9_16wrapped_functionINS8_7greaterIfEEbEEEE10hipError_tPvRmT1_T2_T3_mmT4_T5_P12ihipStream_tbEUlRKfE_EESS_SW_SX_mSY_S11_bEUlT_E_NS1_11comp_targetILNS1_3genE10ELNS1_11target_archE1201ELNS1_3gpuE5ELNS1_3repE0EEENS1_30default_config_static_selectorELNS0_4arch9wavefront6targetE0EEEvSV_
	.p2align	8
	.type	_ZN7rocprim17ROCPRIM_400000_NS6detail17trampoline_kernelINS0_14default_configENS1_27upper_bound_config_selectorIflEEZNS1_14transform_implILb0ES3_S5_N6thrust23THRUST_200600_302600_NS6detail15normal_iteratorINS8_7pointerIfNS8_11hip_rocprim3tagENS8_11use_defaultESE_EEEENSA_INSB_IlSD_SE_SE_EEEEZNS1_13binary_searchIS3_S5_NSA_INS8_10device_ptrIfEEEESG_SI_NS1_21upper_bound_search_opENS9_16wrapped_functionINS8_7greaterIfEEbEEEE10hipError_tPvRmT1_T2_T3_mmT4_T5_P12ihipStream_tbEUlRKfE_EESS_SW_SX_mSY_S11_bEUlT_E_NS1_11comp_targetILNS1_3genE10ELNS1_11target_archE1201ELNS1_3gpuE5ELNS1_3repE0EEENS1_30default_config_static_selectorELNS0_4arch9wavefront6targetE0EEEvSV_,@function
_ZN7rocprim17ROCPRIM_400000_NS6detail17trampoline_kernelINS0_14default_configENS1_27upper_bound_config_selectorIflEEZNS1_14transform_implILb0ES3_S5_N6thrust23THRUST_200600_302600_NS6detail15normal_iteratorINS8_7pointerIfNS8_11hip_rocprim3tagENS8_11use_defaultESE_EEEENSA_INSB_IlSD_SE_SE_EEEEZNS1_13binary_searchIS3_S5_NSA_INS8_10device_ptrIfEEEESG_SI_NS1_21upper_bound_search_opENS9_16wrapped_functionINS8_7greaterIfEEbEEEE10hipError_tPvRmT1_T2_T3_mmT4_T5_P12ihipStream_tbEUlRKfE_EESS_SW_SX_mSY_S11_bEUlT_E_NS1_11comp_targetILNS1_3genE10ELNS1_11target_archE1201ELNS1_3gpuE5ELNS1_3repE0EEENS1_30default_config_static_selectorELNS0_4arch9wavefront6targetE0EEEvSV_: ; @_ZN7rocprim17ROCPRIM_400000_NS6detail17trampoline_kernelINS0_14default_configENS1_27upper_bound_config_selectorIflEEZNS1_14transform_implILb0ES3_S5_N6thrust23THRUST_200600_302600_NS6detail15normal_iteratorINS8_7pointerIfNS8_11hip_rocprim3tagENS8_11use_defaultESE_EEEENSA_INSB_IlSD_SE_SE_EEEEZNS1_13binary_searchIS3_S5_NSA_INS8_10device_ptrIfEEEESG_SI_NS1_21upper_bound_search_opENS9_16wrapped_functionINS8_7greaterIfEEbEEEE10hipError_tPvRmT1_T2_T3_mmT4_T5_P12ihipStream_tbEUlRKfE_EESS_SW_SX_mSY_S11_bEUlT_E_NS1_11comp_targetILNS1_3genE10ELNS1_11target_archE1201ELNS1_3gpuE5ELNS1_3repE0EEENS1_30default_config_static_selectorELNS0_4arch9wavefront6targetE0EEEvSV_
; %bb.0:
	.section	.rodata,"a",@progbits
	.p2align	6, 0x0
	.amdhsa_kernel _ZN7rocprim17ROCPRIM_400000_NS6detail17trampoline_kernelINS0_14default_configENS1_27upper_bound_config_selectorIflEEZNS1_14transform_implILb0ES3_S5_N6thrust23THRUST_200600_302600_NS6detail15normal_iteratorINS8_7pointerIfNS8_11hip_rocprim3tagENS8_11use_defaultESE_EEEENSA_INSB_IlSD_SE_SE_EEEEZNS1_13binary_searchIS3_S5_NSA_INS8_10device_ptrIfEEEESG_SI_NS1_21upper_bound_search_opENS9_16wrapped_functionINS8_7greaterIfEEbEEEE10hipError_tPvRmT1_T2_T3_mmT4_T5_P12ihipStream_tbEUlRKfE_EESS_SW_SX_mSY_S11_bEUlT_E_NS1_11comp_targetILNS1_3genE10ELNS1_11target_archE1201ELNS1_3gpuE5ELNS1_3repE0EEENS1_30default_config_static_selectorELNS0_4arch9wavefront6targetE0EEEvSV_
		.amdhsa_group_segment_fixed_size 0
		.amdhsa_private_segment_fixed_size 0
		.amdhsa_kernarg_size 56
		.amdhsa_user_sgpr_count 2
		.amdhsa_user_sgpr_dispatch_ptr 0
		.amdhsa_user_sgpr_queue_ptr 0
		.amdhsa_user_sgpr_kernarg_segment_ptr 1
		.amdhsa_user_sgpr_dispatch_id 0
		.amdhsa_user_sgpr_kernarg_preload_length 0
		.amdhsa_user_sgpr_kernarg_preload_offset 0
		.amdhsa_user_sgpr_private_segment_size 0
		.amdhsa_wavefront_size32 1
		.amdhsa_uses_dynamic_stack 0
		.amdhsa_enable_private_segment 0
		.amdhsa_system_sgpr_workgroup_id_x 1
		.amdhsa_system_sgpr_workgroup_id_y 0
		.amdhsa_system_sgpr_workgroup_id_z 0
		.amdhsa_system_sgpr_workgroup_info 0
		.amdhsa_system_vgpr_workitem_id 0
		.amdhsa_next_free_vgpr 1
		.amdhsa_next_free_sgpr 1
		.amdhsa_named_barrier_count 0
		.amdhsa_reserve_vcc 0
		.amdhsa_float_round_mode_32 0
		.amdhsa_float_round_mode_16_64 0
		.amdhsa_float_denorm_mode_32 3
		.amdhsa_float_denorm_mode_16_64 3
		.amdhsa_fp16_overflow 0
		.amdhsa_memory_ordered 1
		.amdhsa_forward_progress 1
		.amdhsa_inst_pref_size 0
		.amdhsa_round_robin_scheduling 0
		.amdhsa_exception_fp_ieee_invalid_op 0
		.amdhsa_exception_fp_denorm_src 0
		.amdhsa_exception_fp_ieee_div_zero 0
		.amdhsa_exception_fp_ieee_overflow 0
		.amdhsa_exception_fp_ieee_underflow 0
		.amdhsa_exception_fp_ieee_inexact 0
		.amdhsa_exception_int_div_zero 0
	.end_amdhsa_kernel
	.section	.text._ZN7rocprim17ROCPRIM_400000_NS6detail17trampoline_kernelINS0_14default_configENS1_27upper_bound_config_selectorIflEEZNS1_14transform_implILb0ES3_S5_N6thrust23THRUST_200600_302600_NS6detail15normal_iteratorINS8_7pointerIfNS8_11hip_rocprim3tagENS8_11use_defaultESE_EEEENSA_INSB_IlSD_SE_SE_EEEEZNS1_13binary_searchIS3_S5_NSA_INS8_10device_ptrIfEEEESG_SI_NS1_21upper_bound_search_opENS9_16wrapped_functionINS8_7greaterIfEEbEEEE10hipError_tPvRmT1_T2_T3_mmT4_T5_P12ihipStream_tbEUlRKfE_EESS_SW_SX_mSY_S11_bEUlT_E_NS1_11comp_targetILNS1_3genE10ELNS1_11target_archE1201ELNS1_3gpuE5ELNS1_3repE0EEENS1_30default_config_static_selectorELNS0_4arch9wavefront6targetE0EEEvSV_,"axG",@progbits,_ZN7rocprim17ROCPRIM_400000_NS6detail17trampoline_kernelINS0_14default_configENS1_27upper_bound_config_selectorIflEEZNS1_14transform_implILb0ES3_S5_N6thrust23THRUST_200600_302600_NS6detail15normal_iteratorINS8_7pointerIfNS8_11hip_rocprim3tagENS8_11use_defaultESE_EEEENSA_INSB_IlSD_SE_SE_EEEEZNS1_13binary_searchIS3_S5_NSA_INS8_10device_ptrIfEEEESG_SI_NS1_21upper_bound_search_opENS9_16wrapped_functionINS8_7greaterIfEEbEEEE10hipError_tPvRmT1_T2_T3_mmT4_T5_P12ihipStream_tbEUlRKfE_EESS_SW_SX_mSY_S11_bEUlT_E_NS1_11comp_targetILNS1_3genE10ELNS1_11target_archE1201ELNS1_3gpuE5ELNS1_3repE0EEENS1_30default_config_static_selectorELNS0_4arch9wavefront6targetE0EEEvSV_,comdat
.Lfunc_end109:
	.size	_ZN7rocprim17ROCPRIM_400000_NS6detail17trampoline_kernelINS0_14default_configENS1_27upper_bound_config_selectorIflEEZNS1_14transform_implILb0ES3_S5_N6thrust23THRUST_200600_302600_NS6detail15normal_iteratorINS8_7pointerIfNS8_11hip_rocprim3tagENS8_11use_defaultESE_EEEENSA_INSB_IlSD_SE_SE_EEEEZNS1_13binary_searchIS3_S5_NSA_INS8_10device_ptrIfEEEESG_SI_NS1_21upper_bound_search_opENS9_16wrapped_functionINS8_7greaterIfEEbEEEE10hipError_tPvRmT1_T2_T3_mmT4_T5_P12ihipStream_tbEUlRKfE_EESS_SW_SX_mSY_S11_bEUlT_E_NS1_11comp_targetILNS1_3genE10ELNS1_11target_archE1201ELNS1_3gpuE5ELNS1_3repE0EEENS1_30default_config_static_selectorELNS0_4arch9wavefront6targetE0EEEvSV_, .Lfunc_end109-_ZN7rocprim17ROCPRIM_400000_NS6detail17trampoline_kernelINS0_14default_configENS1_27upper_bound_config_selectorIflEEZNS1_14transform_implILb0ES3_S5_N6thrust23THRUST_200600_302600_NS6detail15normal_iteratorINS8_7pointerIfNS8_11hip_rocprim3tagENS8_11use_defaultESE_EEEENSA_INSB_IlSD_SE_SE_EEEEZNS1_13binary_searchIS3_S5_NSA_INS8_10device_ptrIfEEEESG_SI_NS1_21upper_bound_search_opENS9_16wrapped_functionINS8_7greaterIfEEbEEEE10hipError_tPvRmT1_T2_T3_mmT4_T5_P12ihipStream_tbEUlRKfE_EESS_SW_SX_mSY_S11_bEUlT_E_NS1_11comp_targetILNS1_3genE10ELNS1_11target_archE1201ELNS1_3gpuE5ELNS1_3repE0EEENS1_30default_config_static_selectorELNS0_4arch9wavefront6targetE0EEEvSV_
                                        ; -- End function
	.set _ZN7rocprim17ROCPRIM_400000_NS6detail17trampoline_kernelINS0_14default_configENS1_27upper_bound_config_selectorIflEEZNS1_14transform_implILb0ES3_S5_N6thrust23THRUST_200600_302600_NS6detail15normal_iteratorINS8_7pointerIfNS8_11hip_rocprim3tagENS8_11use_defaultESE_EEEENSA_INSB_IlSD_SE_SE_EEEEZNS1_13binary_searchIS3_S5_NSA_INS8_10device_ptrIfEEEESG_SI_NS1_21upper_bound_search_opENS9_16wrapped_functionINS8_7greaterIfEEbEEEE10hipError_tPvRmT1_T2_T3_mmT4_T5_P12ihipStream_tbEUlRKfE_EESS_SW_SX_mSY_S11_bEUlT_E_NS1_11comp_targetILNS1_3genE10ELNS1_11target_archE1201ELNS1_3gpuE5ELNS1_3repE0EEENS1_30default_config_static_selectorELNS0_4arch9wavefront6targetE0EEEvSV_.num_vgpr, 0
	.set _ZN7rocprim17ROCPRIM_400000_NS6detail17trampoline_kernelINS0_14default_configENS1_27upper_bound_config_selectorIflEEZNS1_14transform_implILb0ES3_S5_N6thrust23THRUST_200600_302600_NS6detail15normal_iteratorINS8_7pointerIfNS8_11hip_rocprim3tagENS8_11use_defaultESE_EEEENSA_INSB_IlSD_SE_SE_EEEEZNS1_13binary_searchIS3_S5_NSA_INS8_10device_ptrIfEEEESG_SI_NS1_21upper_bound_search_opENS9_16wrapped_functionINS8_7greaterIfEEbEEEE10hipError_tPvRmT1_T2_T3_mmT4_T5_P12ihipStream_tbEUlRKfE_EESS_SW_SX_mSY_S11_bEUlT_E_NS1_11comp_targetILNS1_3genE10ELNS1_11target_archE1201ELNS1_3gpuE5ELNS1_3repE0EEENS1_30default_config_static_selectorELNS0_4arch9wavefront6targetE0EEEvSV_.num_agpr, 0
	.set _ZN7rocprim17ROCPRIM_400000_NS6detail17trampoline_kernelINS0_14default_configENS1_27upper_bound_config_selectorIflEEZNS1_14transform_implILb0ES3_S5_N6thrust23THRUST_200600_302600_NS6detail15normal_iteratorINS8_7pointerIfNS8_11hip_rocprim3tagENS8_11use_defaultESE_EEEENSA_INSB_IlSD_SE_SE_EEEEZNS1_13binary_searchIS3_S5_NSA_INS8_10device_ptrIfEEEESG_SI_NS1_21upper_bound_search_opENS9_16wrapped_functionINS8_7greaterIfEEbEEEE10hipError_tPvRmT1_T2_T3_mmT4_T5_P12ihipStream_tbEUlRKfE_EESS_SW_SX_mSY_S11_bEUlT_E_NS1_11comp_targetILNS1_3genE10ELNS1_11target_archE1201ELNS1_3gpuE5ELNS1_3repE0EEENS1_30default_config_static_selectorELNS0_4arch9wavefront6targetE0EEEvSV_.numbered_sgpr, 0
	.set _ZN7rocprim17ROCPRIM_400000_NS6detail17trampoline_kernelINS0_14default_configENS1_27upper_bound_config_selectorIflEEZNS1_14transform_implILb0ES3_S5_N6thrust23THRUST_200600_302600_NS6detail15normal_iteratorINS8_7pointerIfNS8_11hip_rocprim3tagENS8_11use_defaultESE_EEEENSA_INSB_IlSD_SE_SE_EEEEZNS1_13binary_searchIS3_S5_NSA_INS8_10device_ptrIfEEEESG_SI_NS1_21upper_bound_search_opENS9_16wrapped_functionINS8_7greaterIfEEbEEEE10hipError_tPvRmT1_T2_T3_mmT4_T5_P12ihipStream_tbEUlRKfE_EESS_SW_SX_mSY_S11_bEUlT_E_NS1_11comp_targetILNS1_3genE10ELNS1_11target_archE1201ELNS1_3gpuE5ELNS1_3repE0EEENS1_30default_config_static_selectorELNS0_4arch9wavefront6targetE0EEEvSV_.num_named_barrier, 0
	.set _ZN7rocprim17ROCPRIM_400000_NS6detail17trampoline_kernelINS0_14default_configENS1_27upper_bound_config_selectorIflEEZNS1_14transform_implILb0ES3_S5_N6thrust23THRUST_200600_302600_NS6detail15normal_iteratorINS8_7pointerIfNS8_11hip_rocprim3tagENS8_11use_defaultESE_EEEENSA_INSB_IlSD_SE_SE_EEEEZNS1_13binary_searchIS3_S5_NSA_INS8_10device_ptrIfEEEESG_SI_NS1_21upper_bound_search_opENS9_16wrapped_functionINS8_7greaterIfEEbEEEE10hipError_tPvRmT1_T2_T3_mmT4_T5_P12ihipStream_tbEUlRKfE_EESS_SW_SX_mSY_S11_bEUlT_E_NS1_11comp_targetILNS1_3genE10ELNS1_11target_archE1201ELNS1_3gpuE5ELNS1_3repE0EEENS1_30default_config_static_selectorELNS0_4arch9wavefront6targetE0EEEvSV_.private_seg_size, 0
	.set _ZN7rocprim17ROCPRIM_400000_NS6detail17trampoline_kernelINS0_14default_configENS1_27upper_bound_config_selectorIflEEZNS1_14transform_implILb0ES3_S5_N6thrust23THRUST_200600_302600_NS6detail15normal_iteratorINS8_7pointerIfNS8_11hip_rocprim3tagENS8_11use_defaultESE_EEEENSA_INSB_IlSD_SE_SE_EEEEZNS1_13binary_searchIS3_S5_NSA_INS8_10device_ptrIfEEEESG_SI_NS1_21upper_bound_search_opENS9_16wrapped_functionINS8_7greaterIfEEbEEEE10hipError_tPvRmT1_T2_T3_mmT4_T5_P12ihipStream_tbEUlRKfE_EESS_SW_SX_mSY_S11_bEUlT_E_NS1_11comp_targetILNS1_3genE10ELNS1_11target_archE1201ELNS1_3gpuE5ELNS1_3repE0EEENS1_30default_config_static_selectorELNS0_4arch9wavefront6targetE0EEEvSV_.uses_vcc, 0
	.set _ZN7rocprim17ROCPRIM_400000_NS6detail17trampoline_kernelINS0_14default_configENS1_27upper_bound_config_selectorIflEEZNS1_14transform_implILb0ES3_S5_N6thrust23THRUST_200600_302600_NS6detail15normal_iteratorINS8_7pointerIfNS8_11hip_rocprim3tagENS8_11use_defaultESE_EEEENSA_INSB_IlSD_SE_SE_EEEEZNS1_13binary_searchIS3_S5_NSA_INS8_10device_ptrIfEEEESG_SI_NS1_21upper_bound_search_opENS9_16wrapped_functionINS8_7greaterIfEEbEEEE10hipError_tPvRmT1_T2_T3_mmT4_T5_P12ihipStream_tbEUlRKfE_EESS_SW_SX_mSY_S11_bEUlT_E_NS1_11comp_targetILNS1_3genE10ELNS1_11target_archE1201ELNS1_3gpuE5ELNS1_3repE0EEENS1_30default_config_static_selectorELNS0_4arch9wavefront6targetE0EEEvSV_.uses_flat_scratch, 0
	.set _ZN7rocprim17ROCPRIM_400000_NS6detail17trampoline_kernelINS0_14default_configENS1_27upper_bound_config_selectorIflEEZNS1_14transform_implILb0ES3_S5_N6thrust23THRUST_200600_302600_NS6detail15normal_iteratorINS8_7pointerIfNS8_11hip_rocprim3tagENS8_11use_defaultESE_EEEENSA_INSB_IlSD_SE_SE_EEEEZNS1_13binary_searchIS3_S5_NSA_INS8_10device_ptrIfEEEESG_SI_NS1_21upper_bound_search_opENS9_16wrapped_functionINS8_7greaterIfEEbEEEE10hipError_tPvRmT1_T2_T3_mmT4_T5_P12ihipStream_tbEUlRKfE_EESS_SW_SX_mSY_S11_bEUlT_E_NS1_11comp_targetILNS1_3genE10ELNS1_11target_archE1201ELNS1_3gpuE5ELNS1_3repE0EEENS1_30default_config_static_selectorELNS0_4arch9wavefront6targetE0EEEvSV_.has_dyn_sized_stack, 0
	.set _ZN7rocprim17ROCPRIM_400000_NS6detail17trampoline_kernelINS0_14default_configENS1_27upper_bound_config_selectorIflEEZNS1_14transform_implILb0ES3_S5_N6thrust23THRUST_200600_302600_NS6detail15normal_iteratorINS8_7pointerIfNS8_11hip_rocprim3tagENS8_11use_defaultESE_EEEENSA_INSB_IlSD_SE_SE_EEEEZNS1_13binary_searchIS3_S5_NSA_INS8_10device_ptrIfEEEESG_SI_NS1_21upper_bound_search_opENS9_16wrapped_functionINS8_7greaterIfEEbEEEE10hipError_tPvRmT1_T2_T3_mmT4_T5_P12ihipStream_tbEUlRKfE_EESS_SW_SX_mSY_S11_bEUlT_E_NS1_11comp_targetILNS1_3genE10ELNS1_11target_archE1201ELNS1_3gpuE5ELNS1_3repE0EEENS1_30default_config_static_selectorELNS0_4arch9wavefront6targetE0EEEvSV_.has_recursion, 0
	.set _ZN7rocprim17ROCPRIM_400000_NS6detail17trampoline_kernelINS0_14default_configENS1_27upper_bound_config_selectorIflEEZNS1_14transform_implILb0ES3_S5_N6thrust23THRUST_200600_302600_NS6detail15normal_iteratorINS8_7pointerIfNS8_11hip_rocprim3tagENS8_11use_defaultESE_EEEENSA_INSB_IlSD_SE_SE_EEEEZNS1_13binary_searchIS3_S5_NSA_INS8_10device_ptrIfEEEESG_SI_NS1_21upper_bound_search_opENS9_16wrapped_functionINS8_7greaterIfEEbEEEE10hipError_tPvRmT1_T2_T3_mmT4_T5_P12ihipStream_tbEUlRKfE_EESS_SW_SX_mSY_S11_bEUlT_E_NS1_11comp_targetILNS1_3genE10ELNS1_11target_archE1201ELNS1_3gpuE5ELNS1_3repE0EEENS1_30default_config_static_selectorELNS0_4arch9wavefront6targetE0EEEvSV_.has_indirect_call, 0
	.section	.AMDGPU.csdata,"",@progbits
; Kernel info:
; codeLenInByte = 0
; TotalNumSgprs: 0
; NumVgprs: 0
; ScratchSize: 0
; MemoryBound: 0
; FloatMode: 240
; IeeeMode: 1
; LDSByteSize: 0 bytes/workgroup (compile time only)
; SGPRBlocks: 0
; VGPRBlocks: 0
; NumSGPRsForWavesPerEU: 1
; NumVGPRsForWavesPerEU: 1
; NamedBarCnt: 0
; Occupancy: 16
; WaveLimiterHint : 0
; COMPUTE_PGM_RSRC2:SCRATCH_EN: 0
; COMPUTE_PGM_RSRC2:USER_SGPR: 2
; COMPUTE_PGM_RSRC2:TRAP_HANDLER: 0
; COMPUTE_PGM_RSRC2:TGID_X_EN: 1
; COMPUTE_PGM_RSRC2:TGID_Y_EN: 0
; COMPUTE_PGM_RSRC2:TGID_Z_EN: 0
; COMPUTE_PGM_RSRC2:TIDIG_COMP_CNT: 0
	.section	.text._ZN7rocprim17ROCPRIM_400000_NS6detail17trampoline_kernelINS0_14default_configENS1_27upper_bound_config_selectorIflEEZNS1_14transform_implILb0ES3_S5_N6thrust23THRUST_200600_302600_NS6detail15normal_iteratorINS8_7pointerIfNS8_11hip_rocprim3tagENS8_11use_defaultESE_EEEENSA_INSB_IlSD_SE_SE_EEEEZNS1_13binary_searchIS3_S5_NSA_INS8_10device_ptrIfEEEESG_SI_NS1_21upper_bound_search_opENS9_16wrapped_functionINS8_7greaterIfEEbEEEE10hipError_tPvRmT1_T2_T3_mmT4_T5_P12ihipStream_tbEUlRKfE_EESS_SW_SX_mSY_S11_bEUlT_E_NS1_11comp_targetILNS1_3genE10ELNS1_11target_archE1200ELNS1_3gpuE4ELNS1_3repE0EEENS1_30default_config_static_selectorELNS0_4arch9wavefront6targetE0EEEvSV_,"axG",@progbits,_ZN7rocprim17ROCPRIM_400000_NS6detail17trampoline_kernelINS0_14default_configENS1_27upper_bound_config_selectorIflEEZNS1_14transform_implILb0ES3_S5_N6thrust23THRUST_200600_302600_NS6detail15normal_iteratorINS8_7pointerIfNS8_11hip_rocprim3tagENS8_11use_defaultESE_EEEENSA_INSB_IlSD_SE_SE_EEEEZNS1_13binary_searchIS3_S5_NSA_INS8_10device_ptrIfEEEESG_SI_NS1_21upper_bound_search_opENS9_16wrapped_functionINS8_7greaterIfEEbEEEE10hipError_tPvRmT1_T2_T3_mmT4_T5_P12ihipStream_tbEUlRKfE_EESS_SW_SX_mSY_S11_bEUlT_E_NS1_11comp_targetILNS1_3genE10ELNS1_11target_archE1200ELNS1_3gpuE4ELNS1_3repE0EEENS1_30default_config_static_selectorELNS0_4arch9wavefront6targetE0EEEvSV_,comdat
	.protected	_ZN7rocprim17ROCPRIM_400000_NS6detail17trampoline_kernelINS0_14default_configENS1_27upper_bound_config_selectorIflEEZNS1_14transform_implILb0ES3_S5_N6thrust23THRUST_200600_302600_NS6detail15normal_iteratorINS8_7pointerIfNS8_11hip_rocprim3tagENS8_11use_defaultESE_EEEENSA_INSB_IlSD_SE_SE_EEEEZNS1_13binary_searchIS3_S5_NSA_INS8_10device_ptrIfEEEESG_SI_NS1_21upper_bound_search_opENS9_16wrapped_functionINS8_7greaterIfEEbEEEE10hipError_tPvRmT1_T2_T3_mmT4_T5_P12ihipStream_tbEUlRKfE_EESS_SW_SX_mSY_S11_bEUlT_E_NS1_11comp_targetILNS1_3genE10ELNS1_11target_archE1200ELNS1_3gpuE4ELNS1_3repE0EEENS1_30default_config_static_selectorELNS0_4arch9wavefront6targetE0EEEvSV_ ; -- Begin function _ZN7rocprim17ROCPRIM_400000_NS6detail17trampoline_kernelINS0_14default_configENS1_27upper_bound_config_selectorIflEEZNS1_14transform_implILb0ES3_S5_N6thrust23THRUST_200600_302600_NS6detail15normal_iteratorINS8_7pointerIfNS8_11hip_rocprim3tagENS8_11use_defaultESE_EEEENSA_INSB_IlSD_SE_SE_EEEEZNS1_13binary_searchIS3_S5_NSA_INS8_10device_ptrIfEEEESG_SI_NS1_21upper_bound_search_opENS9_16wrapped_functionINS8_7greaterIfEEbEEEE10hipError_tPvRmT1_T2_T3_mmT4_T5_P12ihipStream_tbEUlRKfE_EESS_SW_SX_mSY_S11_bEUlT_E_NS1_11comp_targetILNS1_3genE10ELNS1_11target_archE1200ELNS1_3gpuE4ELNS1_3repE0EEENS1_30default_config_static_selectorELNS0_4arch9wavefront6targetE0EEEvSV_
	.globl	_ZN7rocprim17ROCPRIM_400000_NS6detail17trampoline_kernelINS0_14default_configENS1_27upper_bound_config_selectorIflEEZNS1_14transform_implILb0ES3_S5_N6thrust23THRUST_200600_302600_NS6detail15normal_iteratorINS8_7pointerIfNS8_11hip_rocprim3tagENS8_11use_defaultESE_EEEENSA_INSB_IlSD_SE_SE_EEEEZNS1_13binary_searchIS3_S5_NSA_INS8_10device_ptrIfEEEESG_SI_NS1_21upper_bound_search_opENS9_16wrapped_functionINS8_7greaterIfEEbEEEE10hipError_tPvRmT1_T2_T3_mmT4_T5_P12ihipStream_tbEUlRKfE_EESS_SW_SX_mSY_S11_bEUlT_E_NS1_11comp_targetILNS1_3genE10ELNS1_11target_archE1200ELNS1_3gpuE4ELNS1_3repE0EEENS1_30default_config_static_selectorELNS0_4arch9wavefront6targetE0EEEvSV_
	.p2align	8
	.type	_ZN7rocprim17ROCPRIM_400000_NS6detail17trampoline_kernelINS0_14default_configENS1_27upper_bound_config_selectorIflEEZNS1_14transform_implILb0ES3_S5_N6thrust23THRUST_200600_302600_NS6detail15normal_iteratorINS8_7pointerIfNS8_11hip_rocprim3tagENS8_11use_defaultESE_EEEENSA_INSB_IlSD_SE_SE_EEEEZNS1_13binary_searchIS3_S5_NSA_INS8_10device_ptrIfEEEESG_SI_NS1_21upper_bound_search_opENS9_16wrapped_functionINS8_7greaterIfEEbEEEE10hipError_tPvRmT1_T2_T3_mmT4_T5_P12ihipStream_tbEUlRKfE_EESS_SW_SX_mSY_S11_bEUlT_E_NS1_11comp_targetILNS1_3genE10ELNS1_11target_archE1200ELNS1_3gpuE4ELNS1_3repE0EEENS1_30default_config_static_selectorELNS0_4arch9wavefront6targetE0EEEvSV_,@function
_ZN7rocprim17ROCPRIM_400000_NS6detail17trampoline_kernelINS0_14default_configENS1_27upper_bound_config_selectorIflEEZNS1_14transform_implILb0ES3_S5_N6thrust23THRUST_200600_302600_NS6detail15normal_iteratorINS8_7pointerIfNS8_11hip_rocprim3tagENS8_11use_defaultESE_EEEENSA_INSB_IlSD_SE_SE_EEEEZNS1_13binary_searchIS3_S5_NSA_INS8_10device_ptrIfEEEESG_SI_NS1_21upper_bound_search_opENS9_16wrapped_functionINS8_7greaterIfEEbEEEE10hipError_tPvRmT1_T2_T3_mmT4_T5_P12ihipStream_tbEUlRKfE_EESS_SW_SX_mSY_S11_bEUlT_E_NS1_11comp_targetILNS1_3genE10ELNS1_11target_archE1200ELNS1_3gpuE4ELNS1_3repE0EEENS1_30default_config_static_selectorELNS0_4arch9wavefront6targetE0EEEvSV_: ; @_ZN7rocprim17ROCPRIM_400000_NS6detail17trampoline_kernelINS0_14default_configENS1_27upper_bound_config_selectorIflEEZNS1_14transform_implILb0ES3_S5_N6thrust23THRUST_200600_302600_NS6detail15normal_iteratorINS8_7pointerIfNS8_11hip_rocprim3tagENS8_11use_defaultESE_EEEENSA_INSB_IlSD_SE_SE_EEEEZNS1_13binary_searchIS3_S5_NSA_INS8_10device_ptrIfEEEESG_SI_NS1_21upper_bound_search_opENS9_16wrapped_functionINS8_7greaterIfEEbEEEE10hipError_tPvRmT1_T2_T3_mmT4_T5_P12ihipStream_tbEUlRKfE_EESS_SW_SX_mSY_S11_bEUlT_E_NS1_11comp_targetILNS1_3genE10ELNS1_11target_archE1200ELNS1_3gpuE4ELNS1_3repE0EEENS1_30default_config_static_selectorELNS0_4arch9wavefront6targetE0EEEvSV_
; %bb.0:
	.section	.rodata,"a",@progbits
	.p2align	6, 0x0
	.amdhsa_kernel _ZN7rocprim17ROCPRIM_400000_NS6detail17trampoline_kernelINS0_14default_configENS1_27upper_bound_config_selectorIflEEZNS1_14transform_implILb0ES3_S5_N6thrust23THRUST_200600_302600_NS6detail15normal_iteratorINS8_7pointerIfNS8_11hip_rocprim3tagENS8_11use_defaultESE_EEEENSA_INSB_IlSD_SE_SE_EEEEZNS1_13binary_searchIS3_S5_NSA_INS8_10device_ptrIfEEEESG_SI_NS1_21upper_bound_search_opENS9_16wrapped_functionINS8_7greaterIfEEbEEEE10hipError_tPvRmT1_T2_T3_mmT4_T5_P12ihipStream_tbEUlRKfE_EESS_SW_SX_mSY_S11_bEUlT_E_NS1_11comp_targetILNS1_3genE10ELNS1_11target_archE1200ELNS1_3gpuE4ELNS1_3repE0EEENS1_30default_config_static_selectorELNS0_4arch9wavefront6targetE0EEEvSV_
		.amdhsa_group_segment_fixed_size 0
		.amdhsa_private_segment_fixed_size 0
		.amdhsa_kernarg_size 56
		.amdhsa_user_sgpr_count 2
		.amdhsa_user_sgpr_dispatch_ptr 0
		.amdhsa_user_sgpr_queue_ptr 0
		.amdhsa_user_sgpr_kernarg_segment_ptr 1
		.amdhsa_user_sgpr_dispatch_id 0
		.amdhsa_user_sgpr_kernarg_preload_length 0
		.amdhsa_user_sgpr_kernarg_preload_offset 0
		.amdhsa_user_sgpr_private_segment_size 0
		.amdhsa_wavefront_size32 1
		.amdhsa_uses_dynamic_stack 0
		.amdhsa_enable_private_segment 0
		.amdhsa_system_sgpr_workgroup_id_x 1
		.amdhsa_system_sgpr_workgroup_id_y 0
		.amdhsa_system_sgpr_workgroup_id_z 0
		.amdhsa_system_sgpr_workgroup_info 0
		.amdhsa_system_vgpr_workitem_id 0
		.amdhsa_next_free_vgpr 1
		.amdhsa_next_free_sgpr 1
		.amdhsa_named_barrier_count 0
		.amdhsa_reserve_vcc 0
		.amdhsa_float_round_mode_32 0
		.amdhsa_float_round_mode_16_64 0
		.amdhsa_float_denorm_mode_32 3
		.amdhsa_float_denorm_mode_16_64 3
		.amdhsa_fp16_overflow 0
		.amdhsa_memory_ordered 1
		.amdhsa_forward_progress 1
		.amdhsa_inst_pref_size 0
		.amdhsa_round_robin_scheduling 0
		.amdhsa_exception_fp_ieee_invalid_op 0
		.amdhsa_exception_fp_denorm_src 0
		.amdhsa_exception_fp_ieee_div_zero 0
		.amdhsa_exception_fp_ieee_overflow 0
		.amdhsa_exception_fp_ieee_underflow 0
		.amdhsa_exception_fp_ieee_inexact 0
		.amdhsa_exception_int_div_zero 0
	.end_amdhsa_kernel
	.section	.text._ZN7rocprim17ROCPRIM_400000_NS6detail17trampoline_kernelINS0_14default_configENS1_27upper_bound_config_selectorIflEEZNS1_14transform_implILb0ES3_S5_N6thrust23THRUST_200600_302600_NS6detail15normal_iteratorINS8_7pointerIfNS8_11hip_rocprim3tagENS8_11use_defaultESE_EEEENSA_INSB_IlSD_SE_SE_EEEEZNS1_13binary_searchIS3_S5_NSA_INS8_10device_ptrIfEEEESG_SI_NS1_21upper_bound_search_opENS9_16wrapped_functionINS8_7greaterIfEEbEEEE10hipError_tPvRmT1_T2_T3_mmT4_T5_P12ihipStream_tbEUlRKfE_EESS_SW_SX_mSY_S11_bEUlT_E_NS1_11comp_targetILNS1_3genE10ELNS1_11target_archE1200ELNS1_3gpuE4ELNS1_3repE0EEENS1_30default_config_static_selectorELNS0_4arch9wavefront6targetE0EEEvSV_,"axG",@progbits,_ZN7rocprim17ROCPRIM_400000_NS6detail17trampoline_kernelINS0_14default_configENS1_27upper_bound_config_selectorIflEEZNS1_14transform_implILb0ES3_S5_N6thrust23THRUST_200600_302600_NS6detail15normal_iteratorINS8_7pointerIfNS8_11hip_rocprim3tagENS8_11use_defaultESE_EEEENSA_INSB_IlSD_SE_SE_EEEEZNS1_13binary_searchIS3_S5_NSA_INS8_10device_ptrIfEEEESG_SI_NS1_21upper_bound_search_opENS9_16wrapped_functionINS8_7greaterIfEEbEEEE10hipError_tPvRmT1_T2_T3_mmT4_T5_P12ihipStream_tbEUlRKfE_EESS_SW_SX_mSY_S11_bEUlT_E_NS1_11comp_targetILNS1_3genE10ELNS1_11target_archE1200ELNS1_3gpuE4ELNS1_3repE0EEENS1_30default_config_static_selectorELNS0_4arch9wavefront6targetE0EEEvSV_,comdat
.Lfunc_end110:
	.size	_ZN7rocprim17ROCPRIM_400000_NS6detail17trampoline_kernelINS0_14default_configENS1_27upper_bound_config_selectorIflEEZNS1_14transform_implILb0ES3_S5_N6thrust23THRUST_200600_302600_NS6detail15normal_iteratorINS8_7pointerIfNS8_11hip_rocprim3tagENS8_11use_defaultESE_EEEENSA_INSB_IlSD_SE_SE_EEEEZNS1_13binary_searchIS3_S5_NSA_INS8_10device_ptrIfEEEESG_SI_NS1_21upper_bound_search_opENS9_16wrapped_functionINS8_7greaterIfEEbEEEE10hipError_tPvRmT1_T2_T3_mmT4_T5_P12ihipStream_tbEUlRKfE_EESS_SW_SX_mSY_S11_bEUlT_E_NS1_11comp_targetILNS1_3genE10ELNS1_11target_archE1200ELNS1_3gpuE4ELNS1_3repE0EEENS1_30default_config_static_selectorELNS0_4arch9wavefront6targetE0EEEvSV_, .Lfunc_end110-_ZN7rocprim17ROCPRIM_400000_NS6detail17trampoline_kernelINS0_14default_configENS1_27upper_bound_config_selectorIflEEZNS1_14transform_implILb0ES3_S5_N6thrust23THRUST_200600_302600_NS6detail15normal_iteratorINS8_7pointerIfNS8_11hip_rocprim3tagENS8_11use_defaultESE_EEEENSA_INSB_IlSD_SE_SE_EEEEZNS1_13binary_searchIS3_S5_NSA_INS8_10device_ptrIfEEEESG_SI_NS1_21upper_bound_search_opENS9_16wrapped_functionINS8_7greaterIfEEbEEEE10hipError_tPvRmT1_T2_T3_mmT4_T5_P12ihipStream_tbEUlRKfE_EESS_SW_SX_mSY_S11_bEUlT_E_NS1_11comp_targetILNS1_3genE10ELNS1_11target_archE1200ELNS1_3gpuE4ELNS1_3repE0EEENS1_30default_config_static_selectorELNS0_4arch9wavefront6targetE0EEEvSV_
                                        ; -- End function
	.set _ZN7rocprim17ROCPRIM_400000_NS6detail17trampoline_kernelINS0_14default_configENS1_27upper_bound_config_selectorIflEEZNS1_14transform_implILb0ES3_S5_N6thrust23THRUST_200600_302600_NS6detail15normal_iteratorINS8_7pointerIfNS8_11hip_rocprim3tagENS8_11use_defaultESE_EEEENSA_INSB_IlSD_SE_SE_EEEEZNS1_13binary_searchIS3_S5_NSA_INS8_10device_ptrIfEEEESG_SI_NS1_21upper_bound_search_opENS9_16wrapped_functionINS8_7greaterIfEEbEEEE10hipError_tPvRmT1_T2_T3_mmT4_T5_P12ihipStream_tbEUlRKfE_EESS_SW_SX_mSY_S11_bEUlT_E_NS1_11comp_targetILNS1_3genE10ELNS1_11target_archE1200ELNS1_3gpuE4ELNS1_3repE0EEENS1_30default_config_static_selectorELNS0_4arch9wavefront6targetE0EEEvSV_.num_vgpr, 0
	.set _ZN7rocprim17ROCPRIM_400000_NS6detail17trampoline_kernelINS0_14default_configENS1_27upper_bound_config_selectorIflEEZNS1_14transform_implILb0ES3_S5_N6thrust23THRUST_200600_302600_NS6detail15normal_iteratorINS8_7pointerIfNS8_11hip_rocprim3tagENS8_11use_defaultESE_EEEENSA_INSB_IlSD_SE_SE_EEEEZNS1_13binary_searchIS3_S5_NSA_INS8_10device_ptrIfEEEESG_SI_NS1_21upper_bound_search_opENS9_16wrapped_functionINS8_7greaterIfEEbEEEE10hipError_tPvRmT1_T2_T3_mmT4_T5_P12ihipStream_tbEUlRKfE_EESS_SW_SX_mSY_S11_bEUlT_E_NS1_11comp_targetILNS1_3genE10ELNS1_11target_archE1200ELNS1_3gpuE4ELNS1_3repE0EEENS1_30default_config_static_selectorELNS0_4arch9wavefront6targetE0EEEvSV_.num_agpr, 0
	.set _ZN7rocprim17ROCPRIM_400000_NS6detail17trampoline_kernelINS0_14default_configENS1_27upper_bound_config_selectorIflEEZNS1_14transform_implILb0ES3_S5_N6thrust23THRUST_200600_302600_NS6detail15normal_iteratorINS8_7pointerIfNS8_11hip_rocprim3tagENS8_11use_defaultESE_EEEENSA_INSB_IlSD_SE_SE_EEEEZNS1_13binary_searchIS3_S5_NSA_INS8_10device_ptrIfEEEESG_SI_NS1_21upper_bound_search_opENS9_16wrapped_functionINS8_7greaterIfEEbEEEE10hipError_tPvRmT1_T2_T3_mmT4_T5_P12ihipStream_tbEUlRKfE_EESS_SW_SX_mSY_S11_bEUlT_E_NS1_11comp_targetILNS1_3genE10ELNS1_11target_archE1200ELNS1_3gpuE4ELNS1_3repE0EEENS1_30default_config_static_selectorELNS0_4arch9wavefront6targetE0EEEvSV_.numbered_sgpr, 0
	.set _ZN7rocprim17ROCPRIM_400000_NS6detail17trampoline_kernelINS0_14default_configENS1_27upper_bound_config_selectorIflEEZNS1_14transform_implILb0ES3_S5_N6thrust23THRUST_200600_302600_NS6detail15normal_iteratorINS8_7pointerIfNS8_11hip_rocprim3tagENS8_11use_defaultESE_EEEENSA_INSB_IlSD_SE_SE_EEEEZNS1_13binary_searchIS3_S5_NSA_INS8_10device_ptrIfEEEESG_SI_NS1_21upper_bound_search_opENS9_16wrapped_functionINS8_7greaterIfEEbEEEE10hipError_tPvRmT1_T2_T3_mmT4_T5_P12ihipStream_tbEUlRKfE_EESS_SW_SX_mSY_S11_bEUlT_E_NS1_11comp_targetILNS1_3genE10ELNS1_11target_archE1200ELNS1_3gpuE4ELNS1_3repE0EEENS1_30default_config_static_selectorELNS0_4arch9wavefront6targetE0EEEvSV_.num_named_barrier, 0
	.set _ZN7rocprim17ROCPRIM_400000_NS6detail17trampoline_kernelINS0_14default_configENS1_27upper_bound_config_selectorIflEEZNS1_14transform_implILb0ES3_S5_N6thrust23THRUST_200600_302600_NS6detail15normal_iteratorINS8_7pointerIfNS8_11hip_rocprim3tagENS8_11use_defaultESE_EEEENSA_INSB_IlSD_SE_SE_EEEEZNS1_13binary_searchIS3_S5_NSA_INS8_10device_ptrIfEEEESG_SI_NS1_21upper_bound_search_opENS9_16wrapped_functionINS8_7greaterIfEEbEEEE10hipError_tPvRmT1_T2_T3_mmT4_T5_P12ihipStream_tbEUlRKfE_EESS_SW_SX_mSY_S11_bEUlT_E_NS1_11comp_targetILNS1_3genE10ELNS1_11target_archE1200ELNS1_3gpuE4ELNS1_3repE0EEENS1_30default_config_static_selectorELNS0_4arch9wavefront6targetE0EEEvSV_.private_seg_size, 0
	.set _ZN7rocprim17ROCPRIM_400000_NS6detail17trampoline_kernelINS0_14default_configENS1_27upper_bound_config_selectorIflEEZNS1_14transform_implILb0ES3_S5_N6thrust23THRUST_200600_302600_NS6detail15normal_iteratorINS8_7pointerIfNS8_11hip_rocprim3tagENS8_11use_defaultESE_EEEENSA_INSB_IlSD_SE_SE_EEEEZNS1_13binary_searchIS3_S5_NSA_INS8_10device_ptrIfEEEESG_SI_NS1_21upper_bound_search_opENS9_16wrapped_functionINS8_7greaterIfEEbEEEE10hipError_tPvRmT1_T2_T3_mmT4_T5_P12ihipStream_tbEUlRKfE_EESS_SW_SX_mSY_S11_bEUlT_E_NS1_11comp_targetILNS1_3genE10ELNS1_11target_archE1200ELNS1_3gpuE4ELNS1_3repE0EEENS1_30default_config_static_selectorELNS0_4arch9wavefront6targetE0EEEvSV_.uses_vcc, 0
	.set _ZN7rocprim17ROCPRIM_400000_NS6detail17trampoline_kernelINS0_14default_configENS1_27upper_bound_config_selectorIflEEZNS1_14transform_implILb0ES3_S5_N6thrust23THRUST_200600_302600_NS6detail15normal_iteratorINS8_7pointerIfNS8_11hip_rocprim3tagENS8_11use_defaultESE_EEEENSA_INSB_IlSD_SE_SE_EEEEZNS1_13binary_searchIS3_S5_NSA_INS8_10device_ptrIfEEEESG_SI_NS1_21upper_bound_search_opENS9_16wrapped_functionINS8_7greaterIfEEbEEEE10hipError_tPvRmT1_T2_T3_mmT4_T5_P12ihipStream_tbEUlRKfE_EESS_SW_SX_mSY_S11_bEUlT_E_NS1_11comp_targetILNS1_3genE10ELNS1_11target_archE1200ELNS1_3gpuE4ELNS1_3repE0EEENS1_30default_config_static_selectorELNS0_4arch9wavefront6targetE0EEEvSV_.uses_flat_scratch, 0
	.set _ZN7rocprim17ROCPRIM_400000_NS6detail17trampoline_kernelINS0_14default_configENS1_27upper_bound_config_selectorIflEEZNS1_14transform_implILb0ES3_S5_N6thrust23THRUST_200600_302600_NS6detail15normal_iteratorINS8_7pointerIfNS8_11hip_rocprim3tagENS8_11use_defaultESE_EEEENSA_INSB_IlSD_SE_SE_EEEEZNS1_13binary_searchIS3_S5_NSA_INS8_10device_ptrIfEEEESG_SI_NS1_21upper_bound_search_opENS9_16wrapped_functionINS8_7greaterIfEEbEEEE10hipError_tPvRmT1_T2_T3_mmT4_T5_P12ihipStream_tbEUlRKfE_EESS_SW_SX_mSY_S11_bEUlT_E_NS1_11comp_targetILNS1_3genE10ELNS1_11target_archE1200ELNS1_3gpuE4ELNS1_3repE0EEENS1_30default_config_static_selectorELNS0_4arch9wavefront6targetE0EEEvSV_.has_dyn_sized_stack, 0
	.set _ZN7rocprim17ROCPRIM_400000_NS6detail17trampoline_kernelINS0_14default_configENS1_27upper_bound_config_selectorIflEEZNS1_14transform_implILb0ES3_S5_N6thrust23THRUST_200600_302600_NS6detail15normal_iteratorINS8_7pointerIfNS8_11hip_rocprim3tagENS8_11use_defaultESE_EEEENSA_INSB_IlSD_SE_SE_EEEEZNS1_13binary_searchIS3_S5_NSA_INS8_10device_ptrIfEEEESG_SI_NS1_21upper_bound_search_opENS9_16wrapped_functionINS8_7greaterIfEEbEEEE10hipError_tPvRmT1_T2_T3_mmT4_T5_P12ihipStream_tbEUlRKfE_EESS_SW_SX_mSY_S11_bEUlT_E_NS1_11comp_targetILNS1_3genE10ELNS1_11target_archE1200ELNS1_3gpuE4ELNS1_3repE0EEENS1_30default_config_static_selectorELNS0_4arch9wavefront6targetE0EEEvSV_.has_recursion, 0
	.set _ZN7rocprim17ROCPRIM_400000_NS6detail17trampoline_kernelINS0_14default_configENS1_27upper_bound_config_selectorIflEEZNS1_14transform_implILb0ES3_S5_N6thrust23THRUST_200600_302600_NS6detail15normal_iteratorINS8_7pointerIfNS8_11hip_rocprim3tagENS8_11use_defaultESE_EEEENSA_INSB_IlSD_SE_SE_EEEEZNS1_13binary_searchIS3_S5_NSA_INS8_10device_ptrIfEEEESG_SI_NS1_21upper_bound_search_opENS9_16wrapped_functionINS8_7greaterIfEEbEEEE10hipError_tPvRmT1_T2_T3_mmT4_T5_P12ihipStream_tbEUlRKfE_EESS_SW_SX_mSY_S11_bEUlT_E_NS1_11comp_targetILNS1_3genE10ELNS1_11target_archE1200ELNS1_3gpuE4ELNS1_3repE0EEENS1_30default_config_static_selectorELNS0_4arch9wavefront6targetE0EEEvSV_.has_indirect_call, 0
	.section	.AMDGPU.csdata,"",@progbits
; Kernel info:
; codeLenInByte = 0
; TotalNumSgprs: 0
; NumVgprs: 0
; ScratchSize: 0
; MemoryBound: 0
; FloatMode: 240
; IeeeMode: 1
; LDSByteSize: 0 bytes/workgroup (compile time only)
; SGPRBlocks: 0
; VGPRBlocks: 0
; NumSGPRsForWavesPerEU: 1
; NumVGPRsForWavesPerEU: 1
; NamedBarCnt: 0
; Occupancy: 16
; WaveLimiterHint : 0
; COMPUTE_PGM_RSRC2:SCRATCH_EN: 0
; COMPUTE_PGM_RSRC2:USER_SGPR: 2
; COMPUTE_PGM_RSRC2:TRAP_HANDLER: 0
; COMPUTE_PGM_RSRC2:TGID_X_EN: 1
; COMPUTE_PGM_RSRC2:TGID_Y_EN: 0
; COMPUTE_PGM_RSRC2:TGID_Z_EN: 0
; COMPUTE_PGM_RSRC2:TIDIG_COMP_CNT: 0
	.section	.text._ZN7rocprim17ROCPRIM_400000_NS6detail17trampoline_kernelINS0_14default_configENS1_27upper_bound_config_selectorIflEEZNS1_14transform_implILb0ES3_S5_N6thrust23THRUST_200600_302600_NS6detail15normal_iteratorINS8_7pointerIfNS8_11hip_rocprim3tagENS8_11use_defaultESE_EEEENSA_INSB_IlSD_SE_SE_EEEEZNS1_13binary_searchIS3_S5_NSA_INS8_10device_ptrIfEEEESG_SI_NS1_21upper_bound_search_opENS9_16wrapped_functionINS8_7greaterIfEEbEEEE10hipError_tPvRmT1_T2_T3_mmT4_T5_P12ihipStream_tbEUlRKfE_EESS_SW_SX_mSY_S11_bEUlT_E_NS1_11comp_targetILNS1_3genE9ELNS1_11target_archE1100ELNS1_3gpuE3ELNS1_3repE0EEENS1_30default_config_static_selectorELNS0_4arch9wavefront6targetE0EEEvSV_,"axG",@progbits,_ZN7rocprim17ROCPRIM_400000_NS6detail17trampoline_kernelINS0_14default_configENS1_27upper_bound_config_selectorIflEEZNS1_14transform_implILb0ES3_S5_N6thrust23THRUST_200600_302600_NS6detail15normal_iteratorINS8_7pointerIfNS8_11hip_rocprim3tagENS8_11use_defaultESE_EEEENSA_INSB_IlSD_SE_SE_EEEEZNS1_13binary_searchIS3_S5_NSA_INS8_10device_ptrIfEEEESG_SI_NS1_21upper_bound_search_opENS9_16wrapped_functionINS8_7greaterIfEEbEEEE10hipError_tPvRmT1_T2_T3_mmT4_T5_P12ihipStream_tbEUlRKfE_EESS_SW_SX_mSY_S11_bEUlT_E_NS1_11comp_targetILNS1_3genE9ELNS1_11target_archE1100ELNS1_3gpuE3ELNS1_3repE0EEENS1_30default_config_static_selectorELNS0_4arch9wavefront6targetE0EEEvSV_,comdat
	.protected	_ZN7rocprim17ROCPRIM_400000_NS6detail17trampoline_kernelINS0_14default_configENS1_27upper_bound_config_selectorIflEEZNS1_14transform_implILb0ES3_S5_N6thrust23THRUST_200600_302600_NS6detail15normal_iteratorINS8_7pointerIfNS8_11hip_rocprim3tagENS8_11use_defaultESE_EEEENSA_INSB_IlSD_SE_SE_EEEEZNS1_13binary_searchIS3_S5_NSA_INS8_10device_ptrIfEEEESG_SI_NS1_21upper_bound_search_opENS9_16wrapped_functionINS8_7greaterIfEEbEEEE10hipError_tPvRmT1_T2_T3_mmT4_T5_P12ihipStream_tbEUlRKfE_EESS_SW_SX_mSY_S11_bEUlT_E_NS1_11comp_targetILNS1_3genE9ELNS1_11target_archE1100ELNS1_3gpuE3ELNS1_3repE0EEENS1_30default_config_static_selectorELNS0_4arch9wavefront6targetE0EEEvSV_ ; -- Begin function _ZN7rocprim17ROCPRIM_400000_NS6detail17trampoline_kernelINS0_14default_configENS1_27upper_bound_config_selectorIflEEZNS1_14transform_implILb0ES3_S5_N6thrust23THRUST_200600_302600_NS6detail15normal_iteratorINS8_7pointerIfNS8_11hip_rocprim3tagENS8_11use_defaultESE_EEEENSA_INSB_IlSD_SE_SE_EEEEZNS1_13binary_searchIS3_S5_NSA_INS8_10device_ptrIfEEEESG_SI_NS1_21upper_bound_search_opENS9_16wrapped_functionINS8_7greaterIfEEbEEEE10hipError_tPvRmT1_T2_T3_mmT4_T5_P12ihipStream_tbEUlRKfE_EESS_SW_SX_mSY_S11_bEUlT_E_NS1_11comp_targetILNS1_3genE9ELNS1_11target_archE1100ELNS1_3gpuE3ELNS1_3repE0EEENS1_30default_config_static_selectorELNS0_4arch9wavefront6targetE0EEEvSV_
	.globl	_ZN7rocprim17ROCPRIM_400000_NS6detail17trampoline_kernelINS0_14default_configENS1_27upper_bound_config_selectorIflEEZNS1_14transform_implILb0ES3_S5_N6thrust23THRUST_200600_302600_NS6detail15normal_iteratorINS8_7pointerIfNS8_11hip_rocprim3tagENS8_11use_defaultESE_EEEENSA_INSB_IlSD_SE_SE_EEEEZNS1_13binary_searchIS3_S5_NSA_INS8_10device_ptrIfEEEESG_SI_NS1_21upper_bound_search_opENS9_16wrapped_functionINS8_7greaterIfEEbEEEE10hipError_tPvRmT1_T2_T3_mmT4_T5_P12ihipStream_tbEUlRKfE_EESS_SW_SX_mSY_S11_bEUlT_E_NS1_11comp_targetILNS1_3genE9ELNS1_11target_archE1100ELNS1_3gpuE3ELNS1_3repE0EEENS1_30default_config_static_selectorELNS0_4arch9wavefront6targetE0EEEvSV_
	.p2align	8
	.type	_ZN7rocprim17ROCPRIM_400000_NS6detail17trampoline_kernelINS0_14default_configENS1_27upper_bound_config_selectorIflEEZNS1_14transform_implILb0ES3_S5_N6thrust23THRUST_200600_302600_NS6detail15normal_iteratorINS8_7pointerIfNS8_11hip_rocprim3tagENS8_11use_defaultESE_EEEENSA_INSB_IlSD_SE_SE_EEEEZNS1_13binary_searchIS3_S5_NSA_INS8_10device_ptrIfEEEESG_SI_NS1_21upper_bound_search_opENS9_16wrapped_functionINS8_7greaterIfEEbEEEE10hipError_tPvRmT1_T2_T3_mmT4_T5_P12ihipStream_tbEUlRKfE_EESS_SW_SX_mSY_S11_bEUlT_E_NS1_11comp_targetILNS1_3genE9ELNS1_11target_archE1100ELNS1_3gpuE3ELNS1_3repE0EEENS1_30default_config_static_selectorELNS0_4arch9wavefront6targetE0EEEvSV_,@function
_ZN7rocprim17ROCPRIM_400000_NS6detail17trampoline_kernelINS0_14default_configENS1_27upper_bound_config_selectorIflEEZNS1_14transform_implILb0ES3_S5_N6thrust23THRUST_200600_302600_NS6detail15normal_iteratorINS8_7pointerIfNS8_11hip_rocprim3tagENS8_11use_defaultESE_EEEENSA_INSB_IlSD_SE_SE_EEEEZNS1_13binary_searchIS3_S5_NSA_INS8_10device_ptrIfEEEESG_SI_NS1_21upper_bound_search_opENS9_16wrapped_functionINS8_7greaterIfEEbEEEE10hipError_tPvRmT1_T2_T3_mmT4_T5_P12ihipStream_tbEUlRKfE_EESS_SW_SX_mSY_S11_bEUlT_E_NS1_11comp_targetILNS1_3genE9ELNS1_11target_archE1100ELNS1_3gpuE3ELNS1_3repE0EEENS1_30default_config_static_selectorELNS0_4arch9wavefront6targetE0EEEvSV_: ; @_ZN7rocprim17ROCPRIM_400000_NS6detail17trampoline_kernelINS0_14default_configENS1_27upper_bound_config_selectorIflEEZNS1_14transform_implILb0ES3_S5_N6thrust23THRUST_200600_302600_NS6detail15normal_iteratorINS8_7pointerIfNS8_11hip_rocprim3tagENS8_11use_defaultESE_EEEENSA_INSB_IlSD_SE_SE_EEEEZNS1_13binary_searchIS3_S5_NSA_INS8_10device_ptrIfEEEESG_SI_NS1_21upper_bound_search_opENS9_16wrapped_functionINS8_7greaterIfEEbEEEE10hipError_tPvRmT1_T2_T3_mmT4_T5_P12ihipStream_tbEUlRKfE_EESS_SW_SX_mSY_S11_bEUlT_E_NS1_11comp_targetILNS1_3genE9ELNS1_11target_archE1100ELNS1_3gpuE3ELNS1_3repE0EEENS1_30default_config_static_selectorELNS0_4arch9wavefront6targetE0EEEvSV_
; %bb.0:
	.section	.rodata,"a",@progbits
	.p2align	6, 0x0
	.amdhsa_kernel _ZN7rocprim17ROCPRIM_400000_NS6detail17trampoline_kernelINS0_14default_configENS1_27upper_bound_config_selectorIflEEZNS1_14transform_implILb0ES3_S5_N6thrust23THRUST_200600_302600_NS6detail15normal_iteratorINS8_7pointerIfNS8_11hip_rocprim3tagENS8_11use_defaultESE_EEEENSA_INSB_IlSD_SE_SE_EEEEZNS1_13binary_searchIS3_S5_NSA_INS8_10device_ptrIfEEEESG_SI_NS1_21upper_bound_search_opENS9_16wrapped_functionINS8_7greaterIfEEbEEEE10hipError_tPvRmT1_T2_T3_mmT4_T5_P12ihipStream_tbEUlRKfE_EESS_SW_SX_mSY_S11_bEUlT_E_NS1_11comp_targetILNS1_3genE9ELNS1_11target_archE1100ELNS1_3gpuE3ELNS1_3repE0EEENS1_30default_config_static_selectorELNS0_4arch9wavefront6targetE0EEEvSV_
		.amdhsa_group_segment_fixed_size 0
		.amdhsa_private_segment_fixed_size 0
		.amdhsa_kernarg_size 56
		.amdhsa_user_sgpr_count 2
		.amdhsa_user_sgpr_dispatch_ptr 0
		.amdhsa_user_sgpr_queue_ptr 0
		.amdhsa_user_sgpr_kernarg_segment_ptr 1
		.amdhsa_user_sgpr_dispatch_id 0
		.amdhsa_user_sgpr_kernarg_preload_length 0
		.amdhsa_user_sgpr_kernarg_preload_offset 0
		.amdhsa_user_sgpr_private_segment_size 0
		.amdhsa_wavefront_size32 1
		.amdhsa_uses_dynamic_stack 0
		.amdhsa_enable_private_segment 0
		.amdhsa_system_sgpr_workgroup_id_x 1
		.amdhsa_system_sgpr_workgroup_id_y 0
		.amdhsa_system_sgpr_workgroup_id_z 0
		.amdhsa_system_sgpr_workgroup_info 0
		.amdhsa_system_vgpr_workitem_id 0
		.amdhsa_next_free_vgpr 1
		.amdhsa_next_free_sgpr 1
		.amdhsa_named_barrier_count 0
		.amdhsa_reserve_vcc 0
		.amdhsa_float_round_mode_32 0
		.amdhsa_float_round_mode_16_64 0
		.amdhsa_float_denorm_mode_32 3
		.amdhsa_float_denorm_mode_16_64 3
		.amdhsa_fp16_overflow 0
		.amdhsa_memory_ordered 1
		.amdhsa_forward_progress 1
		.amdhsa_inst_pref_size 0
		.amdhsa_round_robin_scheduling 0
		.amdhsa_exception_fp_ieee_invalid_op 0
		.amdhsa_exception_fp_denorm_src 0
		.amdhsa_exception_fp_ieee_div_zero 0
		.amdhsa_exception_fp_ieee_overflow 0
		.amdhsa_exception_fp_ieee_underflow 0
		.amdhsa_exception_fp_ieee_inexact 0
		.amdhsa_exception_int_div_zero 0
	.end_amdhsa_kernel
	.section	.text._ZN7rocprim17ROCPRIM_400000_NS6detail17trampoline_kernelINS0_14default_configENS1_27upper_bound_config_selectorIflEEZNS1_14transform_implILb0ES3_S5_N6thrust23THRUST_200600_302600_NS6detail15normal_iteratorINS8_7pointerIfNS8_11hip_rocprim3tagENS8_11use_defaultESE_EEEENSA_INSB_IlSD_SE_SE_EEEEZNS1_13binary_searchIS3_S5_NSA_INS8_10device_ptrIfEEEESG_SI_NS1_21upper_bound_search_opENS9_16wrapped_functionINS8_7greaterIfEEbEEEE10hipError_tPvRmT1_T2_T3_mmT4_T5_P12ihipStream_tbEUlRKfE_EESS_SW_SX_mSY_S11_bEUlT_E_NS1_11comp_targetILNS1_3genE9ELNS1_11target_archE1100ELNS1_3gpuE3ELNS1_3repE0EEENS1_30default_config_static_selectorELNS0_4arch9wavefront6targetE0EEEvSV_,"axG",@progbits,_ZN7rocprim17ROCPRIM_400000_NS6detail17trampoline_kernelINS0_14default_configENS1_27upper_bound_config_selectorIflEEZNS1_14transform_implILb0ES3_S5_N6thrust23THRUST_200600_302600_NS6detail15normal_iteratorINS8_7pointerIfNS8_11hip_rocprim3tagENS8_11use_defaultESE_EEEENSA_INSB_IlSD_SE_SE_EEEEZNS1_13binary_searchIS3_S5_NSA_INS8_10device_ptrIfEEEESG_SI_NS1_21upper_bound_search_opENS9_16wrapped_functionINS8_7greaterIfEEbEEEE10hipError_tPvRmT1_T2_T3_mmT4_T5_P12ihipStream_tbEUlRKfE_EESS_SW_SX_mSY_S11_bEUlT_E_NS1_11comp_targetILNS1_3genE9ELNS1_11target_archE1100ELNS1_3gpuE3ELNS1_3repE0EEENS1_30default_config_static_selectorELNS0_4arch9wavefront6targetE0EEEvSV_,comdat
.Lfunc_end111:
	.size	_ZN7rocprim17ROCPRIM_400000_NS6detail17trampoline_kernelINS0_14default_configENS1_27upper_bound_config_selectorIflEEZNS1_14transform_implILb0ES3_S5_N6thrust23THRUST_200600_302600_NS6detail15normal_iteratorINS8_7pointerIfNS8_11hip_rocprim3tagENS8_11use_defaultESE_EEEENSA_INSB_IlSD_SE_SE_EEEEZNS1_13binary_searchIS3_S5_NSA_INS8_10device_ptrIfEEEESG_SI_NS1_21upper_bound_search_opENS9_16wrapped_functionINS8_7greaterIfEEbEEEE10hipError_tPvRmT1_T2_T3_mmT4_T5_P12ihipStream_tbEUlRKfE_EESS_SW_SX_mSY_S11_bEUlT_E_NS1_11comp_targetILNS1_3genE9ELNS1_11target_archE1100ELNS1_3gpuE3ELNS1_3repE0EEENS1_30default_config_static_selectorELNS0_4arch9wavefront6targetE0EEEvSV_, .Lfunc_end111-_ZN7rocprim17ROCPRIM_400000_NS6detail17trampoline_kernelINS0_14default_configENS1_27upper_bound_config_selectorIflEEZNS1_14transform_implILb0ES3_S5_N6thrust23THRUST_200600_302600_NS6detail15normal_iteratorINS8_7pointerIfNS8_11hip_rocprim3tagENS8_11use_defaultESE_EEEENSA_INSB_IlSD_SE_SE_EEEEZNS1_13binary_searchIS3_S5_NSA_INS8_10device_ptrIfEEEESG_SI_NS1_21upper_bound_search_opENS9_16wrapped_functionINS8_7greaterIfEEbEEEE10hipError_tPvRmT1_T2_T3_mmT4_T5_P12ihipStream_tbEUlRKfE_EESS_SW_SX_mSY_S11_bEUlT_E_NS1_11comp_targetILNS1_3genE9ELNS1_11target_archE1100ELNS1_3gpuE3ELNS1_3repE0EEENS1_30default_config_static_selectorELNS0_4arch9wavefront6targetE0EEEvSV_
                                        ; -- End function
	.set _ZN7rocprim17ROCPRIM_400000_NS6detail17trampoline_kernelINS0_14default_configENS1_27upper_bound_config_selectorIflEEZNS1_14transform_implILb0ES3_S5_N6thrust23THRUST_200600_302600_NS6detail15normal_iteratorINS8_7pointerIfNS8_11hip_rocprim3tagENS8_11use_defaultESE_EEEENSA_INSB_IlSD_SE_SE_EEEEZNS1_13binary_searchIS3_S5_NSA_INS8_10device_ptrIfEEEESG_SI_NS1_21upper_bound_search_opENS9_16wrapped_functionINS8_7greaterIfEEbEEEE10hipError_tPvRmT1_T2_T3_mmT4_T5_P12ihipStream_tbEUlRKfE_EESS_SW_SX_mSY_S11_bEUlT_E_NS1_11comp_targetILNS1_3genE9ELNS1_11target_archE1100ELNS1_3gpuE3ELNS1_3repE0EEENS1_30default_config_static_selectorELNS0_4arch9wavefront6targetE0EEEvSV_.num_vgpr, 0
	.set _ZN7rocprim17ROCPRIM_400000_NS6detail17trampoline_kernelINS0_14default_configENS1_27upper_bound_config_selectorIflEEZNS1_14transform_implILb0ES3_S5_N6thrust23THRUST_200600_302600_NS6detail15normal_iteratorINS8_7pointerIfNS8_11hip_rocprim3tagENS8_11use_defaultESE_EEEENSA_INSB_IlSD_SE_SE_EEEEZNS1_13binary_searchIS3_S5_NSA_INS8_10device_ptrIfEEEESG_SI_NS1_21upper_bound_search_opENS9_16wrapped_functionINS8_7greaterIfEEbEEEE10hipError_tPvRmT1_T2_T3_mmT4_T5_P12ihipStream_tbEUlRKfE_EESS_SW_SX_mSY_S11_bEUlT_E_NS1_11comp_targetILNS1_3genE9ELNS1_11target_archE1100ELNS1_3gpuE3ELNS1_3repE0EEENS1_30default_config_static_selectorELNS0_4arch9wavefront6targetE0EEEvSV_.num_agpr, 0
	.set _ZN7rocprim17ROCPRIM_400000_NS6detail17trampoline_kernelINS0_14default_configENS1_27upper_bound_config_selectorIflEEZNS1_14transform_implILb0ES3_S5_N6thrust23THRUST_200600_302600_NS6detail15normal_iteratorINS8_7pointerIfNS8_11hip_rocprim3tagENS8_11use_defaultESE_EEEENSA_INSB_IlSD_SE_SE_EEEEZNS1_13binary_searchIS3_S5_NSA_INS8_10device_ptrIfEEEESG_SI_NS1_21upper_bound_search_opENS9_16wrapped_functionINS8_7greaterIfEEbEEEE10hipError_tPvRmT1_T2_T3_mmT4_T5_P12ihipStream_tbEUlRKfE_EESS_SW_SX_mSY_S11_bEUlT_E_NS1_11comp_targetILNS1_3genE9ELNS1_11target_archE1100ELNS1_3gpuE3ELNS1_3repE0EEENS1_30default_config_static_selectorELNS0_4arch9wavefront6targetE0EEEvSV_.numbered_sgpr, 0
	.set _ZN7rocprim17ROCPRIM_400000_NS6detail17trampoline_kernelINS0_14default_configENS1_27upper_bound_config_selectorIflEEZNS1_14transform_implILb0ES3_S5_N6thrust23THRUST_200600_302600_NS6detail15normal_iteratorINS8_7pointerIfNS8_11hip_rocprim3tagENS8_11use_defaultESE_EEEENSA_INSB_IlSD_SE_SE_EEEEZNS1_13binary_searchIS3_S5_NSA_INS8_10device_ptrIfEEEESG_SI_NS1_21upper_bound_search_opENS9_16wrapped_functionINS8_7greaterIfEEbEEEE10hipError_tPvRmT1_T2_T3_mmT4_T5_P12ihipStream_tbEUlRKfE_EESS_SW_SX_mSY_S11_bEUlT_E_NS1_11comp_targetILNS1_3genE9ELNS1_11target_archE1100ELNS1_3gpuE3ELNS1_3repE0EEENS1_30default_config_static_selectorELNS0_4arch9wavefront6targetE0EEEvSV_.num_named_barrier, 0
	.set _ZN7rocprim17ROCPRIM_400000_NS6detail17trampoline_kernelINS0_14default_configENS1_27upper_bound_config_selectorIflEEZNS1_14transform_implILb0ES3_S5_N6thrust23THRUST_200600_302600_NS6detail15normal_iteratorINS8_7pointerIfNS8_11hip_rocprim3tagENS8_11use_defaultESE_EEEENSA_INSB_IlSD_SE_SE_EEEEZNS1_13binary_searchIS3_S5_NSA_INS8_10device_ptrIfEEEESG_SI_NS1_21upper_bound_search_opENS9_16wrapped_functionINS8_7greaterIfEEbEEEE10hipError_tPvRmT1_T2_T3_mmT4_T5_P12ihipStream_tbEUlRKfE_EESS_SW_SX_mSY_S11_bEUlT_E_NS1_11comp_targetILNS1_3genE9ELNS1_11target_archE1100ELNS1_3gpuE3ELNS1_3repE0EEENS1_30default_config_static_selectorELNS0_4arch9wavefront6targetE0EEEvSV_.private_seg_size, 0
	.set _ZN7rocprim17ROCPRIM_400000_NS6detail17trampoline_kernelINS0_14default_configENS1_27upper_bound_config_selectorIflEEZNS1_14transform_implILb0ES3_S5_N6thrust23THRUST_200600_302600_NS6detail15normal_iteratorINS8_7pointerIfNS8_11hip_rocprim3tagENS8_11use_defaultESE_EEEENSA_INSB_IlSD_SE_SE_EEEEZNS1_13binary_searchIS3_S5_NSA_INS8_10device_ptrIfEEEESG_SI_NS1_21upper_bound_search_opENS9_16wrapped_functionINS8_7greaterIfEEbEEEE10hipError_tPvRmT1_T2_T3_mmT4_T5_P12ihipStream_tbEUlRKfE_EESS_SW_SX_mSY_S11_bEUlT_E_NS1_11comp_targetILNS1_3genE9ELNS1_11target_archE1100ELNS1_3gpuE3ELNS1_3repE0EEENS1_30default_config_static_selectorELNS0_4arch9wavefront6targetE0EEEvSV_.uses_vcc, 0
	.set _ZN7rocprim17ROCPRIM_400000_NS6detail17trampoline_kernelINS0_14default_configENS1_27upper_bound_config_selectorIflEEZNS1_14transform_implILb0ES3_S5_N6thrust23THRUST_200600_302600_NS6detail15normal_iteratorINS8_7pointerIfNS8_11hip_rocprim3tagENS8_11use_defaultESE_EEEENSA_INSB_IlSD_SE_SE_EEEEZNS1_13binary_searchIS3_S5_NSA_INS8_10device_ptrIfEEEESG_SI_NS1_21upper_bound_search_opENS9_16wrapped_functionINS8_7greaterIfEEbEEEE10hipError_tPvRmT1_T2_T3_mmT4_T5_P12ihipStream_tbEUlRKfE_EESS_SW_SX_mSY_S11_bEUlT_E_NS1_11comp_targetILNS1_3genE9ELNS1_11target_archE1100ELNS1_3gpuE3ELNS1_3repE0EEENS1_30default_config_static_selectorELNS0_4arch9wavefront6targetE0EEEvSV_.uses_flat_scratch, 0
	.set _ZN7rocprim17ROCPRIM_400000_NS6detail17trampoline_kernelINS0_14default_configENS1_27upper_bound_config_selectorIflEEZNS1_14transform_implILb0ES3_S5_N6thrust23THRUST_200600_302600_NS6detail15normal_iteratorINS8_7pointerIfNS8_11hip_rocprim3tagENS8_11use_defaultESE_EEEENSA_INSB_IlSD_SE_SE_EEEEZNS1_13binary_searchIS3_S5_NSA_INS8_10device_ptrIfEEEESG_SI_NS1_21upper_bound_search_opENS9_16wrapped_functionINS8_7greaterIfEEbEEEE10hipError_tPvRmT1_T2_T3_mmT4_T5_P12ihipStream_tbEUlRKfE_EESS_SW_SX_mSY_S11_bEUlT_E_NS1_11comp_targetILNS1_3genE9ELNS1_11target_archE1100ELNS1_3gpuE3ELNS1_3repE0EEENS1_30default_config_static_selectorELNS0_4arch9wavefront6targetE0EEEvSV_.has_dyn_sized_stack, 0
	.set _ZN7rocprim17ROCPRIM_400000_NS6detail17trampoline_kernelINS0_14default_configENS1_27upper_bound_config_selectorIflEEZNS1_14transform_implILb0ES3_S5_N6thrust23THRUST_200600_302600_NS6detail15normal_iteratorINS8_7pointerIfNS8_11hip_rocprim3tagENS8_11use_defaultESE_EEEENSA_INSB_IlSD_SE_SE_EEEEZNS1_13binary_searchIS3_S5_NSA_INS8_10device_ptrIfEEEESG_SI_NS1_21upper_bound_search_opENS9_16wrapped_functionINS8_7greaterIfEEbEEEE10hipError_tPvRmT1_T2_T3_mmT4_T5_P12ihipStream_tbEUlRKfE_EESS_SW_SX_mSY_S11_bEUlT_E_NS1_11comp_targetILNS1_3genE9ELNS1_11target_archE1100ELNS1_3gpuE3ELNS1_3repE0EEENS1_30default_config_static_selectorELNS0_4arch9wavefront6targetE0EEEvSV_.has_recursion, 0
	.set _ZN7rocprim17ROCPRIM_400000_NS6detail17trampoline_kernelINS0_14default_configENS1_27upper_bound_config_selectorIflEEZNS1_14transform_implILb0ES3_S5_N6thrust23THRUST_200600_302600_NS6detail15normal_iteratorINS8_7pointerIfNS8_11hip_rocprim3tagENS8_11use_defaultESE_EEEENSA_INSB_IlSD_SE_SE_EEEEZNS1_13binary_searchIS3_S5_NSA_INS8_10device_ptrIfEEEESG_SI_NS1_21upper_bound_search_opENS9_16wrapped_functionINS8_7greaterIfEEbEEEE10hipError_tPvRmT1_T2_T3_mmT4_T5_P12ihipStream_tbEUlRKfE_EESS_SW_SX_mSY_S11_bEUlT_E_NS1_11comp_targetILNS1_3genE9ELNS1_11target_archE1100ELNS1_3gpuE3ELNS1_3repE0EEENS1_30default_config_static_selectorELNS0_4arch9wavefront6targetE0EEEvSV_.has_indirect_call, 0
	.section	.AMDGPU.csdata,"",@progbits
; Kernel info:
; codeLenInByte = 0
; TotalNumSgprs: 0
; NumVgprs: 0
; ScratchSize: 0
; MemoryBound: 0
; FloatMode: 240
; IeeeMode: 1
; LDSByteSize: 0 bytes/workgroup (compile time only)
; SGPRBlocks: 0
; VGPRBlocks: 0
; NumSGPRsForWavesPerEU: 1
; NumVGPRsForWavesPerEU: 1
; NamedBarCnt: 0
; Occupancy: 16
; WaveLimiterHint : 0
; COMPUTE_PGM_RSRC2:SCRATCH_EN: 0
; COMPUTE_PGM_RSRC2:USER_SGPR: 2
; COMPUTE_PGM_RSRC2:TRAP_HANDLER: 0
; COMPUTE_PGM_RSRC2:TGID_X_EN: 1
; COMPUTE_PGM_RSRC2:TGID_Y_EN: 0
; COMPUTE_PGM_RSRC2:TGID_Z_EN: 0
; COMPUTE_PGM_RSRC2:TIDIG_COMP_CNT: 0
	.section	.text._ZN7rocprim17ROCPRIM_400000_NS6detail17trampoline_kernelINS0_14default_configENS1_27upper_bound_config_selectorIflEEZNS1_14transform_implILb0ES3_S5_N6thrust23THRUST_200600_302600_NS6detail15normal_iteratorINS8_7pointerIfNS8_11hip_rocprim3tagENS8_11use_defaultESE_EEEENSA_INSB_IlSD_SE_SE_EEEEZNS1_13binary_searchIS3_S5_NSA_INS8_10device_ptrIfEEEESG_SI_NS1_21upper_bound_search_opENS9_16wrapped_functionINS8_7greaterIfEEbEEEE10hipError_tPvRmT1_T2_T3_mmT4_T5_P12ihipStream_tbEUlRKfE_EESS_SW_SX_mSY_S11_bEUlT_E_NS1_11comp_targetILNS1_3genE8ELNS1_11target_archE1030ELNS1_3gpuE2ELNS1_3repE0EEENS1_30default_config_static_selectorELNS0_4arch9wavefront6targetE0EEEvSV_,"axG",@progbits,_ZN7rocprim17ROCPRIM_400000_NS6detail17trampoline_kernelINS0_14default_configENS1_27upper_bound_config_selectorIflEEZNS1_14transform_implILb0ES3_S5_N6thrust23THRUST_200600_302600_NS6detail15normal_iteratorINS8_7pointerIfNS8_11hip_rocprim3tagENS8_11use_defaultESE_EEEENSA_INSB_IlSD_SE_SE_EEEEZNS1_13binary_searchIS3_S5_NSA_INS8_10device_ptrIfEEEESG_SI_NS1_21upper_bound_search_opENS9_16wrapped_functionINS8_7greaterIfEEbEEEE10hipError_tPvRmT1_T2_T3_mmT4_T5_P12ihipStream_tbEUlRKfE_EESS_SW_SX_mSY_S11_bEUlT_E_NS1_11comp_targetILNS1_3genE8ELNS1_11target_archE1030ELNS1_3gpuE2ELNS1_3repE0EEENS1_30default_config_static_selectorELNS0_4arch9wavefront6targetE0EEEvSV_,comdat
	.protected	_ZN7rocprim17ROCPRIM_400000_NS6detail17trampoline_kernelINS0_14default_configENS1_27upper_bound_config_selectorIflEEZNS1_14transform_implILb0ES3_S5_N6thrust23THRUST_200600_302600_NS6detail15normal_iteratorINS8_7pointerIfNS8_11hip_rocprim3tagENS8_11use_defaultESE_EEEENSA_INSB_IlSD_SE_SE_EEEEZNS1_13binary_searchIS3_S5_NSA_INS8_10device_ptrIfEEEESG_SI_NS1_21upper_bound_search_opENS9_16wrapped_functionINS8_7greaterIfEEbEEEE10hipError_tPvRmT1_T2_T3_mmT4_T5_P12ihipStream_tbEUlRKfE_EESS_SW_SX_mSY_S11_bEUlT_E_NS1_11comp_targetILNS1_3genE8ELNS1_11target_archE1030ELNS1_3gpuE2ELNS1_3repE0EEENS1_30default_config_static_selectorELNS0_4arch9wavefront6targetE0EEEvSV_ ; -- Begin function _ZN7rocprim17ROCPRIM_400000_NS6detail17trampoline_kernelINS0_14default_configENS1_27upper_bound_config_selectorIflEEZNS1_14transform_implILb0ES3_S5_N6thrust23THRUST_200600_302600_NS6detail15normal_iteratorINS8_7pointerIfNS8_11hip_rocprim3tagENS8_11use_defaultESE_EEEENSA_INSB_IlSD_SE_SE_EEEEZNS1_13binary_searchIS3_S5_NSA_INS8_10device_ptrIfEEEESG_SI_NS1_21upper_bound_search_opENS9_16wrapped_functionINS8_7greaterIfEEbEEEE10hipError_tPvRmT1_T2_T3_mmT4_T5_P12ihipStream_tbEUlRKfE_EESS_SW_SX_mSY_S11_bEUlT_E_NS1_11comp_targetILNS1_3genE8ELNS1_11target_archE1030ELNS1_3gpuE2ELNS1_3repE0EEENS1_30default_config_static_selectorELNS0_4arch9wavefront6targetE0EEEvSV_
	.globl	_ZN7rocprim17ROCPRIM_400000_NS6detail17trampoline_kernelINS0_14default_configENS1_27upper_bound_config_selectorIflEEZNS1_14transform_implILb0ES3_S5_N6thrust23THRUST_200600_302600_NS6detail15normal_iteratorINS8_7pointerIfNS8_11hip_rocprim3tagENS8_11use_defaultESE_EEEENSA_INSB_IlSD_SE_SE_EEEEZNS1_13binary_searchIS3_S5_NSA_INS8_10device_ptrIfEEEESG_SI_NS1_21upper_bound_search_opENS9_16wrapped_functionINS8_7greaterIfEEbEEEE10hipError_tPvRmT1_T2_T3_mmT4_T5_P12ihipStream_tbEUlRKfE_EESS_SW_SX_mSY_S11_bEUlT_E_NS1_11comp_targetILNS1_3genE8ELNS1_11target_archE1030ELNS1_3gpuE2ELNS1_3repE0EEENS1_30default_config_static_selectorELNS0_4arch9wavefront6targetE0EEEvSV_
	.p2align	8
	.type	_ZN7rocprim17ROCPRIM_400000_NS6detail17trampoline_kernelINS0_14default_configENS1_27upper_bound_config_selectorIflEEZNS1_14transform_implILb0ES3_S5_N6thrust23THRUST_200600_302600_NS6detail15normal_iteratorINS8_7pointerIfNS8_11hip_rocprim3tagENS8_11use_defaultESE_EEEENSA_INSB_IlSD_SE_SE_EEEEZNS1_13binary_searchIS3_S5_NSA_INS8_10device_ptrIfEEEESG_SI_NS1_21upper_bound_search_opENS9_16wrapped_functionINS8_7greaterIfEEbEEEE10hipError_tPvRmT1_T2_T3_mmT4_T5_P12ihipStream_tbEUlRKfE_EESS_SW_SX_mSY_S11_bEUlT_E_NS1_11comp_targetILNS1_3genE8ELNS1_11target_archE1030ELNS1_3gpuE2ELNS1_3repE0EEENS1_30default_config_static_selectorELNS0_4arch9wavefront6targetE0EEEvSV_,@function
_ZN7rocprim17ROCPRIM_400000_NS6detail17trampoline_kernelINS0_14default_configENS1_27upper_bound_config_selectorIflEEZNS1_14transform_implILb0ES3_S5_N6thrust23THRUST_200600_302600_NS6detail15normal_iteratorINS8_7pointerIfNS8_11hip_rocprim3tagENS8_11use_defaultESE_EEEENSA_INSB_IlSD_SE_SE_EEEEZNS1_13binary_searchIS3_S5_NSA_INS8_10device_ptrIfEEEESG_SI_NS1_21upper_bound_search_opENS9_16wrapped_functionINS8_7greaterIfEEbEEEE10hipError_tPvRmT1_T2_T3_mmT4_T5_P12ihipStream_tbEUlRKfE_EESS_SW_SX_mSY_S11_bEUlT_E_NS1_11comp_targetILNS1_3genE8ELNS1_11target_archE1030ELNS1_3gpuE2ELNS1_3repE0EEENS1_30default_config_static_selectorELNS0_4arch9wavefront6targetE0EEEvSV_: ; @_ZN7rocprim17ROCPRIM_400000_NS6detail17trampoline_kernelINS0_14default_configENS1_27upper_bound_config_selectorIflEEZNS1_14transform_implILb0ES3_S5_N6thrust23THRUST_200600_302600_NS6detail15normal_iteratorINS8_7pointerIfNS8_11hip_rocprim3tagENS8_11use_defaultESE_EEEENSA_INSB_IlSD_SE_SE_EEEEZNS1_13binary_searchIS3_S5_NSA_INS8_10device_ptrIfEEEESG_SI_NS1_21upper_bound_search_opENS9_16wrapped_functionINS8_7greaterIfEEbEEEE10hipError_tPvRmT1_T2_T3_mmT4_T5_P12ihipStream_tbEUlRKfE_EESS_SW_SX_mSY_S11_bEUlT_E_NS1_11comp_targetILNS1_3genE8ELNS1_11target_archE1030ELNS1_3gpuE2ELNS1_3repE0EEENS1_30default_config_static_selectorELNS0_4arch9wavefront6targetE0EEEvSV_
; %bb.0:
	.section	.rodata,"a",@progbits
	.p2align	6, 0x0
	.amdhsa_kernel _ZN7rocprim17ROCPRIM_400000_NS6detail17trampoline_kernelINS0_14default_configENS1_27upper_bound_config_selectorIflEEZNS1_14transform_implILb0ES3_S5_N6thrust23THRUST_200600_302600_NS6detail15normal_iteratorINS8_7pointerIfNS8_11hip_rocprim3tagENS8_11use_defaultESE_EEEENSA_INSB_IlSD_SE_SE_EEEEZNS1_13binary_searchIS3_S5_NSA_INS8_10device_ptrIfEEEESG_SI_NS1_21upper_bound_search_opENS9_16wrapped_functionINS8_7greaterIfEEbEEEE10hipError_tPvRmT1_T2_T3_mmT4_T5_P12ihipStream_tbEUlRKfE_EESS_SW_SX_mSY_S11_bEUlT_E_NS1_11comp_targetILNS1_3genE8ELNS1_11target_archE1030ELNS1_3gpuE2ELNS1_3repE0EEENS1_30default_config_static_selectorELNS0_4arch9wavefront6targetE0EEEvSV_
		.amdhsa_group_segment_fixed_size 0
		.amdhsa_private_segment_fixed_size 0
		.amdhsa_kernarg_size 56
		.amdhsa_user_sgpr_count 2
		.amdhsa_user_sgpr_dispatch_ptr 0
		.amdhsa_user_sgpr_queue_ptr 0
		.amdhsa_user_sgpr_kernarg_segment_ptr 1
		.amdhsa_user_sgpr_dispatch_id 0
		.amdhsa_user_sgpr_kernarg_preload_length 0
		.amdhsa_user_sgpr_kernarg_preload_offset 0
		.amdhsa_user_sgpr_private_segment_size 0
		.amdhsa_wavefront_size32 1
		.amdhsa_uses_dynamic_stack 0
		.amdhsa_enable_private_segment 0
		.amdhsa_system_sgpr_workgroup_id_x 1
		.amdhsa_system_sgpr_workgroup_id_y 0
		.amdhsa_system_sgpr_workgroup_id_z 0
		.amdhsa_system_sgpr_workgroup_info 0
		.amdhsa_system_vgpr_workitem_id 0
		.amdhsa_next_free_vgpr 1
		.amdhsa_next_free_sgpr 1
		.amdhsa_named_barrier_count 0
		.amdhsa_reserve_vcc 0
		.amdhsa_float_round_mode_32 0
		.amdhsa_float_round_mode_16_64 0
		.amdhsa_float_denorm_mode_32 3
		.amdhsa_float_denorm_mode_16_64 3
		.amdhsa_fp16_overflow 0
		.amdhsa_memory_ordered 1
		.amdhsa_forward_progress 1
		.amdhsa_inst_pref_size 0
		.amdhsa_round_robin_scheduling 0
		.amdhsa_exception_fp_ieee_invalid_op 0
		.amdhsa_exception_fp_denorm_src 0
		.amdhsa_exception_fp_ieee_div_zero 0
		.amdhsa_exception_fp_ieee_overflow 0
		.amdhsa_exception_fp_ieee_underflow 0
		.amdhsa_exception_fp_ieee_inexact 0
		.amdhsa_exception_int_div_zero 0
	.end_amdhsa_kernel
	.section	.text._ZN7rocprim17ROCPRIM_400000_NS6detail17trampoline_kernelINS0_14default_configENS1_27upper_bound_config_selectorIflEEZNS1_14transform_implILb0ES3_S5_N6thrust23THRUST_200600_302600_NS6detail15normal_iteratorINS8_7pointerIfNS8_11hip_rocprim3tagENS8_11use_defaultESE_EEEENSA_INSB_IlSD_SE_SE_EEEEZNS1_13binary_searchIS3_S5_NSA_INS8_10device_ptrIfEEEESG_SI_NS1_21upper_bound_search_opENS9_16wrapped_functionINS8_7greaterIfEEbEEEE10hipError_tPvRmT1_T2_T3_mmT4_T5_P12ihipStream_tbEUlRKfE_EESS_SW_SX_mSY_S11_bEUlT_E_NS1_11comp_targetILNS1_3genE8ELNS1_11target_archE1030ELNS1_3gpuE2ELNS1_3repE0EEENS1_30default_config_static_selectorELNS0_4arch9wavefront6targetE0EEEvSV_,"axG",@progbits,_ZN7rocprim17ROCPRIM_400000_NS6detail17trampoline_kernelINS0_14default_configENS1_27upper_bound_config_selectorIflEEZNS1_14transform_implILb0ES3_S5_N6thrust23THRUST_200600_302600_NS6detail15normal_iteratorINS8_7pointerIfNS8_11hip_rocprim3tagENS8_11use_defaultESE_EEEENSA_INSB_IlSD_SE_SE_EEEEZNS1_13binary_searchIS3_S5_NSA_INS8_10device_ptrIfEEEESG_SI_NS1_21upper_bound_search_opENS9_16wrapped_functionINS8_7greaterIfEEbEEEE10hipError_tPvRmT1_T2_T3_mmT4_T5_P12ihipStream_tbEUlRKfE_EESS_SW_SX_mSY_S11_bEUlT_E_NS1_11comp_targetILNS1_3genE8ELNS1_11target_archE1030ELNS1_3gpuE2ELNS1_3repE0EEENS1_30default_config_static_selectorELNS0_4arch9wavefront6targetE0EEEvSV_,comdat
.Lfunc_end112:
	.size	_ZN7rocprim17ROCPRIM_400000_NS6detail17trampoline_kernelINS0_14default_configENS1_27upper_bound_config_selectorIflEEZNS1_14transform_implILb0ES3_S5_N6thrust23THRUST_200600_302600_NS6detail15normal_iteratorINS8_7pointerIfNS8_11hip_rocprim3tagENS8_11use_defaultESE_EEEENSA_INSB_IlSD_SE_SE_EEEEZNS1_13binary_searchIS3_S5_NSA_INS8_10device_ptrIfEEEESG_SI_NS1_21upper_bound_search_opENS9_16wrapped_functionINS8_7greaterIfEEbEEEE10hipError_tPvRmT1_T2_T3_mmT4_T5_P12ihipStream_tbEUlRKfE_EESS_SW_SX_mSY_S11_bEUlT_E_NS1_11comp_targetILNS1_3genE8ELNS1_11target_archE1030ELNS1_3gpuE2ELNS1_3repE0EEENS1_30default_config_static_selectorELNS0_4arch9wavefront6targetE0EEEvSV_, .Lfunc_end112-_ZN7rocprim17ROCPRIM_400000_NS6detail17trampoline_kernelINS0_14default_configENS1_27upper_bound_config_selectorIflEEZNS1_14transform_implILb0ES3_S5_N6thrust23THRUST_200600_302600_NS6detail15normal_iteratorINS8_7pointerIfNS8_11hip_rocprim3tagENS8_11use_defaultESE_EEEENSA_INSB_IlSD_SE_SE_EEEEZNS1_13binary_searchIS3_S5_NSA_INS8_10device_ptrIfEEEESG_SI_NS1_21upper_bound_search_opENS9_16wrapped_functionINS8_7greaterIfEEbEEEE10hipError_tPvRmT1_T2_T3_mmT4_T5_P12ihipStream_tbEUlRKfE_EESS_SW_SX_mSY_S11_bEUlT_E_NS1_11comp_targetILNS1_3genE8ELNS1_11target_archE1030ELNS1_3gpuE2ELNS1_3repE0EEENS1_30default_config_static_selectorELNS0_4arch9wavefront6targetE0EEEvSV_
                                        ; -- End function
	.set _ZN7rocprim17ROCPRIM_400000_NS6detail17trampoline_kernelINS0_14default_configENS1_27upper_bound_config_selectorIflEEZNS1_14transform_implILb0ES3_S5_N6thrust23THRUST_200600_302600_NS6detail15normal_iteratorINS8_7pointerIfNS8_11hip_rocprim3tagENS8_11use_defaultESE_EEEENSA_INSB_IlSD_SE_SE_EEEEZNS1_13binary_searchIS3_S5_NSA_INS8_10device_ptrIfEEEESG_SI_NS1_21upper_bound_search_opENS9_16wrapped_functionINS8_7greaterIfEEbEEEE10hipError_tPvRmT1_T2_T3_mmT4_T5_P12ihipStream_tbEUlRKfE_EESS_SW_SX_mSY_S11_bEUlT_E_NS1_11comp_targetILNS1_3genE8ELNS1_11target_archE1030ELNS1_3gpuE2ELNS1_3repE0EEENS1_30default_config_static_selectorELNS0_4arch9wavefront6targetE0EEEvSV_.num_vgpr, 0
	.set _ZN7rocprim17ROCPRIM_400000_NS6detail17trampoline_kernelINS0_14default_configENS1_27upper_bound_config_selectorIflEEZNS1_14transform_implILb0ES3_S5_N6thrust23THRUST_200600_302600_NS6detail15normal_iteratorINS8_7pointerIfNS8_11hip_rocprim3tagENS8_11use_defaultESE_EEEENSA_INSB_IlSD_SE_SE_EEEEZNS1_13binary_searchIS3_S5_NSA_INS8_10device_ptrIfEEEESG_SI_NS1_21upper_bound_search_opENS9_16wrapped_functionINS8_7greaterIfEEbEEEE10hipError_tPvRmT1_T2_T3_mmT4_T5_P12ihipStream_tbEUlRKfE_EESS_SW_SX_mSY_S11_bEUlT_E_NS1_11comp_targetILNS1_3genE8ELNS1_11target_archE1030ELNS1_3gpuE2ELNS1_3repE0EEENS1_30default_config_static_selectorELNS0_4arch9wavefront6targetE0EEEvSV_.num_agpr, 0
	.set _ZN7rocprim17ROCPRIM_400000_NS6detail17trampoline_kernelINS0_14default_configENS1_27upper_bound_config_selectorIflEEZNS1_14transform_implILb0ES3_S5_N6thrust23THRUST_200600_302600_NS6detail15normal_iteratorINS8_7pointerIfNS8_11hip_rocprim3tagENS8_11use_defaultESE_EEEENSA_INSB_IlSD_SE_SE_EEEEZNS1_13binary_searchIS3_S5_NSA_INS8_10device_ptrIfEEEESG_SI_NS1_21upper_bound_search_opENS9_16wrapped_functionINS8_7greaterIfEEbEEEE10hipError_tPvRmT1_T2_T3_mmT4_T5_P12ihipStream_tbEUlRKfE_EESS_SW_SX_mSY_S11_bEUlT_E_NS1_11comp_targetILNS1_3genE8ELNS1_11target_archE1030ELNS1_3gpuE2ELNS1_3repE0EEENS1_30default_config_static_selectorELNS0_4arch9wavefront6targetE0EEEvSV_.numbered_sgpr, 0
	.set _ZN7rocprim17ROCPRIM_400000_NS6detail17trampoline_kernelINS0_14default_configENS1_27upper_bound_config_selectorIflEEZNS1_14transform_implILb0ES3_S5_N6thrust23THRUST_200600_302600_NS6detail15normal_iteratorINS8_7pointerIfNS8_11hip_rocprim3tagENS8_11use_defaultESE_EEEENSA_INSB_IlSD_SE_SE_EEEEZNS1_13binary_searchIS3_S5_NSA_INS8_10device_ptrIfEEEESG_SI_NS1_21upper_bound_search_opENS9_16wrapped_functionINS8_7greaterIfEEbEEEE10hipError_tPvRmT1_T2_T3_mmT4_T5_P12ihipStream_tbEUlRKfE_EESS_SW_SX_mSY_S11_bEUlT_E_NS1_11comp_targetILNS1_3genE8ELNS1_11target_archE1030ELNS1_3gpuE2ELNS1_3repE0EEENS1_30default_config_static_selectorELNS0_4arch9wavefront6targetE0EEEvSV_.num_named_barrier, 0
	.set _ZN7rocprim17ROCPRIM_400000_NS6detail17trampoline_kernelINS0_14default_configENS1_27upper_bound_config_selectorIflEEZNS1_14transform_implILb0ES3_S5_N6thrust23THRUST_200600_302600_NS6detail15normal_iteratorINS8_7pointerIfNS8_11hip_rocprim3tagENS8_11use_defaultESE_EEEENSA_INSB_IlSD_SE_SE_EEEEZNS1_13binary_searchIS3_S5_NSA_INS8_10device_ptrIfEEEESG_SI_NS1_21upper_bound_search_opENS9_16wrapped_functionINS8_7greaterIfEEbEEEE10hipError_tPvRmT1_T2_T3_mmT4_T5_P12ihipStream_tbEUlRKfE_EESS_SW_SX_mSY_S11_bEUlT_E_NS1_11comp_targetILNS1_3genE8ELNS1_11target_archE1030ELNS1_3gpuE2ELNS1_3repE0EEENS1_30default_config_static_selectorELNS0_4arch9wavefront6targetE0EEEvSV_.private_seg_size, 0
	.set _ZN7rocprim17ROCPRIM_400000_NS6detail17trampoline_kernelINS0_14default_configENS1_27upper_bound_config_selectorIflEEZNS1_14transform_implILb0ES3_S5_N6thrust23THRUST_200600_302600_NS6detail15normal_iteratorINS8_7pointerIfNS8_11hip_rocprim3tagENS8_11use_defaultESE_EEEENSA_INSB_IlSD_SE_SE_EEEEZNS1_13binary_searchIS3_S5_NSA_INS8_10device_ptrIfEEEESG_SI_NS1_21upper_bound_search_opENS9_16wrapped_functionINS8_7greaterIfEEbEEEE10hipError_tPvRmT1_T2_T3_mmT4_T5_P12ihipStream_tbEUlRKfE_EESS_SW_SX_mSY_S11_bEUlT_E_NS1_11comp_targetILNS1_3genE8ELNS1_11target_archE1030ELNS1_3gpuE2ELNS1_3repE0EEENS1_30default_config_static_selectorELNS0_4arch9wavefront6targetE0EEEvSV_.uses_vcc, 0
	.set _ZN7rocprim17ROCPRIM_400000_NS6detail17trampoline_kernelINS0_14default_configENS1_27upper_bound_config_selectorIflEEZNS1_14transform_implILb0ES3_S5_N6thrust23THRUST_200600_302600_NS6detail15normal_iteratorINS8_7pointerIfNS8_11hip_rocprim3tagENS8_11use_defaultESE_EEEENSA_INSB_IlSD_SE_SE_EEEEZNS1_13binary_searchIS3_S5_NSA_INS8_10device_ptrIfEEEESG_SI_NS1_21upper_bound_search_opENS9_16wrapped_functionINS8_7greaterIfEEbEEEE10hipError_tPvRmT1_T2_T3_mmT4_T5_P12ihipStream_tbEUlRKfE_EESS_SW_SX_mSY_S11_bEUlT_E_NS1_11comp_targetILNS1_3genE8ELNS1_11target_archE1030ELNS1_3gpuE2ELNS1_3repE0EEENS1_30default_config_static_selectorELNS0_4arch9wavefront6targetE0EEEvSV_.uses_flat_scratch, 0
	.set _ZN7rocprim17ROCPRIM_400000_NS6detail17trampoline_kernelINS0_14default_configENS1_27upper_bound_config_selectorIflEEZNS1_14transform_implILb0ES3_S5_N6thrust23THRUST_200600_302600_NS6detail15normal_iteratorINS8_7pointerIfNS8_11hip_rocprim3tagENS8_11use_defaultESE_EEEENSA_INSB_IlSD_SE_SE_EEEEZNS1_13binary_searchIS3_S5_NSA_INS8_10device_ptrIfEEEESG_SI_NS1_21upper_bound_search_opENS9_16wrapped_functionINS8_7greaterIfEEbEEEE10hipError_tPvRmT1_T2_T3_mmT4_T5_P12ihipStream_tbEUlRKfE_EESS_SW_SX_mSY_S11_bEUlT_E_NS1_11comp_targetILNS1_3genE8ELNS1_11target_archE1030ELNS1_3gpuE2ELNS1_3repE0EEENS1_30default_config_static_selectorELNS0_4arch9wavefront6targetE0EEEvSV_.has_dyn_sized_stack, 0
	.set _ZN7rocprim17ROCPRIM_400000_NS6detail17trampoline_kernelINS0_14default_configENS1_27upper_bound_config_selectorIflEEZNS1_14transform_implILb0ES3_S5_N6thrust23THRUST_200600_302600_NS6detail15normal_iteratorINS8_7pointerIfNS8_11hip_rocprim3tagENS8_11use_defaultESE_EEEENSA_INSB_IlSD_SE_SE_EEEEZNS1_13binary_searchIS3_S5_NSA_INS8_10device_ptrIfEEEESG_SI_NS1_21upper_bound_search_opENS9_16wrapped_functionINS8_7greaterIfEEbEEEE10hipError_tPvRmT1_T2_T3_mmT4_T5_P12ihipStream_tbEUlRKfE_EESS_SW_SX_mSY_S11_bEUlT_E_NS1_11comp_targetILNS1_3genE8ELNS1_11target_archE1030ELNS1_3gpuE2ELNS1_3repE0EEENS1_30default_config_static_selectorELNS0_4arch9wavefront6targetE0EEEvSV_.has_recursion, 0
	.set _ZN7rocprim17ROCPRIM_400000_NS6detail17trampoline_kernelINS0_14default_configENS1_27upper_bound_config_selectorIflEEZNS1_14transform_implILb0ES3_S5_N6thrust23THRUST_200600_302600_NS6detail15normal_iteratorINS8_7pointerIfNS8_11hip_rocprim3tagENS8_11use_defaultESE_EEEENSA_INSB_IlSD_SE_SE_EEEEZNS1_13binary_searchIS3_S5_NSA_INS8_10device_ptrIfEEEESG_SI_NS1_21upper_bound_search_opENS9_16wrapped_functionINS8_7greaterIfEEbEEEE10hipError_tPvRmT1_T2_T3_mmT4_T5_P12ihipStream_tbEUlRKfE_EESS_SW_SX_mSY_S11_bEUlT_E_NS1_11comp_targetILNS1_3genE8ELNS1_11target_archE1030ELNS1_3gpuE2ELNS1_3repE0EEENS1_30default_config_static_selectorELNS0_4arch9wavefront6targetE0EEEvSV_.has_indirect_call, 0
	.section	.AMDGPU.csdata,"",@progbits
; Kernel info:
; codeLenInByte = 0
; TotalNumSgprs: 0
; NumVgprs: 0
; ScratchSize: 0
; MemoryBound: 0
; FloatMode: 240
; IeeeMode: 1
; LDSByteSize: 0 bytes/workgroup (compile time only)
; SGPRBlocks: 0
; VGPRBlocks: 0
; NumSGPRsForWavesPerEU: 1
; NumVGPRsForWavesPerEU: 1
; NamedBarCnt: 0
; Occupancy: 16
; WaveLimiterHint : 0
; COMPUTE_PGM_RSRC2:SCRATCH_EN: 0
; COMPUTE_PGM_RSRC2:USER_SGPR: 2
; COMPUTE_PGM_RSRC2:TRAP_HANDLER: 0
; COMPUTE_PGM_RSRC2:TGID_X_EN: 1
; COMPUTE_PGM_RSRC2:TGID_Y_EN: 0
; COMPUTE_PGM_RSRC2:TGID_Z_EN: 0
; COMPUTE_PGM_RSRC2:TIDIG_COMP_CNT: 0
	.section	.text._ZN7rocprim17ROCPRIM_400000_NS6detail17trampoline_kernelINS0_14default_configENS1_27upper_bound_config_selectorI14custom_numericlEEZNS1_14transform_implILb0ES3_S6_N6thrust23THRUST_200600_302600_NS6detail15normal_iteratorINS9_7pointerIS5_NS9_11hip_rocprim3tagENS9_11use_defaultESF_EEEENSB_INSC_IlSE_SF_SF_EEEEZNS1_13binary_searchIS3_S6_NSB_INS9_10device_ptrIS5_EEEESH_SJ_NS1_21upper_bound_search_opENSA_16wrapped_functionINS9_7greaterIS5_EEbEEEE10hipError_tPvRmT1_T2_T3_mmT4_T5_P12ihipStream_tbEUlRKS5_E_EEST_SX_SY_mSZ_S12_bEUlT_E_NS1_11comp_targetILNS1_3genE0ELNS1_11target_archE4294967295ELNS1_3gpuE0ELNS1_3repE0EEENS1_30default_config_static_selectorELNS0_4arch9wavefront6targetE0EEEvSW_,"axG",@progbits,_ZN7rocprim17ROCPRIM_400000_NS6detail17trampoline_kernelINS0_14default_configENS1_27upper_bound_config_selectorI14custom_numericlEEZNS1_14transform_implILb0ES3_S6_N6thrust23THRUST_200600_302600_NS6detail15normal_iteratorINS9_7pointerIS5_NS9_11hip_rocprim3tagENS9_11use_defaultESF_EEEENSB_INSC_IlSE_SF_SF_EEEEZNS1_13binary_searchIS3_S6_NSB_INS9_10device_ptrIS5_EEEESH_SJ_NS1_21upper_bound_search_opENSA_16wrapped_functionINS9_7greaterIS5_EEbEEEE10hipError_tPvRmT1_T2_T3_mmT4_T5_P12ihipStream_tbEUlRKS5_E_EEST_SX_SY_mSZ_S12_bEUlT_E_NS1_11comp_targetILNS1_3genE0ELNS1_11target_archE4294967295ELNS1_3gpuE0ELNS1_3repE0EEENS1_30default_config_static_selectorELNS0_4arch9wavefront6targetE0EEEvSW_,comdat
	.protected	_ZN7rocprim17ROCPRIM_400000_NS6detail17trampoline_kernelINS0_14default_configENS1_27upper_bound_config_selectorI14custom_numericlEEZNS1_14transform_implILb0ES3_S6_N6thrust23THRUST_200600_302600_NS6detail15normal_iteratorINS9_7pointerIS5_NS9_11hip_rocprim3tagENS9_11use_defaultESF_EEEENSB_INSC_IlSE_SF_SF_EEEEZNS1_13binary_searchIS3_S6_NSB_INS9_10device_ptrIS5_EEEESH_SJ_NS1_21upper_bound_search_opENSA_16wrapped_functionINS9_7greaterIS5_EEbEEEE10hipError_tPvRmT1_T2_T3_mmT4_T5_P12ihipStream_tbEUlRKS5_E_EEST_SX_SY_mSZ_S12_bEUlT_E_NS1_11comp_targetILNS1_3genE0ELNS1_11target_archE4294967295ELNS1_3gpuE0ELNS1_3repE0EEENS1_30default_config_static_selectorELNS0_4arch9wavefront6targetE0EEEvSW_ ; -- Begin function _ZN7rocprim17ROCPRIM_400000_NS6detail17trampoline_kernelINS0_14default_configENS1_27upper_bound_config_selectorI14custom_numericlEEZNS1_14transform_implILb0ES3_S6_N6thrust23THRUST_200600_302600_NS6detail15normal_iteratorINS9_7pointerIS5_NS9_11hip_rocprim3tagENS9_11use_defaultESF_EEEENSB_INSC_IlSE_SF_SF_EEEEZNS1_13binary_searchIS3_S6_NSB_INS9_10device_ptrIS5_EEEESH_SJ_NS1_21upper_bound_search_opENSA_16wrapped_functionINS9_7greaterIS5_EEbEEEE10hipError_tPvRmT1_T2_T3_mmT4_T5_P12ihipStream_tbEUlRKS5_E_EEST_SX_SY_mSZ_S12_bEUlT_E_NS1_11comp_targetILNS1_3genE0ELNS1_11target_archE4294967295ELNS1_3gpuE0ELNS1_3repE0EEENS1_30default_config_static_selectorELNS0_4arch9wavefront6targetE0EEEvSW_
	.globl	_ZN7rocprim17ROCPRIM_400000_NS6detail17trampoline_kernelINS0_14default_configENS1_27upper_bound_config_selectorI14custom_numericlEEZNS1_14transform_implILb0ES3_S6_N6thrust23THRUST_200600_302600_NS6detail15normal_iteratorINS9_7pointerIS5_NS9_11hip_rocprim3tagENS9_11use_defaultESF_EEEENSB_INSC_IlSE_SF_SF_EEEEZNS1_13binary_searchIS3_S6_NSB_INS9_10device_ptrIS5_EEEESH_SJ_NS1_21upper_bound_search_opENSA_16wrapped_functionINS9_7greaterIS5_EEbEEEE10hipError_tPvRmT1_T2_T3_mmT4_T5_P12ihipStream_tbEUlRKS5_E_EEST_SX_SY_mSZ_S12_bEUlT_E_NS1_11comp_targetILNS1_3genE0ELNS1_11target_archE4294967295ELNS1_3gpuE0ELNS1_3repE0EEENS1_30default_config_static_selectorELNS0_4arch9wavefront6targetE0EEEvSW_
	.p2align	8
	.type	_ZN7rocprim17ROCPRIM_400000_NS6detail17trampoline_kernelINS0_14default_configENS1_27upper_bound_config_selectorI14custom_numericlEEZNS1_14transform_implILb0ES3_S6_N6thrust23THRUST_200600_302600_NS6detail15normal_iteratorINS9_7pointerIS5_NS9_11hip_rocprim3tagENS9_11use_defaultESF_EEEENSB_INSC_IlSE_SF_SF_EEEEZNS1_13binary_searchIS3_S6_NSB_INS9_10device_ptrIS5_EEEESH_SJ_NS1_21upper_bound_search_opENSA_16wrapped_functionINS9_7greaterIS5_EEbEEEE10hipError_tPvRmT1_T2_T3_mmT4_T5_P12ihipStream_tbEUlRKS5_E_EEST_SX_SY_mSZ_S12_bEUlT_E_NS1_11comp_targetILNS1_3genE0ELNS1_11target_archE4294967295ELNS1_3gpuE0ELNS1_3repE0EEENS1_30default_config_static_selectorELNS0_4arch9wavefront6targetE0EEEvSW_,@function
_ZN7rocprim17ROCPRIM_400000_NS6detail17trampoline_kernelINS0_14default_configENS1_27upper_bound_config_selectorI14custom_numericlEEZNS1_14transform_implILb0ES3_S6_N6thrust23THRUST_200600_302600_NS6detail15normal_iteratorINS9_7pointerIS5_NS9_11hip_rocprim3tagENS9_11use_defaultESF_EEEENSB_INSC_IlSE_SF_SF_EEEEZNS1_13binary_searchIS3_S6_NSB_INS9_10device_ptrIS5_EEEESH_SJ_NS1_21upper_bound_search_opENSA_16wrapped_functionINS9_7greaterIS5_EEbEEEE10hipError_tPvRmT1_T2_T3_mmT4_T5_P12ihipStream_tbEUlRKS5_E_EEST_SX_SY_mSZ_S12_bEUlT_E_NS1_11comp_targetILNS1_3genE0ELNS1_11target_archE4294967295ELNS1_3gpuE0ELNS1_3repE0EEENS1_30default_config_static_selectorELNS0_4arch9wavefront6targetE0EEEvSW_: ; @_ZN7rocprim17ROCPRIM_400000_NS6detail17trampoline_kernelINS0_14default_configENS1_27upper_bound_config_selectorI14custom_numericlEEZNS1_14transform_implILb0ES3_S6_N6thrust23THRUST_200600_302600_NS6detail15normal_iteratorINS9_7pointerIS5_NS9_11hip_rocprim3tagENS9_11use_defaultESF_EEEENSB_INSC_IlSE_SF_SF_EEEEZNS1_13binary_searchIS3_S6_NSB_INS9_10device_ptrIS5_EEEESH_SJ_NS1_21upper_bound_search_opENSA_16wrapped_functionINS9_7greaterIS5_EEbEEEE10hipError_tPvRmT1_T2_T3_mmT4_T5_P12ihipStream_tbEUlRKS5_E_EEST_SX_SY_mSZ_S12_bEUlT_E_NS1_11comp_targetILNS1_3genE0ELNS1_11target_archE4294967295ELNS1_3gpuE0ELNS1_3repE0EEENS1_30default_config_static_selectorELNS0_4arch9wavefront6targetE0EEEvSW_
; %bb.0:
	s_clause 0x3
	s_load_b128 s[12:15], s[0:1], 0x0
	s_load_b128 s[4:7], s[0:1], 0x18
	s_load_b32 s16, s[0:1], 0x38
	s_load_b64 s[8:9], s[0:1], 0x28
	s_bfe_u32 s2, ttmp6, 0x4000c
	s_and_b32 s3, ttmp6, 15
	s_add_co_i32 s2, s2, 1
	s_getreg_b32 s10, hwreg(HW_REG_IB_STS2, 6, 4)
	s_mul_i32 s2, ttmp9, s2
	s_delay_alu instid0(SALU_CYCLE_1)
	s_add_co_i32 s17, s3, s2
	s_wait_kmcnt 0x0
	s_mul_u64 s[2:3], s[14:15], 20
	s_lshl_b64 s[14:15], s[14:15], 3
	s_cmp_eq_u32 s10, 0
	s_add_nc_u64 s[10:11], s[12:13], s[2:3]
	s_cselect_b32 s12, ttmp9, s17
	s_add_co_i32 s16, s16, -1
	s_add_nc_u64 s[2:3], s[4:5], s[14:15]
	s_lshl_b32 s4, s12, 8
	s_mov_b32 s5, 0
	s_cmp_lg_u32 s12, s16
	s_mov_b32 s12, -1
	s_cbranch_scc0 .LBB113_7
; %bb.1:
	s_cmp_eq_u64 s[8:9], 0
	s_cbranch_scc1 .LBB113_5
; %bb.2:
	s_mul_u64 s[12:13], s[4:5], 20
	v_mov_b64_e32 v[4:5], s[8:9]
	s_add_nc_u64 s[12:13], s[10:11], s[12:13]
	s_delay_alu instid0(SALU_CYCLE_1)
	v_mad_nc_u64_u32 v[2:3], v0, 20, s[12:13]
	s_mov_b32 s12, 0
	flat_load_b32 v1, v[2:3]
	s_wait_xcnt 0x0
	v_mov_b64_e32 v[2:3], 0
.LBB113_3:                              ; =>This Inner Loop Header: Depth=1
	s_delay_alu instid0(VALU_DEP_1) | instskip(NEXT) | instid1(VALU_DEP_1)
	v_sub_nc_u64_e32 v[6:7], v[4:5], v[2:3]
	v_lshrrev_b64 v[8:9], 1, v[6:7]
	v_lshrrev_b64 v[6:7], 6, v[6:7]
	s_delay_alu instid0(VALU_DEP_2) | instskip(NEXT) | instid1(VALU_DEP_1)
	v_add_nc_u64_e32 v[8:9], v[8:9], v[2:3]
	v_add_nc_u64_e32 v[6:7], v[8:9], v[6:7]
	s_delay_alu instid0(VALU_DEP_1) | instskip(NEXT) | instid1(VALU_DEP_1)
	v_mad_nc_u64_u32 v[8:9], v6, 20, s[6:7]
	v_mad_u32 v9, v7, 20, v9
	global_load_b32 v10, v[8:9], off
	s_wait_xcnt 0x0
	v_add_nc_u64_e32 v[8:9], 1, v[6:7]
	s_wait_loadcnt_dscnt 0x0
	v_cmp_gt_i32_e32 vcc_lo, v1, v10
	v_dual_cndmask_b32 v5, v5, v7 :: v_dual_cndmask_b32 v4, v4, v6
	s_delay_alu instid0(VALU_DEP_3) | instskip(NEXT) | instid1(VALU_DEP_1)
	v_dual_cndmask_b32 v3, v9, v3 :: v_dual_cndmask_b32 v2, v8, v2
	v_cmp_ge_u64_e32 vcc_lo, v[2:3], v[4:5]
	s_or_b32 s12, vcc_lo, s12
	s_delay_alu instid0(SALU_CYCLE_1)
	s_and_not1_b32 exec_lo, exec_lo, s12
	s_cbranch_execnz .LBB113_3
; %bb.4:
	s_or_b32 exec_lo, exec_lo, s12
	s_branch .LBB113_6
.LBB113_5:
	v_mov_b64_e32 v[2:3], 0
.LBB113_6:
	s_lshl_b64 s[12:13], s[4:5], 3
	s_delay_alu instid0(SALU_CYCLE_1)
	s_add_nc_u64 s[14:15], s[2:3], s[12:13]
	s_mov_b32 s12, 0
	flat_store_b64 v0, v[2:3], s[14:15] scale_offset
.LBB113_7:
	s_and_b32 vcc_lo, exec_lo, s12
	s_cbranch_vccz .LBB113_16
; %bb.8:
	s_load_b32 s0, s[0:1], 0x10
	v_mov_b32_e32 v1, 0
	s_wait_kmcnt 0x0
	s_sub_co_i32 s1, s0, s4
	s_delay_alu instid0(SALU_CYCLE_1)
	v_cmp_le_u32_e64 s0, s1, v0
	v_cmp_gt_u32_e32 vcc_lo, s1, v0
	s_and_saveexec_b32 s1, vcc_lo
	s_cbranch_execz .LBB113_10
; %bb.9:
	s_mul_u64 s[12:13], s[4:5], 20
	s_delay_alu instid0(SALU_CYCLE_1) | instskip(NEXT) | instid1(SALU_CYCLE_1)
	s_add_nc_u64 s[10:11], s[10:11], s[12:13]
	v_mad_nc_u64_u32 v[2:3], v0, 20, s[10:11]
	flat_load_b32 v1, v[2:3]
.LBB113_10:
	s_wait_xcnt 0x0
	s_or_b32 exec_lo, exec_lo, s1
	v_mov_b64_e32 v[2:3], 0
	s_cmp_lg_u64 s[8:9], 0
	s_cselect_b32 s1, -1, 0
	s_xor_b32 s0, s0, -1
	s_delay_alu instid0(SALU_CYCLE_1) | instskip(NEXT) | instid1(SALU_CYCLE_1)
	s_and_b32 s0, s0, s1
	s_and_saveexec_b32 s1, s0
	s_cbranch_execz .LBB113_14
; %bb.11:
	v_mov_b64_e32 v[2:3], 0
	v_mov_b64_e32 v[4:5], s[8:9]
	s_mov_b32 s8, 0
.LBB113_12:                             ; =>This Inner Loop Header: Depth=1
	s_delay_alu instid0(VALU_DEP_1) | instskip(NEXT) | instid1(VALU_DEP_1)
	v_sub_nc_u64_e32 v[6:7], v[4:5], v[2:3]
	v_lshrrev_b64 v[8:9], 1, v[6:7]
	v_lshrrev_b64 v[6:7], 6, v[6:7]
	s_delay_alu instid0(VALU_DEP_2) | instskip(NEXT) | instid1(VALU_DEP_1)
	v_add_nc_u64_e32 v[8:9], v[8:9], v[2:3]
	v_add_nc_u64_e32 v[6:7], v[8:9], v[6:7]
	s_delay_alu instid0(VALU_DEP_1) | instskip(NEXT) | instid1(VALU_DEP_1)
	v_mad_nc_u64_u32 v[8:9], v6, 20, s[6:7]
	v_mad_u32 v9, v7, 20, v9
	global_load_b32 v10, v[8:9], off
	s_wait_xcnt 0x0
	v_add_nc_u64_e32 v[8:9], 1, v[6:7]
	s_wait_loadcnt_dscnt 0x0
	v_cmp_gt_i32_e64 s0, v1, v10
	s_delay_alu instid0(VALU_DEP_1) | instskip(NEXT) | instid1(VALU_DEP_3)
	v_dual_cndmask_b32 v5, v5, v7, s0 :: v_dual_cndmask_b32 v4, v4, v6, s0
	v_dual_cndmask_b32 v3, v9, v3, s0 :: v_dual_cndmask_b32 v2, v8, v2, s0
	s_delay_alu instid0(VALU_DEP_1) | instskip(SKIP_1) | instid1(SALU_CYCLE_1)
	v_cmp_ge_u64_e64 s0, v[2:3], v[4:5]
	s_or_b32 s8, s0, s8
	s_and_not1_b32 exec_lo, exec_lo, s8
	s_cbranch_execnz .LBB113_12
; %bb.13:
	s_or_b32 exec_lo, exec_lo, s8
.LBB113_14:
	s_delay_alu instid0(SALU_CYCLE_1)
	s_or_b32 exec_lo, exec_lo, s1
	s_and_saveexec_b32 s0, vcc_lo
	s_cbranch_execz .LBB113_16
; %bb.15:
	s_lshl_b64 s[0:1], s[4:5], 3
	s_delay_alu instid0(SALU_CYCLE_1)
	s_add_nc_u64 s[0:1], s[2:3], s[0:1]
	flat_store_b64 v0, v[2:3], s[0:1] scale_offset
.LBB113_16:
	s_endpgm
	.section	.rodata,"a",@progbits
	.p2align	6, 0x0
	.amdhsa_kernel _ZN7rocprim17ROCPRIM_400000_NS6detail17trampoline_kernelINS0_14default_configENS1_27upper_bound_config_selectorI14custom_numericlEEZNS1_14transform_implILb0ES3_S6_N6thrust23THRUST_200600_302600_NS6detail15normal_iteratorINS9_7pointerIS5_NS9_11hip_rocprim3tagENS9_11use_defaultESF_EEEENSB_INSC_IlSE_SF_SF_EEEEZNS1_13binary_searchIS3_S6_NSB_INS9_10device_ptrIS5_EEEESH_SJ_NS1_21upper_bound_search_opENSA_16wrapped_functionINS9_7greaterIS5_EEbEEEE10hipError_tPvRmT1_T2_T3_mmT4_T5_P12ihipStream_tbEUlRKS5_E_EEST_SX_SY_mSZ_S12_bEUlT_E_NS1_11comp_targetILNS1_3genE0ELNS1_11target_archE4294967295ELNS1_3gpuE0ELNS1_3repE0EEENS1_30default_config_static_selectorELNS0_4arch9wavefront6targetE0EEEvSW_
		.amdhsa_group_segment_fixed_size 0
		.amdhsa_private_segment_fixed_size 0
		.amdhsa_kernarg_size 312
		.amdhsa_user_sgpr_count 2
		.amdhsa_user_sgpr_dispatch_ptr 0
		.amdhsa_user_sgpr_queue_ptr 0
		.amdhsa_user_sgpr_kernarg_segment_ptr 1
		.amdhsa_user_sgpr_dispatch_id 0
		.amdhsa_user_sgpr_kernarg_preload_length 0
		.amdhsa_user_sgpr_kernarg_preload_offset 0
		.amdhsa_user_sgpr_private_segment_size 0
		.amdhsa_wavefront_size32 1
		.amdhsa_uses_dynamic_stack 0
		.amdhsa_enable_private_segment 0
		.amdhsa_system_sgpr_workgroup_id_x 1
		.amdhsa_system_sgpr_workgroup_id_y 0
		.amdhsa_system_sgpr_workgroup_id_z 0
		.amdhsa_system_sgpr_workgroup_info 0
		.amdhsa_system_vgpr_workitem_id 0
		.amdhsa_next_free_vgpr 11
		.amdhsa_next_free_sgpr 18
		.amdhsa_named_barrier_count 0
		.amdhsa_reserve_vcc 1
		.amdhsa_float_round_mode_32 0
		.amdhsa_float_round_mode_16_64 0
		.amdhsa_float_denorm_mode_32 3
		.amdhsa_float_denorm_mode_16_64 3
		.amdhsa_fp16_overflow 0
		.amdhsa_memory_ordered 1
		.amdhsa_forward_progress 1
		.amdhsa_inst_pref_size 6
		.amdhsa_round_robin_scheduling 0
		.amdhsa_exception_fp_ieee_invalid_op 0
		.amdhsa_exception_fp_denorm_src 0
		.amdhsa_exception_fp_ieee_div_zero 0
		.amdhsa_exception_fp_ieee_overflow 0
		.amdhsa_exception_fp_ieee_underflow 0
		.amdhsa_exception_fp_ieee_inexact 0
		.amdhsa_exception_int_div_zero 0
	.end_amdhsa_kernel
	.section	.text._ZN7rocprim17ROCPRIM_400000_NS6detail17trampoline_kernelINS0_14default_configENS1_27upper_bound_config_selectorI14custom_numericlEEZNS1_14transform_implILb0ES3_S6_N6thrust23THRUST_200600_302600_NS6detail15normal_iteratorINS9_7pointerIS5_NS9_11hip_rocprim3tagENS9_11use_defaultESF_EEEENSB_INSC_IlSE_SF_SF_EEEEZNS1_13binary_searchIS3_S6_NSB_INS9_10device_ptrIS5_EEEESH_SJ_NS1_21upper_bound_search_opENSA_16wrapped_functionINS9_7greaterIS5_EEbEEEE10hipError_tPvRmT1_T2_T3_mmT4_T5_P12ihipStream_tbEUlRKS5_E_EEST_SX_SY_mSZ_S12_bEUlT_E_NS1_11comp_targetILNS1_3genE0ELNS1_11target_archE4294967295ELNS1_3gpuE0ELNS1_3repE0EEENS1_30default_config_static_selectorELNS0_4arch9wavefront6targetE0EEEvSW_,"axG",@progbits,_ZN7rocprim17ROCPRIM_400000_NS6detail17trampoline_kernelINS0_14default_configENS1_27upper_bound_config_selectorI14custom_numericlEEZNS1_14transform_implILb0ES3_S6_N6thrust23THRUST_200600_302600_NS6detail15normal_iteratorINS9_7pointerIS5_NS9_11hip_rocprim3tagENS9_11use_defaultESF_EEEENSB_INSC_IlSE_SF_SF_EEEEZNS1_13binary_searchIS3_S6_NSB_INS9_10device_ptrIS5_EEEESH_SJ_NS1_21upper_bound_search_opENSA_16wrapped_functionINS9_7greaterIS5_EEbEEEE10hipError_tPvRmT1_T2_T3_mmT4_T5_P12ihipStream_tbEUlRKS5_E_EEST_SX_SY_mSZ_S12_bEUlT_E_NS1_11comp_targetILNS1_3genE0ELNS1_11target_archE4294967295ELNS1_3gpuE0ELNS1_3repE0EEENS1_30default_config_static_selectorELNS0_4arch9wavefront6targetE0EEEvSW_,comdat
.Lfunc_end113:
	.size	_ZN7rocprim17ROCPRIM_400000_NS6detail17trampoline_kernelINS0_14default_configENS1_27upper_bound_config_selectorI14custom_numericlEEZNS1_14transform_implILb0ES3_S6_N6thrust23THRUST_200600_302600_NS6detail15normal_iteratorINS9_7pointerIS5_NS9_11hip_rocprim3tagENS9_11use_defaultESF_EEEENSB_INSC_IlSE_SF_SF_EEEEZNS1_13binary_searchIS3_S6_NSB_INS9_10device_ptrIS5_EEEESH_SJ_NS1_21upper_bound_search_opENSA_16wrapped_functionINS9_7greaterIS5_EEbEEEE10hipError_tPvRmT1_T2_T3_mmT4_T5_P12ihipStream_tbEUlRKS5_E_EEST_SX_SY_mSZ_S12_bEUlT_E_NS1_11comp_targetILNS1_3genE0ELNS1_11target_archE4294967295ELNS1_3gpuE0ELNS1_3repE0EEENS1_30default_config_static_selectorELNS0_4arch9wavefront6targetE0EEEvSW_, .Lfunc_end113-_ZN7rocprim17ROCPRIM_400000_NS6detail17trampoline_kernelINS0_14default_configENS1_27upper_bound_config_selectorI14custom_numericlEEZNS1_14transform_implILb0ES3_S6_N6thrust23THRUST_200600_302600_NS6detail15normal_iteratorINS9_7pointerIS5_NS9_11hip_rocprim3tagENS9_11use_defaultESF_EEEENSB_INSC_IlSE_SF_SF_EEEEZNS1_13binary_searchIS3_S6_NSB_INS9_10device_ptrIS5_EEEESH_SJ_NS1_21upper_bound_search_opENSA_16wrapped_functionINS9_7greaterIS5_EEbEEEE10hipError_tPvRmT1_T2_T3_mmT4_T5_P12ihipStream_tbEUlRKS5_E_EEST_SX_SY_mSZ_S12_bEUlT_E_NS1_11comp_targetILNS1_3genE0ELNS1_11target_archE4294967295ELNS1_3gpuE0ELNS1_3repE0EEENS1_30default_config_static_selectorELNS0_4arch9wavefront6targetE0EEEvSW_
                                        ; -- End function
	.set _ZN7rocprim17ROCPRIM_400000_NS6detail17trampoline_kernelINS0_14default_configENS1_27upper_bound_config_selectorI14custom_numericlEEZNS1_14transform_implILb0ES3_S6_N6thrust23THRUST_200600_302600_NS6detail15normal_iteratorINS9_7pointerIS5_NS9_11hip_rocprim3tagENS9_11use_defaultESF_EEEENSB_INSC_IlSE_SF_SF_EEEEZNS1_13binary_searchIS3_S6_NSB_INS9_10device_ptrIS5_EEEESH_SJ_NS1_21upper_bound_search_opENSA_16wrapped_functionINS9_7greaterIS5_EEbEEEE10hipError_tPvRmT1_T2_T3_mmT4_T5_P12ihipStream_tbEUlRKS5_E_EEST_SX_SY_mSZ_S12_bEUlT_E_NS1_11comp_targetILNS1_3genE0ELNS1_11target_archE4294967295ELNS1_3gpuE0ELNS1_3repE0EEENS1_30default_config_static_selectorELNS0_4arch9wavefront6targetE0EEEvSW_.num_vgpr, 11
	.set _ZN7rocprim17ROCPRIM_400000_NS6detail17trampoline_kernelINS0_14default_configENS1_27upper_bound_config_selectorI14custom_numericlEEZNS1_14transform_implILb0ES3_S6_N6thrust23THRUST_200600_302600_NS6detail15normal_iteratorINS9_7pointerIS5_NS9_11hip_rocprim3tagENS9_11use_defaultESF_EEEENSB_INSC_IlSE_SF_SF_EEEEZNS1_13binary_searchIS3_S6_NSB_INS9_10device_ptrIS5_EEEESH_SJ_NS1_21upper_bound_search_opENSA_16wrapped_functionINS9_7greaterIS5_EEbEEEE10hipError_tPvRmT1_T2_T3_mmT4_T5_P12ihipStream_tbEUlRKS5_E_EEST_SX_SY_mSZ_S12_bEUlT_E_NS1_11comp_targetILNS1_3genE0ELNS1_11target_archE4294967295ELNS1_3gpuE0ELNS1_3repE0EEENS1_30default_config_static_selectorELNS0_4arch9wavefront6targetE0EEEvSW_.num_agpr, 0
	.set _ZN7rocprim17ROCPRIM_400000_NS6detail17trampoline_kernelINS0_14default_configENS1_27upper_bound_config_selectorI14custom_numericlEEZNS1_14transform_implILb0ES3_S6_N6thrust23THRUST_200600_302600_NS6detail15normal_iteratorINS9_7pointerIS5_NS9_11hip_rocprim3tagENS9_11use_defaultESF_EEEENSB_INSC_IlSE_SF_SF_EEEEZNS1_13binary_searchIS3_S6_NSB_INS9_10device_ptrIS5_EEEESH_SJ_NS1_21upper_bound_search_opENSA_16wrapped_functionINS9_7greaterIS5_EEbEEEE10hipError_tPvRmT1_T2_T3_mmT4_T5_P12ihipStream_tbEUlRKS5_E_EEST_SX_SY_mSZ_S12_bEUlT_E_NS1_11comp_targetILNS1_3genE0ELNS1_11target_archE4294967295ELNS1_3gpuE0ELNS1_3repE0EEENS1_30default_config_static_selectorELNS0_4arch9wavefront6targetE0EEEvSW_.numbered_sgpr, 18
	.set _ZN7rocprim17ROCPRIM_400000_NS6detail17trampoline_kernelINS0_14default_configENS1_27upper_bound_config_selectorI14custom_numericlEEZNS1_14transform_implILb0ES3_S6_N6thrust23THRUST_200600_302600_NS6detail15normal_iteratorINS9_7pointerIS5_NS9_11hip_rocprim3tagENS9_11use_defaultESF_EEEENSB_INSC_IlSE_SF_SF_EEEEZNS1_13binary_searchIS3_S6_NSB_INS9_10device_ptrIS5_EEEESH_SJ_NS1_21upper_bound_search_opENSA_16wrapped_functionINS9_7greaterIS5_EEbEEEE10hipError_tPvRmT1_T2_T3_mmT4_T5_P12ihipStream_tbEUlRKS5_E_EEST_SX_SY_mSZ_S12_bEUlT_E_NS1_11comp_targetILNS1_3genE0ELNS1_11target_archE4294967295ELNS1_3gpuE0ELNS1_3repE0EEENS1_30default_config_static_selectorELNS0_4arch9wavefront6targetE0EEEvSW_.num_named_barrier, 0
	.set _ZN7rocprim17ROCPRIM_400000_NS6detail17trampoline_kernelINS0_14default_configENS1_27upper_bound_config_selectorI14custom_numericlEEZNS1_14transform_implILb0ES3_S6_N6thrust23THRUST_200600_302600_NS6detail15normal_iteratorINS9_7pointerIS5_NS9_11hip_rocprim3tagENS9_11use_defaultESF_EEEENSB_INSC_IlSE_SF_SF_EEEEZNS1_13binary_searchIS3_S6_NSB_INS9_10device_ptrIS5_EEEESH_SJ_NS1_21upper_bound_search_opENSA_16wrapped_functionINS9_7greaterIS5_EEbEEEE10hipError_tPvRmT1_T2_T3_mmT4_T5_P12ihipStream_tbEUlRKS5_E_EEST_SX_SY_mSZ_S12_bEUlT_E_NS1_11comp_targetILNS1_3genE0ELNS1_11target_archE4294967295ELNS1_3gpuE0ELNS1_3repE0EEENS1_30default_config_static_selectorELNS0_4arch9wavefront6targetE0EEEvSW_.private_seg_size, 0
	.set _ZN7rocprim17ROCPRIM_400000_NS6detail17trampoline_kernelINS0_14default_configENS1_27upper_bound_config_selectorI14custom_numericlEEZNS1_14transform_implILb0ES3_S6_N6thrust23THRUST_200600_302600_NS6detail15normal_iteratorINS9_7pointerIS5_NS9_11hip_rocprim3tagENS9_11use_defaultESF_EEEENSB_INSC_IlSE_SF_SF_EEEEZNS1_13binary_searchIS3_S6_NSB_INS9_10device_ptrIS5_EEEESH_SJ_NS1_21upper_bound_search_opENSA_16wrapped_functionINS9_7greaterIS5_EEbEEEE10hipError_tPvRmT1_T2_T3_mmT4_T5_P12ihipStream_tbEUlRKS5_E_EEST_SX_SY_mSZ_S12_bEUlT_E_NS1_11comp_targetILNS1_3genE0ELNS1_11target_archE4294967295ELNS1_3gpuE0ELNS1_3repE0EEENS1_30default_config_static_selectorELNS0_4arch9wavefront6targetE0EEEvSW_.uses_vcc, 1
	.set _ZN7rocprim17ROCPRIM_400000_NS6detail17trampoline_kernelINS0_14default_configENS1_27upper_bound_config_selectorI14custom_numericlEEZNS1_14transform_implILb0ES3_S6_N6thrust23THRUST_200600_302600_NS6detail15normal_iteratorINS9_7pointerIS5_NS9_11hip_rocprim3tagENS9_11use_defaultESF_EEEENSB_INSC_IlSE_SF_SF_EEEEZNS1_13binary_searchIS3_S6_NSB_INS9_10device_ptrIS5_EEEESH_SJ_NS1_21upper_bound_search_opENSA_16wrapped_functionINS9_7greaterIS5_EEbEEEE10hipError_tPvRmT1_T2_T3_mmT4_T5_P12ihipStream_tbEUlRKS5_E_EEST_SX_SY_mSZ_S12_bEUlT_E_NS1_11comp_targetILNS1_3genE0ELNS1_11target_archE4294967295ELNS1_3gpuE0ELNS1_3repE0EEENS1_30default_config_static_selectorELNS0_4arch9wavefront6targetE0EEEvSW_.uses_flat_scratch, 0
	.set _ZN7rocprim17ROCPRIM_400000_NS6detail17trampoline_kernelINS0_14default_configENS1_27upper_bound_config_selectorI14custom_numericlEEZNS1_14transform_implILb0ES3_S6_N6thrust23THRUST_200600_302600_NS6detail15normal_iteratorINS9_7pointerIS5_NS9_11hip_rocprim3tagENS9_11use_defaultESF_EEEENSB_INSC_IlSE_SF_SF_EEEEZNS1_13binary_searchIS3_S6_NSB_INS9_10device_ptrIS5_EEEESH_SJ_NS1_21upper_bound_search_opENSA_16wrapped_functionINS9_7greaterIS5_EEbEEEE10hipError_tPvRmT1_T2_T3_mmT4_T5_P12ihipStream_tbEUlRKS5_E_EEST_SX_SY_mSZ_S12_bEUlT_E_NS1_11comp_targetILNS1_3genE0ELNS1_11target_archE4294967295ELNS1_3gpuE0ELNS1_3repE0EEENS1_30default_config_static_selectorELNS0_4arch9wavefront6targetE0EEEvSW_.has_dyn_sized_stack, 0
	.set _ZN7rocprim17ROCPRIM_400000_NS6detail17trampoline_kernelINS0_14default_configENS1_27upper_bound_config_selectorI14custom_numericlEEZNS1_14transform_implILb0ES3_S6_N6thrust23THRUST_200600_302600_NS6detail15normal_iteratorINS9_7pointerIS5_NS9_11hip_rocprim3tagENS9_11use_defaultESF_EEEENSB_INSC_IlSE_SF_SF_EEEEZNS1_13binary_searchIS3_S6_NSB_INS9_10device_ptrIS5_EEEESH_SJ_NS1_21upper_bound_search_opENSA_16wrapped_functionINS9_7greaterIS5_EEbEEEE10hipError_tPvRmT1_T2_T3_mmT4_T5_P12ihipStream_tbEUlRKS5_E_EEST_SX_SY_mSZ_S12_bEUlT_E_NS1_11comp_targetILNS1_3genE0ELNS1_11target_archE4294967295ELNS1_3gpuE0ELNS1_3repE0EEENS1_30default_config_static_selectorELNS0_4arch9wavefront6targetE0EEEvSW_.has_recursion, 0
	.set _ZN7rocprim17ROCPRIM_400000_NS6detail17trampoline_kernelINS0_14default_configENS1_27upper_bound_config_selectorI14custom_numericlEEZNS1_14transform_implILb0ES3_S6_N6thrust23THRUST_200600_302600_NS6detail15normal_iteratorINS9_7pointerIS5_NS9_11hip_rocprim3tagENS9_11use_defaultESF_EEEENSB_INSC_IlSE_SF_SF_EEEEZNS1_13binary_searchIS3_S6_NSB_INS9_10device_ptrIS5_EEEESH_SJ_NS1_21upper_bound_search_opENSA_16wrapped_functionINS9_7greaterIS5_EEbEEEE10hipError_tPvRmT1_T2_T3_mmT4_T5_P12ihipStream_tbEUlRKS5_E_EEST_SX_SY_mSZ_S12_bEUlT_E_NS1_11comp_targetILNS1_3genE0ELNS1_11target_archE4294967295ELNS1_3gpuE0ELNS1_3repE0EEENS1_30default_config_static_selectorELNS0_4arch9wavefront6targetE0EEEvSW_.has_indirect_call, 0
	.section	.AMDGPU.csdata,"",@progbits
; Kernel info:
; codeLenInByte = 664
; TotalNumSgprs: 20
; NumVgprs: 11
; ScratchSize: 0
; MemoryBound: 0
; FloatMode: 240
; IeeeMode: 1
; LDSByteSize: 0 bytes/workgroup (compile time only)
; SGPRBlocks: 0
; VGPRBlocks: 0
; NumSGPRsForWavesPerEU: 20
; NumVGPRsForWavesPerEU: 11
; NamedBarCnt: 0
; Occupancy: 16
; WaveLimiterHint : 0
; COMPUTE_PGM_RSRC2:SCRATCH_EN: 0
; COMPUTE_PGM_RSRC2:USER_SGPR: 2
; COMPUTE_PGM_RSRC2:TRAP_HANDLER: 0
; COMPUTE_PGM_RSRC2:TGID_X_EN: 1
; COMPUTE_PGM_RSRC2:TGID_Y_EN: 0
; COMPUTE_PGM_RSRC2:TGID_Z_EN: 0
; COMPUTE_PGM_RSRC2:TIDIG_COMP_CNT: 0
	.section	.text._ZN7rocprim17ROCPRIM_400000_NS6detail17trampoline_kernelINS0_14default_configENS1_27upper_bound_config_selectorI14custom_numericlEEZNS1_14transform_implILb0ES3_S6_N6thrust23THRUST_200600_302600_NS6detail15normal_iteratorINS9_7pointerIS5_NS9_11hip_rocprim3tagENS9_11use_defaultESF_EEEENSB_INSC_IlSE_SF_SF_EEEEZNS1_13binary_searchIS3_S6_NSB_INS9_10device_ptrIS5_EEEESH_SJ_NS1_21upper_bound_search_opENSA_16wrapped_functionINS9_7greaterIS5_EEbEEEE10hipError_tPvRmT1_T2_T3_mmT4_T5_P12ihipStream_tbEUlRKS5_E_EEST_SX_SY_mSZ_S12_bEUlT_E_NS1_11comp_targetILNS1_3genE5ELNS1_11target_archE942ELNS1_3gpuE9ELNS1_3repE0EEENS1_30default_config_static_selectorELNS0_4arch9wavefront6targetE0EEEvSW_,"axG",@progbits,_ZN7rocprim17ROCPRIM_400000_NS6detail17trampoline_kernelINS0_14default_configENS1_27upper_bound_config_selectorI14custom_numericlEEZNS1_14transform_implILb0ES3_S6_N6thrust23THRUST_200600_302600_NS6detail15normal_iteratorINS9_7pointerIS5_NS9_11hip_rocprim3tagENS9_11use_defaultESF_EEEENSB_INSC_IlSE_SF_SF_EEEEZNS1_13binary_searchIS3_S6_NSB_INS9_10device_ptrIS5_EEEESH_SJ_NS1_21upper_bound_search_opENSA_16wrapped_functionINS9_7greaterIS5_EEbEEEE10hipError_tPvRmT1_T2_T3_mmT4_T5_P12ihipStream_tbEUlRKS5_E_EEST_SX_SY_mSZ_S12_bEUlT_E_NS1_11comp_targetILNS1_3genE5ELNS1_11target_archE942ELNS1_3gpuE9ELNS1_3repE0EEENS1_30default_config_static_selectorELNS0_4arch9wavefront6targetE0EEEvSW_,comdat
	.protected	_ZN7rocprim17ROCPRIM_400000_NS6detail17trampoline_kernelINS0_14default_configENS1_27upper_bound_config_selectorI14custom_numericlEEZNS1_14transform_implILb0ES3_S6_N6thrust23THRUST_200600_302600_NS6detail15normal_iteratorINS9_7pointerIS5_NS9_11hip_rocprim3tagENS9_11use_defaultESF_EEEENSB_INSC_IlSE_SF_SF_EEEEZNS1_13binary_searchIS3_S6_NSB_INS9_10device_ptrIS5_EEEESH_SJ_NS1_21upper_bound_search_opENSA_16wrapped_functionINS9_7greaterIS5_EEbEEEE10hipError_tPvRmT1_T2_T3_mmT4_T5_P12ihipStream_tbEUlRKS5_E_EEST_SX_SY_mSZ_S12_bEUlT_E_NS1_11comp_targetILNS1_3genE5ELNS1_11target_archE942ELNS1_3gpuE9ELNS1_3repE0EEENS1_30default_config_static_selectorELNS0_4arch9wavefront6targetE0EEEvSW_ ; -- Begin function _ZN7rocprim17ROCPRIM_400000_NS6detail17trampoline_kernelINS0_14default_configENS1_27upper_bound_config_selectorI14custom_numericlEEZNS1_14transform_implILb0ES3_S6_N6thrust23THRUST_200600_302600_NS6detail15normal_iteratorINS9_7pointerIS5_NS9_11hip_rocprim3tagENS9_11use_defaultESF_EEEENSB_INSC_IlSE_SF_SF_EEEEZNS1_13binary_searchIS3_S6_NSB_INS9_10device_ptrIS5_EEEESH_SJ_NS1_21upper_bound_search_opENSA_16wrapped_functionINS9_7greaterIS5_EEbEEEE10hipError_tPvRmT1_T2_T3_mmT4_T5_P12ihipStream_tbEUlRKS5_E_EEST_SX_SY_mSZ_S12_bEUlT_E_NS1_11comp_targetILNS1_3genE5ELNS1_11target_archE942ELNS1_3gpuE9ELNS1_3repE0EEENS1_30default_config_static_selectorELNS0_4arch9wavefront6targetE0EEEvSW_
	.globl	_ZN7rocprim17ROCPRIM_400000_NS6detail17trampoline_kernelINS0_14default_configENS1_27upper_bound_config_selectorI14custom_numericlEEZNS1_14transform_implILb0ES3_S6_N6thrust23THRUST_200600_302600_NS6detail15normal_iteratorINS9_7pointerIS5_NS9_11hip_rocprim3tagENS9_11use_defaultESF_EEEENSB_INSC_IlSE_SF_SF_EEEEZNS1_13binary_searchIS3_S6_NSB_INS9_10device_ptrIS5_EEEESH_SJ_NS1_21upper_bound_search_opENSA_16wrapped_functionINS9_7greaterIS5_EEbEEEE10hipError_tPvRmT1_T2_T3_mmT4_T5_P12ihipStream_tbEUlRKS5_E_EEST_SX_SY_mSZ_S12_bEUlT_E_NS1_11comp_targetILNS1_3genE5ELNS1_11target_archE942ELNS1_3gpuE9ELNS1_3repE0EEENS1_30default_config_static_selectorELNS0_4arch9wavefront6targetE0EEEvSW_
	.p2align	8
	.type	_ZN7rocprim17ROCPRIM_400000_NS6detail17trampoline_kernelINS0_14default_configENS1_27upper_bound_config_selectorI14custom_numericlEEZNS1_14transform_implILb0ES3_S6_N6thrust23THRUST_200600_302600_NS6detail15normal_iteratorINS9_7pointerIS5_NS9_11hip_rocprim3tagENS9_11use_defaultESF_EEEENSB_INSC_IlSE_SF_SF_EEEEZNS1_13binary_searchIS3_S6_NSB_INS9_10device_ptrIS5_EEEESH_SJ_NS1_21upper_bound_search_opENSA_16wrapped_functionINS9_7greaterIS5_EEbEEEE10hipError_tPvRmT1_T2_T3_mmT4_T5_P12ihipStream_tbEUlRKS5_E_EEST_SX_SY_mSZ_S12_bEUlT_E_NS1_11comp_targetILNS1_3genE5ELNS1_11target_archE942ELNS1_3gpuE9ELNS1_3repE0EEENS1_30default_config_static_selectorELNS0_4arch9wavefront6targetE0EEEvSW_,@function
_ZN7rocprim17ROCPRIM_400000_NS6detail17trampoline_kernelINS0_14default_configENS1_27upper_bound_config_selectorI14custom_numericlEEZNS1_14transform_implILb0ES3_S6_N6thrust23THRUST_200600_302600_NS6detail15normal_iteratorINS9_7pointerIS5_NS9_11hip_rocprim3tagENS9_11use_defaultESF_EEEENSB_INSC_IlSE_SF_SF_EEEEZNS1_13binary_searchIS3_S6_NSB_INS9_10device_ptrIS5_EEEESH_SJ_NS1_21upper_bound_search_opENSA_16wrapped_functionINS9_7greaterIS5_EEbEEEE10hipError_tPvRmT1_T2_T3_mmT4_T5_P12ihipStream_tbEUlRKS5_E_EEST_SX_SY_mSZ_S12_bEUlT_E_NS1_11comp_targetILNS1_3genE5ELNS1_11target_archE942ELNS1_3gpuE9ELNS1_3repE0EEENS1_30default_config_static_selectorELNS0_4arch9wavefront6targetE0EEEvSW_: ; @_ZN7rocprim17ROCPRIM_400000_NS6detail17trampoline_kernelINS0_14default_configENS1_27upper_bound_config_selectorI14custom_numericlEEZNS1_14transform_implILb0ES3_S6_N6thrust23THRUST_200600_302600_NS6detail15normal_iteratorINS9_7pointerIS5_NS9_11hip_rocprim3tagENS9_11use_defaultESF_EEEENSB_INSC_IlSE_SF_SF_EEEEZNS1_13binary_searchIS3_S6_NSB_INS9_10device_ptrIS5_EEEESH_SJ_NS1_21upper_bound_search_opENSA_16wrapped_functionINS9_7greaterIS5_EEbEEEE10hipError_tPvRmT1_T2_T3_mmT4_T5_P12ihipStream_tbEUlRKS5_E_EEST_SX_SY_mSZ_S12_bEUlT_E_NS1_11comp_targetILNS1_3genE5ELNS1_11target_archE942ELNS1_3gpuE9ELNS1_3repE0EEENS1_30default_config_static_selectorELNS0_4arch9wavefront6targetE0EEEvSW_
; %bb.0:
	.section	.rodata,"a",@progbits
	.p2align	6, 0x0
	.amdhsa_kernel _ZN7rocprim17ROCPRIM_400000_NS6detail17trampoline_kernelINS0_14default_configENS1_27upper_bound_config_selectorI14custom_numericlEEZNS1_14transform_implILb0ES3_S6_N6thrust23THRUST_200600_302600_NS6detail15normal_iteratorINS9_7pointerIS5_NS9_11hip_rocprim3tagENS9_11use_defaultESF_EEEENSB_INSC_IlSE_SF_SF_EEEEZNS1_13binary_searchIS3_S6_NSB_INS9_10device_ptrIS5_EEEESH_SJ_NS1_21upper_bound_search_opENSA_16wrapped_functionINS9_7greaterIS5_EEbEEEE10hipError_tPvRmT1_T2_T3_mmT4_T5_P12ihipStream_tbEUlRKS5_E_EEST_SX_SY_mSZ_S12_bEUlT_E_NS1_11comp_targetILNS1_3genE5ELNS1_11target_archE942ELNS1_3gpuE9ELNS1_3repE0EEENS1_30default_config_static_selectorELNS0_4arch9wavefront6targetE0EEEvSW_
		.amdhsa_group_segment_fixed_size 0
		.amdhsa_private_segment_fixed_size 0
		.amdhsa_kernarg_size 56
		.amdhsa_user_sgpr_count 2
		.amdhsa_user_sgpr_dispatch_ptr 0
		.amdhsa_user_sgpr_queue_ptr 0
		.amdhsa_user_sgpr_kernarg_segment_ptr 1
		.amdhsa_user_sgpr_dispatch_id 0
		.amdhsa_user_sgpr_kernarg_preload_length 0
		.amdhsa_user_sgpr_kernarg_preload_offset 0
		.amdhsa_user_sgpr_private_segment_size 0
		.amdhsa_wavefront_size32 1
		.amdhsa_uses_dynamic_stack 0
		.amdhsa_enable_private_segment 0
		.amdhsa_system_sgpr_workgroup_id_x 1
		.amdhsa_system_sgpr_workgroup_id_y 0
		.amdhsa_system_sgpr_workgroup_id_z 0
		.amdhsa_system_sgpr_workgroup_info 0
		.amdhsa_system_vgpr_workitem_id 0
		.amdhsa_next_free_vgpr 1
		.amdhsa_next_free_sgpr 1
		.amdhsa_named_barrier_count 0
		.amdhsa_reserve_vcc 0
		.amdhsa_float_round_mode_32 0
		.amdhsa_float_round_mode_16_64 0
		.amdhsa_float_denorm_mode_32 3
		.amdhsa_float_denorm_mode_16_64 3
		.amdhsa_fp16_overflow 0
		.amdhsa_memory_ordered 1
		.amdhsa_forward_progress 1
		.amdhsa_inst_pref_size 0
		.amdhsa_round_robin_scheduling 0
		.amdhsa_exception_fp_ieee_invalid_op 0
		.amdhsa_exception_fp_denorm_src 0
		.amdhsa_exception_fp_ieee_div_zero 0
		.amdhsa_exception_fp_ieee_overflow 0
		.amdhsa_exception_fp_ieee_underflow 0
		.amdhsa_exception_fp_ieee_inexact 0
		.amdhsa_exception_int_div_zero 0
	.end_amdhsa_kernel
	.section	.text._ZN7rocprim17ROCPRIM_400000_NS6detail17trampoline_kernelINS0_14default_configENS1_27upper_bound_config_selectorI14custom_numericlEEZNS1_14transform_implILb0ES3_S6_N6thrust23THRUST_200600_302600_NS6detail15normal_iteratorINS9_7pointerIS5_NS9_11hip_rocprim3tagENS9_11use_defaultESF_EEEENSB_INSC_IlSE_SF_SF_EEEEZNS1_13binary_searchIS3_S6_NSB_INS9_10device_ptrIS5_EEEESH_SJ_NS1_21upper_bound_search_opENSA_16wrapped_functionINS9_7greaterIS5_EEbEEEE10hipError_tPvRmT1_T2_T3_mmT4_T5_P12ihipStream_tbEUlRKS5_E_EEST_SX_SY_mSZ_S12_bEUlT_E_NS1_11comp_targetILNS1_3genE5ELNS1_11target_archE942ELNS1_3gpuE9ELNS1_3repE0EEENS1_30default_config_static_selectorELNS0_4arch9wavefront6targetE0EEEvSW_,"axG",@progbits,_ZN7rocprim17ROCPRIM_400000_NS6detail17trampoline_kernelINS0_14default_configENS1_27upper_bound_config_selectorI14custom_numericlEEZNS1_14transform_implILb0ES3_S6_N6thrust23THRUST_200600_302600_NS6detail15normal_iteratorINS9_7pointerIS5_NS9_11hip_rocprim3tagENS9_11use_defaultESF_EEEENSB_INSC_IlSE_SF_SF_EEEEZNS1_13binary_searchIS3_S6_NSB_INS9_10device_ptrIS5_EEEESH_SJ_NS1_21upper_bound_search_opENSA_16wrapped_functionINS9_7greaterIS5_EEbEEEE10hipError_tPvRmT1_T2_T3_mmT4_T5_P12ihipStream_tbEUlRKS5_E_EEST_SX_SY_mSZ_S12_bEUlT_E_NS1_11comp_targetILNS1_3genE5ELNS1_11target_archE942ELNS1_3gpuE9ELNS1_3repE0EEENS1_30default_config_static_selectorELNS0_4arch9wavefront6targetE0EEEvSW_,comdat
.Lfunc_end114:
	.size	_ZN7rocprim17ROCPRIM_400000_NS6detail17trampoline_kernelINS0_14default_configENS1_27upper_bound_config_selectorI14custom_numericlEEZNS1_14transform_implILb0ES3_S6_N6thrust23THRUST_200600_302600_NS6detail15normal_iteratorINS9_7pointerIS5_NS9_11hip_rocprim3tagENS9_11use_defaultESF_EEEENSB_INSC_IlSE_SF_SF_EEEEZNS1_13binary_searchIS3_S6_NSB_INS9_10device_ptrIS5_EEEESH_SJ_NS1_21upper_bound_search_opENSA_16wrapped_functionINS9_7greaterIS5_EEbEEEE10hipError_tPvRmT1_T2_T3_mmT4_T5_P12ihipStream_tbEUlRKS5_E_EEST_SX_SY_mSZ_S12_bEUlT_E_NS1_11comp_targetILNS1_3genE5ELNS1_11target_archE942ELNS1_3gpuE9ELNS1_3repE0EEENS1_30default_config_static_selectorELNS0_4arch9wavefront6targetE0EEEvSW_, .Lfunc_end114-_ZN7rocprim17ROCPRIM_400000_NS6detail17trampoline_kernelINS0_14default_configENS1_27upper_bound_config_selectorI14custom_numericlEEZNS1_14transform_implILb0ES3_S6_N6thrust23THRUST_200600_302600_NS6detail15normal_iteratorINS9_7pointerIS5_NS9_11hip_rocprim3tagENS9_11use_defaultESF_EEEENSB_INSC_IlSE_SF_SF_EEEEZNS1_13binary_searchIS3_S6_NSB_INS9_10device_ptrIS5_EEEESH_SJ_NS1_21upper_bound_search_opENSA_16wrapped_functionINS9_7greaterIS5_EEbEEEE10hipError_tPvRmT1_T2_T3_mmT4_T5_P12ihipStream_tbEUlRKS5_E_EEST_SX_SY_mSZ_S12_bEUlT_E_NS1_11comp_targetILNS1_3genE5ELNS1_11target_archE942ELNS1_3gpuE9ELNS1_3repE0EEENS1_30default_config_static_selectorELNS0_4arch9wavefront6targetE0EEEvSW_
                                        ; -- End function
	.set _ZN7rocprim17ROCPRIM_400000_NS6detail17trampoline_kernelINS0_14default_configENS1_27upper_bound_config_selectorI14custom_numericlEEZNS1_14transform_implILb0ES3_S6_N6thrust23THRUST_200600_302600_NS6detail15normal_iteratorINS9_7pointerIS5_NS9_11hip_rocprim3tagENS9_11use_defaultESF_EEEENSB_INSC_IlSE_SF_SF_EEEEZNS1_13binary_searchIS3_S6_NSB_INS9_10device_ptrIS5_EEEESH_SJ_NS1_21upper_bound_search_opENSA_16wrapped_functionINS9_7greaterIS5_EEbEEEE10hipError_tPvRmT1_T2_T3_mmT4_T5_P12ihipStream_tbEUlRKS5_E_EEST_SX_SY_mSZ_S12_bEUlT_E_NS1_11comp_targetILNS1_3genE5ELNS1_11target_archE942ELNS1_3gpuE9ELNS1_3repE0EEENS1_30default_config_static_selectorELNS0_4arch9wavefront6targetE0EEEvSW_.num_vgpr, 0
	.set _ZN7rocprim17ROCPRIM_400000_NS6detail17trampoline_kernelINS0_14default_configENS1_27upper_bound_config_selectorI14custom_numericlEEZNS1_14transform_implILb0ES3_S6_N6thrust23THRUST_200600_302600_NS6detail15normal_iteratorINS9_7pointerIS5_NS9_11hip_rocprim3tagENS9_11use_defaultESF_EEEENSB_INSC_IlSE_SF_SF_EEEEZNS1_13binary_searchIS3_S6_NSB_INS9_10device_ptrIS5_EEEESH_SJ_NS1_21upper_bound_search_opENSA_16wrapped_functionINS9_7greaterIS5_EEbEEEE10hipError_tPvRmT1_T2_T3_mmT4_T5_P12ihipStream_tbEUlRKS5_E_EEST_SX_SY_mSZ_S12_bEUlT_E_NS1_11comp_targetILNS1_3genE5ELNS1_11target_archE942ELNS1_3gpuE9ELNS1_3repE0EEENS1_30default_config_static_selectorELNS0_4arch9wavefront6targetE0EEEvSW_.num_agpr, 0
	.set _ZN7rocprim17ROCPRIM_400000_NS6detail17trampoline_kernelINS0_14default_configENS1_27upper_bound_config_selectorI14custom_numericlEEZNS1_14transform_implILb0ES3_S6_N6thrust23THRUST_200600_302600_NS6detail15normal_iteratorINS9_7pointerIS5_NS9_11hip_rocprim3tagENS9_11use_defaultESF_EEEENSB_INSC_IlSE_SF_SF_EEEEZNS1_13binary_searchIS3_S6_NSB_INS9_10device_ptrIS5_EEEESH_SJ_NS1_21upper_bound_search_opENSA_16wrapped_functionINS9_7greaterIS5_EEbEEEE10hipError_tPvRmT1_T2_T3_mmT4_T5_P12ihipStream_tbEUlRKS5_E_EEST_SX_SY_mSZ_S12_bEUlT_E_NS1_11comp_targetILNS1_3genE5ELNS1_11target_archE942ELNS1_3gpuE9ELNS1_3repE0EEENS1_30default_config_static_selectorELNS0_4arch9wavefront6targetE0EEEvSW_.numbered_sgpr, 0
	.set _ZN7rocprim17ROCPRIM_400000_NS6detail17trampoline_kernelINS0_14default_configENS1_27upper_bound_config_selectorI14custom_numericlEEZNS1_14transform_implILb0ES3_S6_N6thrust23THRUST_200600_302600_NS6detail15normal_iteratorINS9_7pointerIS5_NS9_11hip_rocprim3tagENS9_11use_defaultESF_EEEENSB_INSC_IlSE_SF_SF_EEEEZNS1_13binary_searchIS3_S6_NSB_INS9_10device_ptrIS5_EEEESH_SJ_NS1_21upper_bound_search_opENSA_16wrapped_functionINS9_7greaterIS5_EEbEEEE10hipError_tPvRmT1_T2_T3_mmT4_T5_P12ihipStream_tbEUlRKS5_E_EEST_SX_SY_mSZ_S12_bEUlT_E_NS1_11comp_targetILNS1_3genE5ELNS1_11target_archE942ELNS1_3gpuE9ELNS1_3repE0EEENS1_30default_config_static_selectorELNS0_4arch9wavefront6targetE0EEEvSW_.num_named_barrier, 0
	.set _ZN7rocprim17ROCPRIM_400000_NS6detail17trampoline_kernelINS0_14default_configENS1_27upper_bound_config_selectorI14custom_numericlEEZNS1_14transform_implILb0ES3_S6_N6thrust23THRUST_200600_302600_NS6detail15normal_iteratorINS9_7pointerIS5_NS9_11hip_rocprim3tagENS9_11use_defaultESF_EEEENSB_INSC_IlSE_SF_SF_EEEEZNS1_13binary_searchIS3_S6_NSB_INS9_10device_ptrIS5_EEEESH_SJ_NS1_21upper_bound_search_opENSA_16wrapped_functionINS9_7greaterIS5_EEbEEEE10hipError_tPvRmT1_T2_T3_mmT4_T5_P12ihipStream_tbEUlRKS5_E_EEST_SX_SY_mSZ_S12_bEUlT_E_NS1_11comp_targetILNS1_3genE5ELNS1_11target_archE942ELNS1_3gpuE9ELNS1_3repE0EEENS1_30default_config_static_selectorELNS0_4arch9wavefront6targetE0EEEvSW_.private_seg_size, 0
	.set _ZN7rocprim17ROCPRIM_400000_NS6detail17trampoline_kernelINS0_14default_configENS1_27upper_bound_config_selectorI14custom_numericlEEZNS1_14transform_implILb0ES3_S6_N6thrust23THRUST_200600_302600_NS6detail15normal_iteratorINS9_7pointerIS5_NS9_11hip_rocprim3tagENS9_11use_defaultESF_EEEENSB_INSC_IlSE_SF_SF_EEEEZNS1_13binary_searchIS3_S6_NSB_INS9_10device_ptrIS5_EEEESH_SJ_NS1_21upper_bound_search_opENSA_16wrapped_functionINS9_7greaterIS5_EEbEEEE10hipError_tPvRmT1_T2_T3_mmT4_T5_P12ihipStream_tbEUlRKS5_E_EEST_SX_SY_mSZ_S12_bEUlT_E_NS1_11comp_targetILNS1_3genE5ELNS1_11target_archE942ELNS1_3gpuE9ELNS1_3repE0EEENS1_30default_config_static_selectorELNS0_4arch9wavefront6targetE0EEEvSW_.uses_vcc, 0
	.set _ZN7rocprim17ROCPRIM_400000_NS6detail17trampoline_kernelINS0_14default_configENS1_27upper_bound_config_selectorI14custom_numericlEEZNS1_14transform_implILb0ES3_S6_N6thrust23THRUST_200600_302600_NS6detail15normal_iteratorINS9_7pointerIS5_NS9_11hip_rocprim3tagENS9_11use_defaultESF_EEEENSB_INSC_IlSE_SF_SF_EEEEZNS1_13binary_searchIS3_S6_NSB_INS9_10device_ptrIS5_EEEESH_SJ_NS1_21upper_bound_search_opENSA_16wrapped_functionINS9_7greaterIS5_EEbEEEE10hipError_tPvRmT1_T2_T3_mmT4_T5_P12ihipStream_tbEUlRKS5_E_EEST_SX_SY_mSZ_S12_bEUlT_E_NS1_11comp_targetILNS1_3genE5ELNS1_11target_archE942ELNS1_3gpuE9ELNS1_3repE0EEENS1_30default_config_static_selectorELNS0_4arch9wavefront6targetE0EEEvSW_.uses_flat_scratch, 0
	.set _ZN7rocprim17ROCPRIM_400000_NS6detail17trampoline_kernelINS0_14default_configENS1_27upper_bound_config_selectorI14custom_numericlEEZNS1_14transform_implILb0ES3_S6_N6thrust23THRUST_200600_302600_NS6detail15normal_iteratorINS9_7pointerIS5_NS9_11hip_rocprim3tagENS9_11use_defaultESF_EEEENSB_INSC_IlSE_SF_SF_EEEEZNS1_13binary_searchIS3_S6_NSB_INS9_10device_ptrIS5_EEEESH_SJ_NS1_21upper_bound_search_opENSA_16wrapped_functionINS9_7greaterIS5_EEbEEEE10hipError_tPvRmT1_T2_T3_mmT4_T5_P12ihipStream_tbEUlRKS5_E_EEST_SX_SY_mSZ_S12_bEUlT_E_NS1_11comp_targetILNS1_3genE5ELNS1_11target_archE942ELNS1_3gpuE9ELNS1_3repE0EEENS1_30default_config_static_selectorELNS0_4arch9wavefront6targetE0EEEvSW_.has_dyn_sized_stack, 0
	.set _ZN7rocprim17ROCPRIM_400000_NS6detail17trampoline_kernelINS0_14default_configENS1_27upper_bound_config_selectorI14custom_numericlEEZNS1_14transform_implILb0ES3_S6_N6thrust23THRUST_200600_302600_NS6detail15normal_iteratorINS9_7pointerIS5_NS9_11hip_rocprim3tagENS9_11use_defaultESF_EEEENSB_INSC_IlSE_SF_SF_EEEEZNS1_13binary_searchIS3_S6_NSB_INS9_10device_ptrIS5_EEEESH_SJ_NS1_21upper_bound_search_opENSA_16wrapped_functionINS9_7greaterIS5_EEbEEEE10hipError_tPvRmT1_T2_T3_mmT4_T5_P12ihipStream_tbEUlRKS5_E_EEST_SX_SY_mSZ_S12_bEUlT_E_NS1_11comp_targetILNS1_3genE5ELNS1_11target_archE942ELNS1_3gpuE9ELNS1_3repE0EEENS1_30default_config_static_selectorELNS0_4arch9wavefront6targetE0EEEvSW_.has_recursion, 0
	.set _ZN7rocprim17ROCPRIM_400000_NS6detail17trampoline_kernelINS0_14default_configENS1_27upper_bound_config_selectorI14custom_numericlEEZNS1_14transform_implILb0ES3_S6_N6thrust23THRUST_200600_302600_NS6detail15normal_iteratorINS9_7pointerIS5_NS9_11hip_rocprim3tagENS9_11use_defaultESF_EEEENSB_INSC_IlSE_SF_SF_EEEEZNS1_13binary_searchIS3_S6_NSB_INS9_10device_ptrIS5_EEEESH_SJ_NS1_21upper_bound_search_opENSA_16wrapped_functionINS9_7greaterIS5_EEbEEEE10hipError_tPvRmT1_T2_T3_mmT4_T5_P12ihipStream_tbEUlRKS5_E_EEST_SX_SY_mSZ_S12_bEUlT_E_NS1_11comp_targetILNS1_3genE5ELNS1_11target_archE942ELNS1_3gpuE9ELNS1_3repE0EEENS1_30default_config_static_selectorELNS0_4arch9wavefront6targetE0EEEvSW_.has_indirect_call, 0
	.section	.AMDGPU.csdata,"",@progbits
; Kernel info:
; codeLenInByte = 0
; TotalNumSgprs: 0
; NumVgprs: 0
; ScratchSize: 0
; MemoryBound: 0
; FloatMode: 240
; IeeeMode: 1
; LDSByteSize: 0 bytes/workgroup (compile time only)
; SGPRBlocks: 0
; VGPRBlocks: 0
; NumSGPRsForWavesPerEU: 1
; NumVGPRsForWavesPerEU: 1
; NamedBarCnt: 0
; Occupancy: 16
; WaveLimiterHint : 0
; COMPUTE_PGM_RSRC2:SCRATCH_EN: 0
; COMPUTE_PGM_RSRC2:USER_SGPR: 2
; COMPUTE_PGM_RSRC2:TRAP_HANDLER: 0
; COMPUTE_PGM_RSRC2:TGID_X_EN: 1
; COMPUTE_PGM_RSRC2:TGID_Y_EN: 0
; COMPUTE_PGM_RSRC2:TGID_Z_EN: 0
; COMPUTE_PGM_RSRC2:TIDIG_COMP_CNT: 0
	.section	.text._ZN7rocprim17ROCPRIM_400000_NS6detail17trampoline_kernelINS0_14default_configENS1_27upper_bound_config_selectorI14custom_numericlEEZNS1_14transform_implILb0ES3_S6_N6thrust23THRUST_200600_302600_NS6detail15normal_iteratorINS9_7pointerIS5_NS9_11hip_rocprim3tagENS9_11use_defaultESF_EEEENSB_INSC_IlSE_SF_SF_EEEEZNS1_13binary_searchIS3_S6_NSB_INS9_10device_ptrIS5_EEEESH_SJ_NS1_21upper_bound_search_opENSA_16wrapped_functionINS9_7greaterIS5_EEbEEEE10hipError_tPvRmT1_T2_T3_mmT4_T5_P12ihipStream_tbEUlRKS5_E_EEST_SX_SY_mSZ_S12_bEUlT_E_NS1_11comp_targetILNS1_3genE4ELNS1_11target_archE910ELNS1_3gpuE8ELNS1_3repE0EEENS1_30default_config_static_selectorELNS0_4arch9wavefront6targetE0EEEvSW_,"axG",@progbits,_ZN7rocprim17ROCPRIM_400000_NS6detail17trampoline_kernelINS0_14default_configENS1_27upper_bound_config_selectorI14custom_numericlEEZNS1_14transform_implILb0ES3_S6_N6thrust23THRUST_200600_302600_NS6detail15normal_iteratorINS9_7pointerIS5_NS9_11hip_rocprim3tagENS9_11use_defaultESF_EEEENSB_INSC_IlSE_SF_SF_EEEEZNS1_13binary_searchIS3_S6_NSB_INS9_10device_ptrIS5_EEEESH_SJ_NS1_21upper_bound_search_opENSA_16wrapped_functionINS9_7greaterIS5_EEbEEEE10hipError_tPvRmT1_T2_T3_mmT4_T5_P12ihipStream_tbEUlRKS5_E_EEST_SX_SY_mSZ_S12_bEUlT_E_NS1_11comp_targetILNS1_3genE4ELNS1_11target_archE910ELNS1_3gpuE8ELNS1_3repE0EEENS1_30default_config_static_selectorELNS0_4arch9wavefront6targetE0EEEvSW_,comdat
	.protected	_ZN7rocprim17ROCPRIM_400000_NS6detail17trampoline_kernelINS0_14default_configENS1_27upper_bound_config_selectorI14custom_numericlEEZNS1_14transform_implILb0ES3_S6_N6thrust23THRUST_200600_302600_NS6detail15normal_iteratorINS9_7pointerIS5_NS9_11hip_rocprim3tagENS9_11use_defaultESF_EEEENSB_INSC_IlSE_SF_SF_EEEEZNS1_13binary_searchIS3_S6_NSB_INS9_10device_ptrIS5_EEEESH_SJ_NS1_21upper_bound_search_opENSA_16wrapped_functionINS9_7greaterIS5_EEbEEEE10hipError_tPvRmT1_T2_T3_mmT4_T5_P12ihipStream_tbEUlRKS5_E_EEST_SX_SY_mSZ_S12_bEUlT_E_NS1_11comp_targetILNS1_3genE4ELNS1_11target_archE910ELNS1_3gpuE8ELNS1_3repE0EEENS1_30default_config_static_selectorELNS0_4arch9wavefront6targetE0EEEvSW_ ; -- Begin function _ZN7rocprim17ROCPRIM_400000_NS6detail17trampoline_kernelINS0_14default_configENS1_27upper_bound_config_selectorI14custom_numericlEEZNS1_14transform_implILb0ES3_S6_N6thrust23THRUST_200600_302600_NS6detail15normal_iteratorINS9_7pointerIS5_NS9_11hip_rocprim3tagENS9_11use_defaultESF_EEEENSB_INSC_IlSE_SF_SF_EEEEZNS1_13binary_searchIS3_S6_NSB_INS9_10device_ptrIS5_EEEESH_SJ_NS1_21upper_bound_search_opENSA_16wrapped_functionINS9_7greaterIS5_EEbEEEE10hipError_tPvRmT1_T2_T3_mmT4_T5_P12ihipStream_tbEUlRKS5_E_EEST_SX_SY_mSZ_S12_bEUlT_E_NS1_11comp_targetILNS1_3genE4ELNS1_11target_archE910ELNS1_3gpuE8ELNS1_3repE0EEENS1_30default_config_static_selectorELNS0_4arch9wavefront6targetE0EEEvSW_
	.globl	_ZN7rocprim17ROCPRIM_400000_NS6detail17trampoline_kernelINS0_14default_configENS1_27upper_bound_config_selectorI14custom_numericlEEZNS1_14transform_implILb0ES3_S6_N6thrust23THRUST_200600_302600_NS6detail15normal_iteratorINS9_7pointerIS5_NS9_11hip_rocprim3tagENS9_11use_defaultESF_EEEENSB_INSC_IlSE_SF_SF_EEEEZNS1_13binary_searchIS3_S6_NSB_INS9_10device_ptrIS5_EEEESH_SJ_NS1_21upper_bound_search_opENSA_16wrapped_functionINS9_7greaterIS5_EEbEEEE10hipError_tPvRmT1_T2_T3_mmT4_T5_P12ihipStream_tbEUlRKS5_E_EEST_SX_SY_mSZ_S12_bEUlT_E_NS1_11comp_targetILNS1_3genE4ELNS1_11target_archE910ELNS1_3gpuE8ELNS1_3repE0EEENS1_30default_config_static_selectorELNS0_4arch9wavefront6targetE0EEEvSW_
	.p2align	8
	.type	_ZN7rocprim17ROCPRIM_400000_NS6detail17trampoline_kernelINS0_14default_configENS1_27upper_bound_config_selectorI14custom_numericlEEZNS1_14transform_implILb0ES3_S6_N6thrust23THRUST_200600_302600_NS6detail15normal_iteratorINS9_7pointerIS5_NS9_11hip_rocprim3tagENS9_11use_defaultESF_EEEENSB_INSC_IlSE_SF_SF_EEEEZNS1_13binary_searchIS3_S6_NSB_INS9_10device_ptrIS5_EEEESH_SJ_NS1_21upper_bound_search_opENSA_16wrapped_functionINS9_7greaterIS5_EEbEEEE10hipError_tPvRmT1_T2_T3_mmT4_T5_P12ihipStream_tbEUlRKS5_E_EEST_SX_SY_mSZ_S12_bEUlT_E_NS1_11comp_targetILNS1_3genE4ELNS1_11target_archE910ELNS1_3gpuE8ELNS1_3repE0EEENS1_30default_config_static_selectorELNS0_4arch9wavefront6targetE0EEEvSW_,@function
_ZN7rocprim17ROCPRIM_400000_NS6detail17trampoline_kernelINS0_14default_configENS1_27upper_bound_config_selectorI14custom_numericlEEZNS1_14transform_implILb0ES3_S6_N6thrust23THRUST_200600_302600_NS6detail15normal_iteratorINS9_7pointerIS5_NS9_11hip_rocprim3tagENS9_11use_defaultESF_EEEENSB_INSC_IlSE_SF_SF_EEEEZNS1_13binary_searchIS3_S6_NSB_INS9_10device_ptrIS5_EEEESH_SJ_NS1_21upper_bound_search_opENSA_16wrapped_functionINS9_7greaterIS5_EEbEEEE10hipError_tPvRmT1_T2_T3_mmT4_T5_P12ihipStream_tbEUlRKS5_E_EEST_SX_SY_mSZ_S12_bEUlT_E_NS1_11comp_targetILNS1_3genE4ELNS1_11target_archE910ELNS1_3gpuE8ELNS1_3repE0EEENS1_30default_config_static_selectorELNS0_4arch9wavefront6targetE0EEEvSW_: ; @_ZN7rocprim17ROCPRIM_400000_NS6detail17trampoline_kernelINS0_14default_configENS1_27upper_bound_config_selectorI14custom_numericlEEZNS1_14transform_implILb0ES3_S6_N6thrust23THRUST_200600_302600_NS6detail15normal_iteratorINS9_7pointerIS5_NS9_11hip_rocprim3tagENS9_11use_defaultESF_EEEENSB_INSC_IlSE_SF_SF_EEEEZNS1_13binary_searchIS3_S6_NSB_INS9_10device_ptrIS5_EEEESH_SJ_NS1_21upper_bound_search_opENSA_16wrapped_functionINS9_7greaterIS5_EEbEEEE10hipError_tPvRmT1_T2_T3_mmT4_T5_P12ihipStream_tbEUlRKS5_E_EEST_SX_SY_mSZ_S12_bEUlT_E_NS1_11comp_targetILNS1_3genE4ELNS1_11target_archE910ELNS1_3gpuE8ELNS1_3repE0EEENS1_30default_config_static_selectorELNS0_4arch9wavefront6targetE0EEEvSW_
; %bb.0:
	.section	.rodata,"a",@progbits
	.p2align	6, 0x0
	.amdhsa_kernel _ZN7rocprim17ROCPRIM_400000_NS6detail17trampoline_kernelINS0_14default_configENS1_27upper_bound_config_selectorI14custom_numericlEEZNS1_14transform_implILb0ES3_S6_N6thrust23THRUST_200600_302600_NS6detail15normal_iteratorINS9_7pointerIS5_NS9_11hip_rocprim3tagENS9_11use_defaultESF_EEEENSB_INSC_IlSE_SF_SF_EEEEZNS1_13binary_searchIS3_S6_NSB_INS9_10device_ptrIS5_EEEESH_SJ_NS1_21upper_bound_search_opENSA_16wrapped_functionINS9_7greaterIS5_EEbEEEE10hipError_tPvRmT1_T2_T3_mmT4_T5_P12ihipStream_tbEUlRKS5_E_EEST_SX_SY_mSZ_S12_bEUlT_E_NS1_11comp_targetILNS1_3genE4ELNS1_11target_archE910ELNS1_3gpuE8ELNS1_3repE0EEENS1_30default_config_static_selectorELNS0_4arch9wavefront6targetE0EEEvSW_
		.amdhsa_group_segment_fixed_size 0
		.amdhsa_private_segment_fixed_size 0
		.amdhsa_kernarg_size 56
		.amdhsa_user_sgpr_count 2
		.amdhsa_user_sgpr_dispatch_ptr 0
		.amdhsa_user_sgpr_queue_ptr 0
		.amdhsa_user_sgpr_kernarg_segment_ptr 1
		.amdhsa_user_sgpr_dispatch_id 0
		.amdhsa_user_sgpr_kernarg_preload_length 0
		.amdhsa_user_sgpr_kernarg_preload_offset 0
		.amdhsa_user_sgpr_private_segment_size 0
		.amdhsa_wavefront_size32 1
		.amdhsa_uses_dynamic_stack 0
		.amdhsa_enable_private_segment 0
		.amdhsa_system_sgpr_workgroup_id_x 1
		.amdhsa_system_sgpr_workgroup_id_y 0
		.amdhsa_system_sgpr_workgroup_id_z 0
		.amdhsa_system_sgpr_workgroup_info 0
		.amdhsa_system_vgpr_workitem_id 0
		.amdhsa_next_free_vgpr 1
		.amdhsa_next_free_sgpr 1
		.amdhsa_named_barrier_count 0
		.amdhsa_reserve_vcc 0
		.amdhsa_float_round_mode_32 0
		.amdhsa_float_round_mode_16_64 0
		.amdhsa_float_denorm_mode_32 3
		.amdhsa_float_denorm_mode_16_64 3
		.amdhsa_fp16_overflow 0
		.amdhsa_memory_ordered 1
		.amdhsa_forward_progress 1
		.amdhsa_inst_pref_size 0
		.amdhsa_round_robin_scheduling 0
		.amdhsa_exception_fp_ieee_invalid_op 0
		.amdhsa_exception_fp_denorm_src 0
		.amdhsa_exception_fp_ieee_div_zero 0
		.amdhsa_exception_fp_ieee_overflow 0
		.amdhsa_exception_fp_ieee_underflow 0
		.amdhsa_exception_fp_ieee_inexact 0
		.amdhsa_exception_int_div_zero 0
	.end_amdhsa_kernel
	.section	.text._ZN7rocprim17ROCPRIM_400000_NS6detail17trampoline_kernelINS0_14default_configENS1_27upper_bound_config_selectorI14custom_numericlEEZNS1_14transform_implILb0ES3_S6_N6thrust23THRUST_200600_302600_NS6detail15normal_iteratorINS9_7pointerIS5_NS9_11hip_rocprim3tagENS9_11use_defaultESF_EEEENSB_INSC_IlSE_SF_SF_EEEEZNS1_13binary_searchIS3_S6_NSB_INS9_10device_ptrIS5_EEEESH_SJ_NS1_21upper_bound_search_opENSA_16wrapped_functionINS9_7greaterIS5_EEbEEEE10hipError_tPvRmT1_T2_T3_mmT4_T5_P12ihipStream_tbEUlRKS5_E_EEST_SX_SY_mSZ_S12_bEUlT_E_NS1_11comp_targetILNS1_3genE4ELNS1_11target_archE910ELNS1_3gpuE8ELNS1_3repE0EEENS1_30default_config_static_selectorELNS0_4arch9wavefront6targetE0EEEvSW_,"axG",@progbits,_ZN7rocprim17ROCPRIM_400000_NS6detail17trampoline_kernelINS0_14default_configENS1_27upper_bound_config_selectorI14custom_numericlEEZNS1_14transform_implILb0ES3_S6_N6thrust23THRUST_200600_302600_NS6detail15normal_iteratorINS9_7pointerIS5_NS9_11hip_rocprim3tagENS9_11use_defaultESF_EEEENSB_INSC_IlSE_SF_SF_EEEEZNS1_13binary_searchIS3_S6_NSB_INS9_10device_ptrIS5_EEEESH_SJ_NS1_21upper_bound_search_opENSA_16wrapped_functionINS9_7greaterIS5_EEbEEEE10hipError_tPvRmT1_T2_T3_mmT4_T5_P12ihipStream_tbEUlRKS5_E_EEST_SX_SY_mSZ_S12_bEUlT_E_NS1_11comp_targetILNS1_3genE4ELNS1_11target_archE910ELNS1_3gpuE8ELNS1_3repE0EEENS1_30default_config_static_selectorELNS0_4arch9wavefront6targetE0EEEvSW_,comdat
.Lfunc_end115:
	.size	_ZN7rocprim17ROCPRIM_400000_NS6detail17trampoline_kernelINS0_14default_configENS1_27upper_bound_config_selectorI14custom_numericlEEZNS1_14transform_implILb0ES3_S6_N6thrust23THRUST_200600_302600_NS6detail15normal_iteratorINS9_7pointerIS5_NS9_11hip_rocprim3tagENS9_11use_defaultESF_EEEENSB_INSC_IlSE_SF_SF_EEEEZNS1_13binary_searchIS3_S6_NSB_INS9_10device_ptrIS5_EEEESH_SJ_NS1_21upper_bound_search_opENSA_16wrapped_functionINS9_7greaterIS5_EEbEEEE10hipError_tPvRmT1_T2_T3_mmT4_T5_P12ihipStream_tbEUlRKS5_E_EEST_SX_SY_mSZ_S12_bEUlT_E_NS1_11comp_targetILNS1_3genE4ELNS1_11target_archE910ELNS1_3gpuE8ELNS1_3repE0EEENS1_30default_config_static_selectorELNS0_4arch9wavefront6targetE0EEEvSW_, .Lfunc_end115-_ZN7rocprim17ROCPRIM_400000_NS6detail17trampoline_kernelINS0_14default_configENS1_27upper_bound_config_selectorI14custom_numericlEEZNS1_14transform_implILb0ES3_S6_N6thrust23THRUST_200600_302600_NS6detail15normal_iteratorINS9_7pointerIS5_NS9_11hip_rocprim3tagENS9_11use_defaultESF_EEEENSB_INSC_IlSE_SF_SF_EEEEZNS1_13binary_searchIS3_S6_NSB_INS9_10device_ptrIS5_EEEESH_SJ_NS1_21upper_bound_search_opENSA_16wrapped_functionINS9_7greaterIS5_EEbEEEE10hipError_tPvRmT1_T2_T3_mmT4_T5_P12ihipStream_tbEUlRKS5_E_EEST_SX_SY_mSZ_S12_bEUlT_E_NS1_11comp_targetILNS1_3genE4ELNS1_11target_archE910ELNS1_3gpuE8ELNS1_3repE0EEENS1_30default_config_static_selectorELNS0_4arch9wavefront6targetE0EEEvSW_
                                        ; -- End function
	.set _ZN7rocprim17ROCPRIM_400000_NS6detail17trampoline_kernelINS0_14default_configENS1_27upper_bound_config_selectorI14custom_numericlEEZNS1_14transform_implILb0ES3_S6_N6thrust23THRUST_200600_302600_NS6detail15normal_iteratorINS9_7pointerIS5_NS9_11hip_rocprim3tagENS9_11use_defaultESF_EEEENSB_INSC_IlSE_SF_SF_EEEEZNS1_13binary_searchIS3_S6_NSB_INS9_10device_ptrIS5_EEEESH_SJ_NS1_21upper_bound_search_opENSA_16wrapped_functionINS9_7greaterIS5_EEbEEEE10hipError_tPvRmT1_T2_T3_mmT4_T5_P12ihipStream_tbEUlRKS5_E_EEST_SX_SY_mSZ_S12_bEUlT_E_NS1_11comp_targetILNS1_3genE4ELNS1_11target_archE910ELNS1_3gpuE8ELNS1_3repE0EEENS1_30default_config_static_selectorELNS0_4arch9wavefront6targetE0EEEvSW_.num_vgpr, 0
	.set _ZN7rocprim17ROCPRIM_400000_NS6detail17trampoline_kernelINS0_14default_configENS1_27upper_bound_config_selectorI14custom_numericlEEZNS1_14transform_implILb0ES3_S6_N6thrust23THRUST_200600_302600_NS6detail15normal_iteratorINS9_7pointerIS5_NS9_11hip_rocprim3tagENS9_11use_defaultESF_EEEENSB_INSC_IlSE_SF_SF_EEEEZNS1_13binary_searchIS3_S6_NSB_INS9_10device_ptrIS5_EEEESH_SJ_NS1_21upper_bound_search_opENSA_16wrapped_functionINS9_7greaterIS5_EEbEEEE10hipError_tPvRmT1_T2_T3_mmT4_T5_P12ihipStream_tbEUlRKS5_E_EEST_SX_SY_mSZ_S12_bEUlT_E_NS1_11comp_targetILNS1_3genE4ELNS1_11target_archE910ELNS1_3gpuE8ELNS1_3repE0EEENS1_30default_config_static_selectorELNS0_4arch9wavefront6targetE0EEEvSW_.num_agpr, 0
	.set _ZN7rocprim17ROCPRIM_400000_NS6detail17trampoline_kernelINS0_14default_configENS1_27upper_bound_config_selectorI14custom_numericlEEZNS1_14transform_implILb0ES3_S6_N6thrust23THRUST_200600_302600_NS6detail15normal_iteratorINS9_7pointerIS5_NS9_11hip_rocprim3tagENS9_11use_defaultESF_EEEENSB_INSC_IlSE_SF_SF_EEEEZNS1_13binary_searchIS3_S6_NSB_INS9_10device_ptrIS5_EEEESH_SJ_NS1_21upper_bound_search_opENSA_16wrapped_functionINS9_7greaterIS5_EEbEEEE10hipError_tPvRmT1_T2_T3_mmT4_T5_P12ihipStream_tbEUlRKS5_E_EEST_SX_SY_mSZ_S12_bEUlT_E_NS1_11comp_targetILNS1_3genE4ELNS1_11target_archE910ELNS1_3gpuE8ELNS1_3repE0EEENS1_30default_config_static_selectorELNS0_4arch9wavefront6targetE0EEEvSW_.numbered_sgpr, 0
	.set _ZN7rocprim17ROCPRIM_400000_NS6detail17trampoline_kernelINS0_14default_configENS1_27upper_bound_config_selectorI14custom_numericlEEZNS1_14transform_implILb0ES3_S6_N6thrust23THRUST_200600_302600_NS6detail15normal_iteratorINS9_7pointerIS5_NS9_11hip_rocprim3tagENS9_11use_defaultESF_EEEENSB_INSC_IlSE_SF_SF_EEEEZNS1_13binary_searchIS3_S6_NSB_INS9_10device_ptrIS5_EEEESH_SJ_NS1_21upper_bound_search_opENSA_16wrapped_functionINS9_7greaterIS5_EEbEEEE10hipError_tPvRmT1_T2_T3_mmT4_T5_P12ihipStream_tbEUlRKS5_E_EEST_SX_SY_mSZ_S12_bEUlT_E_NS1_11comp_targetILNS1_3genE4ELNS1_11target_archE910ELNS1_3gpuE8ELNS1_3repE0EEENS1_30default_config_static_selectorELNS0_4arch9wavefront6targetE0EEEvSW_.num_named_barrier, 0
	.set _ZN7rocprim17ROCPRIM_400000_NS6detail17trampoline_kernelINS0_14default_configENS1_27upper_bound_config_selectorI14custom_numericlEEZNS1_14transform_implILb0ES3_S6_N6thrust23THRUST_200600_302600_NS6detail15normal_iteratorINS9_7pointerIS5_NS9_11hip_rocprim3tagENS9_11use_defaultESF_EEEENSB_INSC_IlSE_SF_SF_EEEEZNS1_13binary_searchIS3_S6_NSB_INS9_10device_ptrIS5_EEEESH_SJ_NS1_21upper_bound_search_opENSA_16wrapped_functionINS9_7greaterIS5_EEbEEEE10hipError_tPvRmT1_T2_T3_mmT4_T5_P12ihipStream_tbEUlRKS5_E_EEST_SX_SY_mSZ_S12_bEUlT_E_NS1_11comp_targetILNS1_3genE4ELNS1_11target_archE910ELNS1_3gpuE8ELNS1_3repE0EEENS1_30default_config_static_selectorELNS0_4arch9wavefront6targetE0EEEvSW_.private_seg_size, 0
	.set _ZN7rocprim17ROCPRIM_400000_NS6detail17trampoline_kernelINS0_14default_configENS1_27upper_bound_config_selectorI14custom_numericlEEZNS1_14transform_implILb0ES3_S6_N6thrust23THRUST_200600_302600_NS6detail15normal_iteratorINS9_7pointerIS5_NS9_11hip_rocprim3tagENS9_11use_defaultESF_EEEENSB_INSC_IlSE_SF_SF_EEEEZNS1_13binary_searchIS3_S6_NSB_INS9_10device_ptrIS5_EEEESH_SJ_NS1_21upper_bound_search_opENSA_16wrapped_functionINS9_7greaterIS5_EEbEEEE10hipError_tPvRmT1_T2_T3_mmT4_T5_P12ihipStream_tbEUlRKS5_E_EEST_SX_SY_mSZ_S12_bEUlT_E_NS1_11comp_targetILNS1_3genE4ELNS1_11target_archE910ELNS1_3gpuE8ELNS1_3repE0EEENS1_30default_config_static_selectorELNS0_4arch9wavefront6targetE0EEEvSW_.uses_vcc, 0
	.set _ZN7rocprim17ROCPRIM_400000_NS6detail17trampoline_kernelINS0_14default_configENS1_27upper_bound_config_selectorI14custom_numericlEEZNS1_14transform_implILb0ES3_S6_N6thrust23THRUST_200600_302600_NS6detail15normal_iteratorINS9_7pointerIS5_NS9_11hip_rocprim3tagENS9_11use_defaultESF_EEEENSB_INSC_IlSE_SF_SF_EEEEZNS1_13binary_searchIS3_S6_NSB_INS9_10device_ptrIS5_EEEESH_SJ_NS1_21upper_bound_search_opENSA_16wrapped_functionINS9_7greaterIS5_EEbEEEE10hipError_tPvRmT1_T2_T3_mmT4_T5_P12ihipStream_tbEUlRKS5_E_EEST_SX_SY_mSZ_S12_bEUlT_E_NS1_11comp_targetILNS1_3genE4ELNS1_11target_archE910ELNS1_3gpuE8ELNS1_3repE0EEENS1_30default_config_static_selectorELNS0_4arch9wavefront6targetE0EEEvSW_.uses_flat_scratch, 0
	.set _ZN7rocprim17ROCPRIM_400000_NS6detail17trampoline_kernelINS0_14default_configENS1_27upper_bound_config_selectorI14custom_numericlEEZNS1_14transform_implILb0ES3_S6_N6thrust23THRUST_200600_302600_NS6detail15normal_iteratorINS9_7pointerIS5_NS9_11hip_rocprim3tagENS9_11use_defaultESF_EEEENSB_INSC_IlSE_SF_SF_EEEEZNS1_13binary_searchIS3_S6_NSB_INS9_10device_ptrIS5_EEEESH_SJ_NS1_21upper_bound_search_opENSA_16wrapped_functionINS9_7greaterIS5_EEbEEEE10hipError_tPvRmT1_T2_T3_mmT4_T5_P12ihipStream_tbEUlRKS5_E_EEST_SX_SY_mSZ_S12_bEUlT_E_NS1_11comp_targetILNS1_3genE4ELNS1_11target_archE910ELNS1_3gpuE8ELNS1_3repE0EEENS1_30default_config_static_selectorELNS0_4arch9wavefront6targetE0EEEvSW_.has_dyn_sized_stack, 0
	.set _ZN7rocprim17ROCPRIM_400000_NS6detail17trampoline_kernelINS0_14default_configENS1_27upper_bound_config_selectorI14custom_numericlEEZNS1_14transform_implILb0ES3_S6_N6thrust23THRUST_200600_302600_NS6detail15normal_iteratorINS9_7pointerIS5_NS9_11hip_rocprim3tagENS9_11use_defaultESF_EEEENSB_INSC_IlSE_SF_SF_EEEEZNS1_13binary_searchIS3_S6_NSB_INS9_10device_ptrIS5_EEEESH_SJ_NS1_21upper_bound_search_opENSA_16wrapped_functionINS9_7greaterIS5_EEbEEEE10hipError_tPvRmT1_T2_T3_mmT4_T5_P12ihipStream_tbEUlRKS5_E_EEST_SX_SY_mSZ_S12_bEUlT_E_NS1_11comp_targetILNS1_3genE4ELNS1_11target_archE910ELNS1_3gpuE8ELNS1_3repE0EEENS1_30default_config_static_selectorELNS0_4arch9wavefront6targetE0EEEvSW_.has_recursion, 0
	.set _ZN7rocprim17ROCPRIM_400000_NS6detail17trampoline_kernelINS0_14default_configENS1_27upper_bound_config_selectorI14custom_numericlEEZNS1_14transform_implILb0ES3_S6_N6thrust23THRUST_200600_302600_NS6detail15normal_iteratorINS9_7pointerIS5_NS9_11hip_rocprim3tagENS9_11use_defaultESF_EEEENSB_INSC_IlSE_SF_SF_EEEEZNS1_13binary_searchIS3_S6_NSB_INS9_10device_ptrIS5_EEEESH_SJ_NS1_21upper_bound_search_opENSA_16wrapped_functionINS9_7greaterIS5_EEbEEEE10hipError_tPvRmT1_T2_T3_mmT4_T5_P12ihipStream_tbEUlRKS5_E_EEST_SX_SY_mSZ_S12_bEUlT_E_NS1_11comp_targetILNS1_3genE4ELNS1_11target_archE910ELNS1_3gpuE8ELNS1_3repE0EEENS1_30default_config_static_selectorELNS0_4arch9wavefront6targetE0EEEvSW_.has_indirect_call, 0
	.section	.AMDGPU.csdata,"",@progbits
; Kernel info:
; codeLenInByte = 0
; TotalNumSgprs: 0
; NumVgprs: 0
; ScratchSize: 0
; MemoryBound: 0
; FloatMode: 240
; IeeeMode: 1
; LDSByteSize: 0 bytes/workgroup (compile time only)
; SGPRBlocks: 0
; VGPRBlocks: 0
; NumSGPRsForWavesPerEU: 1
; NumVGPRsForWavesPerEU: 1
; NamedBarCnt: 0
; Occupancy: 16
; WaveLimiterHint : 0
; COMPUTE_PGM_RSRC2:SCRATCH_EN: 0
; COMPUTE_PGM_RSRC2:USER_SGPR: 2
; COMPUTE_PGM_RSRC2:TRAP_HANDLER: 0
; COMPUTE_PGM_RSRC2:TGID_X_EN: 1
; COMPUTE_PGM_RSRC2:TGID_Y_EN: 0
; COMPUTE_PGM_RSRC2:TGID_Z_EN: 0
; COMPUTE_PGM_RSRC2:TIDIG_COMP_CNT: 0
	.section	.text._ZN7rocprim17ROCPRIM_400000_NS6detail17trampoline_kernelINS0_14default_configENS1_27upper_bound_config_selectorI14custom_numericlEEZNS1_14transform_implILb0ES3_S6_N6thrust23THRUST_200600_302600_NS6detail15normal_iteratorINS9_7pointerIS5_NS9_11hip_rocprim3tagENS9_11use_defaultESF_EEEENSB_INSC_IlSE_SF_SF_EEEEZNS1_13binary_searchIS3_S6_NSB_INS9_10device_ptrIS5_EEEESH_SJ_NS1_21upper_bound_search_opENSA_16wrapped_functionINS9_7greaterIS5_EEbEEEE10hipError_tPvRmT1_T2_T3_mmT4_T5_P12ihipStream_tbEUlRKS5_E_EEST_SX_SY_mSZ_S12_bEUlT_E_NS1_11comp_targetILNS1_3genE3ELNS1_11target_archE908ELNS1_3gpuE7ELNS1_3repE0EEENS1_30default_config_static_selectorELNS0_4arch9wavefront6targetE0EEEvSW_,"axG",@progbits,_ZN7rocprim17ROCPRIM_400000_NS6detail17trampoline_kernelINS0_14default_configENS1_27upper_bound_config_selectorI14custom_numericlEEZNS1_14transform_implILb0ES3_S6_N6thrust23THRUST_200600_302600_NS6detail15normal_iteratorINS9_7pointerIS5_NS9_11hip_rocprim3tagENS9_11use_defaultESF_EEEENSB_INSC_IlSE_SF_SF_EEEEZNS1_13binary_searchIS3_S6_NSB_INS9_10device_ptrIS5_EEEESH_SJ_NS1_21upper_bound_search_opENSA_16wrapped_functionINS9_7greaterIS5_EEbEEEE10hipError_tPvRmT1_T2_T3_mmT4_T5_P12ihipStream_tbEUlRKS5_E_EEST_SX_SY_mSZ_S12_bEUlT_E_NS1_11comp_targetILNS1_3genE3ELNS1_11target_archE908ELNS1_3gpuE7ELNS1_3repE0EEENS1_30default_config_static_selectorELNS0_4arch9wavefront6targetE0EEEvSW_,comdat
	.protected	_ZN7rocprim17ROCPRIM_400000_NS6detail17trampoline_kernelINS0_14default_configENS1_27upper_bound_config_selectorI14custom_numericlEEZNS1_14transform_implILb0ES3_S6_N6thrust23THRUST_200600_302600_NS6detail15normal_iteratorINS9_7pointerIS5_NS9_11hip_rocprim3tagENS9_11use_defaultESF_EEEENSB_INSC_IlSE_SF_SF_EEEEZNS1_13binary_searchIS3_S6_NSB_INS9_10device_ptrIS5_EEEESH_SJ_NS1_21upper_bound_search_opENSA_16wrapped_functionINS9_7greaterIS5_EEbEEEE10hipError_tPvRmT1_T2_T3_mmT4_T5_P12ihipStream_tbEUlRKS5_E_EEST_SX_SY_mSZ_S12_bEUlT_E_NS1_11comp_targetILNS1_3genE3ELNS1_11target_archE908ELNS1_3gpuE7ELNS1_3repE0EEENS1_30default_config_static_selectorELNS0_4arch9wavefront6targetE0EEEvSW_ ; -- Begin function _ZN7rocprim17ROCPRIM_400000_NS6detail17trampoline_kernelINS0_14default_configENS1_27upper_bound_config_selectorI14custom_numericlEEZNS1_14transform_implILb0ES3_S6_N6thrust23THRUST_200600_302600_NS6detail15normal_iteratorINS9_7pointerIS5_NS9_11hip_rocprim3tagENS9_11use_defaultESF_EEEENSB_INSC_IlSE_SF_SF_EEEEZNS1_13binary_searchIS3_S6_NSB_INS9_10device_ptrIS5_EEEESH_SJ_NS1_21upper_bound_search_opENSA_16wrapped_functionINS9_7greaterIS5_EEbEEEE10hipError_tPvRmT1_T2_T3_mmT4_T5_P12ihipStream_tbEUlRKS5_E_EEST_SX_SY_mSZ_S12_bEUlT_E_NS1_11comp_targetILNS1_3genE3ELNS1_11target_archE908ELNS1_3gpuE7ELNS1_3repE0EEENS1_30default_config_static_selectorELNS0_4arch9wavefront6targetE0EEEvSW_
	.globl	_ZN7rocprim17ROCPRIM_400000_NS6detail17trampoline_kernelINS0_14default_configENS1_27upper_bound_config_selectorI14custom_numericlEEZNS1_14transform_implILb0ES3_S6_N6thrust23THRUST_200600_302600_NS6detail15normal_iteratorINS9_7pointerIS5_NS9_11hip_rocprim3tagENS9_11use_defaultESF_EEEENSB_INSC_IlSE_SF_SF_EEEEZNS1_13binary_searchIS3_S6_NSB_INS9_10device_ptrIS5_EEEESH_SJ_NS1_21upper_bound_search_opENSA_16wrapped_functionINS9_7greaterIS5_EEbEEEE10hipError_tPvRmT1_T2_T3_mmT4_T5_P12ihipStream_tbEUlRKS5_E_EEST_SX_SY_mSZ_S12_bEUlT_E_NS1_11comp_targetILNS1_3genE3ELNS1_11target_archE908ELNS1_3gpuE7ELNS1_3repE0EEENS1_30default_config_static_selectorELNS0_4arch9wavefront6targetE0EEEvSW_
	.p2align	8
	.type	_ZN7rocprim17ROCPRIM_400000_NS6detail17trampoline_kernelINS0_14default_configENS1_27upper_bound_config_selectorI14custom_numericlEEZNS1_14transform_implILb0ES3_S6_N6thrust23THRUST_200600_302600_NS6detail15normal_iteratorINS9_7pointerIS5_NS9_11hip_rocprim3tagENS9_11use_defaultESF_EEEENSB_INSC_IlSE_SF_SF_EEEEZNS1_13binary_searchIS3_S6_NSB_INS9_10device_ptrIS5_EEEESH_SJ_NS1_21upper_bound_search_opENSA_16wrapped_functionINS9_7greaterIS5_EEbEEEE10hipError_tPvRmT1_T2_T3_mmT4_T5_P12ihipStream_tbEUlRKS5_E_EEST_SX_SY_mSZ_S12_bEUlT_E_NS1_11comp_targetILNS1_3genE3ELNS1_11target_archE908ELNS1_3gpuE7ELNS1_3repE0EEENS1_30default_config_static_selectorELNS0_4arch9wavefront6targetE0EEEvSW_,@function
_ZN7rocprim17ROCPRIM_400000_NS6detail17trampoline_kernelINS0_14default_configENS1_27upper_bound_config_selectorI14custom_numericlEEZNS1_14transform_implILb0ES3_S6_N6thrust23THRUST_200600_302600_NS6detail15normal_iteratorINS9_7pointerIS5_NS9_11hip_rocprim3tagENS9_11use_defaultESF_EEEENSB_INSC_IlSE_SF_SF_EEEEZNS1_13binary_searchIS3_S6_NSB_INS9_10device_ptrIS5_EEEESH_SJ_NS1_21upper_bound_search_opENSA_16wrapped_functionINS9_7greaterIS5_EEbEEEE10hipError_tPvRmT1_T2_T3_mmT4_T5_P12ihipStream_tbEUlRKS5_E_EEST_SX_SY_mSZ_S12_bEUlT_E_NS1_11comp_targetILNS1_3genE3ELNS1_11target_archE908ELNS1_3gpuE7ELNS1_3repE0EEENS1_30default_config_static_selectorELNS0_4arch9wavefront6targetE0EEEvSW_: ; @_ZN7rocprim17ROCPRIM_400000_NS6detail17trampoline_kernelINS0_14default_configENS1_27upper_bound_config_selectorI14custom_numericlEEZNS1_14transform_implILb0ES3_S6_N6thrust23THRUST_200600_302600_NS6detail15normal_iteratorINS9_7pointerIS5_NS9_11hip_rocprim3tagENS9_11use_defaultESF_EEEENSB_INSC_IlSE_SF_SF_EEEEZNS1_13binary_searchIS3_S6_NSB_INS9_10device_ptrIS5_EEEESH_SJ_NS1_21upper_bound_search_opENSA_16wrapped_functionINS9_7greaterIS5_EEbEEEE10hipError_tPvRmT1_T2_T3_mmT4_T5_P12ihipStream_tbEUlRKS5_E_EEST_SX_SY_mSZ_S12_bEUlT_E_NS1_11comp_targetILNS1_3genE3ELNS1_11target_archE908ELNS1_3gpuE7ELNS1_3repE0EEENS1_30default_config_static_selectorELNS0_4arch9wavefront6targetE0EEEvSW_
; %bb.0:
	.section	.rodata,"a",@progbits
	.p2align	6, 0x0
	.amdhsa_kernel _ZN7rocprim17ROCPRIM_400000_NS6detail17trampoline_kernelINS0_14default_configENS1_27upper_bound_config_selectorI14custom_numericlEEZNS1_14transform_implILb0ES3_S6_N6thrust23THRUST_200600_302600_NS6detail15normal_iteratorINS9_7pointerIS5_NS9_11hip_rocprim3tagENS9_11use_defaultESF_EEEENSB_INSC_IlSE_SF_SF_EEEEZNS1_13binary_searchIS3_S6_NSB_INS9_10device_ptrIS5_EEEESH_SJ_NS1_21upper_bound_search_opENSA_16wrapped_functionINS9_7greaterIS5_EEbEEEE10hipError_tPvRmT1_T2_T3_mmT4_T5_P12ihipStream_tbEUlRKS5_E_EEST_SX_SY_mSZ_S12_bEUlT_E_NS1_11comp_targetILNS1_3genE3ELNS1_11target_archE908ELNS1_3gpuE7ELNS1_3repE0EEENS1_30default_config_static_selectorELNS0_4arch9wavefront6targetE0EEEvSW_
		.amdhsa_group_segment_fixed_size 0
		.amdhsa_private_segment_fixed_size 0
		.amdhsa_kernarg_size 56
		.amdhsa_user_sgpr_count 2
		.amdhsa_user_sgpr_dispatch_ptr 0
		.amdhsa_user_sgpr_queue_ptr 0
		.amdhsa_user_sgpr_kernarg_segment_ptr 1
		.amdhsa_user_sgpr_dispatch_id 0
		.amdhsa_user_sgpr_kernarg_preload_length 0
		.amdhsa_user_sgpr_kernarg_preload_offset 0
		.amdhsa_user_sgpr_private_segment_size 0
		.amdhsa_wavefront_size32 1
		.amdhsa_uses_dynamic_stack 0
		.amdhsa_enable_private_segment 0
		.amdhsa_system_sgpr_workgroup_id_x 1
		.amdhsa_system_sgpr_workgroup_id_y 0
		.amdhsa_system_sgpr_workgroup_id_z 0
		.amdhsa_system_sgpr_workgroup_info 0
		.amdhsa_system_vgpr_workitem_id 0
		.amdhsa_next_free_vgpr 1
		.amdhsa_next_free_sgpr 1
		.amdhsa_named_barrier_count 0
		.amdhsa_reserve_vcc 0
		.amdhsa_float_round_mode_32 0
		.amdhsa_float_round_mode_16_64 0
		.amdhsa_float_denorm_mode_32 3
		.amdhsa_float_denorm_mode_16_64 3
		.amdhsa_fp16_overflow 0
		.amdhsa_memory_ordered 1
		.amdhsa_forward_progress 1
		.amdhsa_inst_pref_size 0
		.amdhsa_round_robin_scheduling 0
		.amdhsa_exception_fp_ieee_invalid_op 0
		.amdhsa_exception_fp_denorm_src 0
		.amdhsa_exception_fp_ieee_div_zero 0
		.amdhsa_exception_fp_ieee_overflow 0
		.amdhsa_exception_fp_ieee_underflow 0
		.amdhsa_exception_fp_ieee_inexact 0
		.amdhsa_exception_int_div_zero 0
	.end_amdhsa_kernel
	.section	.text._ZN7rocprim17ROCPRIM_400000_NS6detail17trampoline_kernelINS0_14default_configENS1_27upper_bound_config_selectorI14custom_numericlEEZNS1_14transform_implILb0ES3_S6_N6thrust23THRUST_200600_302600_NS6detail15normal_iteratorINS9_7pointerIS5_NS9_11hip_rocprim3tagENS9_11use_defaultESF_EEEENSB_INSC_IlSE_SF_SF_EEEEZNS1_13binary_searchIS3_S6_NSB_INS9_10device_ptrIS5_EEEESH_SJ_NS1_21upper_bound_search_opENSA_16wrapped_functionINS9_7greaterIS5_EEbEEEE10hipError_tPvRmT1_T2_T3_mmT4_T5_P12ihipStream_tbEUlRKS5_E_EEST_SX_SY_mSZ_S12_bEUlT_E_NS1_11comp_targetILNS1_3genE3ELNS1_11target_archE908ELNS1_3gpuE7ELNS1_3repE0EEENS1_30default_config_static_selectorELNS0_4arch9wavefront6targetE0EEEvSW_,"axG",@progbits,_ZN7rocprim17ROCPRIM_400000_NS6detail17trampoline_kernelINS0_14default_configENS1_27upper_bound_config_selectorI14custom_numericlEEZNS1_14transform_implILb0ES3_S6_N6thrust23THRUST_200600_302600_NS6detail15normal_iteratorINS9_7pointerIS5_NS9_11hip_rocprim3tagENS9_11use_defaultESF_EEEENSB_INSC_IlSE_SF_SF_EEEEZNS1_13binary_searchIS3_S6_NSB_INS9_10device_ptrIS5_EEEESH_SJ_NS1_21upper_bound_search_opENSA_16wrapped_functionINS9_7greaterIS5_EEbEEEE10hipError_tPvRmT1_T2_T3_mmT4_T5_P12ihipStream_tbEUlRKS5_E_EEST_SX_SY_mSZ_S12_bEUlT_E_NS1_11comp_targetILNS1_3genE3ELNS1_11target_archE908ELNS1_3gpuE7ELNS1_3repE0EEENS1_30default_config_static_selectorELNS0_4arch9wavefront6targetE0EEEvSW_,comdat
.Lfunc_end116:
	.size	_ZN7rocprim17ROCPRIM_400000_NS6detail17trampoline_kernelINS0_14default_configENS1_27upper_bound_config_selectorI14custom_numericlEEZNS1_14transform_implILb0ES3_S6_N6thrust23THRUST_200600_302600_NS6detail15normal_iteratorINS9_7pointerIS5_NS9_11hip_rocprim3tagENS9_11use_defaultESF_EEEENSB_INSC_IlSE_SF_SF_EEEEZNS1_13binary_searchIS3_S6_NSB_INS9_10device_ptrIS5_EEEESH_SJ_NS1_21upper_bound_search_opENSA_16wrapped_functionINS9_7greaterIS5_EEbEEEE10hipError_tPvRmT1_T2_T3_mmT4_T5_P12ihipStream_tbEUlRKS5_E_EEST_SX_SY_mSZ_S12_bEUlT_E_NS1_11comp_targetILNS1_3genE3ELNS1_11target_archE908ELNS1_3gpuE7ELNS1_3repE0EEENS1_30default_config_static_selectorELNS0_4arch9wavefront6targetE0EEEvSW_, .Lfunc_end116-_ZN7rocprim17ROCPRIM_400000_NS6detail17trampoline_kernelINS0_14default_configENS1_27upper_bound_config_selectorI14custom_numericlEEZNS1_14transform_implILb0ES3_S6_N6thrust23THRUST_200600_302600_NS6detail15normal_iteratorINS9_7pointerIS5_NS9_11hip_rocprim3tagENS9_11use_defaultESF_EEEENSB_INSC_IlSE_SF_SF_EEEEZNS1_13binary_searchIS3_S6_NSB_INS9_10device_ptrIS5_EEEESH_SJ_NS1_21upper_bound_search_opENSA_16wrapped_functionINS9_7greaterIS5_EEbEEEE10hipError_tPvRmT1_T2_T3_mmT4_T5_P12ihipStream_tbEUlRKS5_E_EEST_SX_SY_mSZ_S12_bEUlT_E_NS1_11comp_targetILNS1_3genE3ELNS1_11target_archE908ELNS1_3gpuE7ELNS1_3repE0EEENS1_30default_config_static_selectorELNS0_4arch9wavefront6targetE0EEEvSW_
                                        ; -- End function
	.set _ZN7rocprim17ROCPRIM_400000_NS6detail17trampoline_kernelINS0_14default_configENS1_27upper_bound_config_selectorI14custom_numericlEEZNS1_14transform_implILb0ES3_S6_N6thrust23THRUST_200600_302600_NS6detail15normal_iteratorINS9_7pointerIS5_NS9_11hip_rocprim3tagENS9_11use_defaultESF_EEEENSB_INSC_IlSE_SF_SF_EEEEZNS1_13binary_searchIS3_S6_NSB_INS9_10device_ptrIS5_EEEESH_SJ_NS1_21upper_bound_search_opENSA_16wrapped_functionINS9_7greaterIS5_EEbEEEE10hipError_tPvRmT1_T2_T3_mmT4_T5_P12ihipStream_tbEUlRKS5_E_EEST_SX_SY_mSZ_S12_bEUlT_E_NS1_11comp_targetILNS1_3genE3ELNS1_11target_archE908ELNS1_3gpuE7ELNS1_3repE0EEENS1_30default_config_static_selectorELNS0_4arch9wavefront6targetE0EEEvSW_.num_vgpr, 0
	.set _ZN7rocprim17ROCPRIM_400000_NS6detail17trampoline_kernelINS0_14default_configENS1_27upper_bound_config_selectorI14custom_numericlEEZNS1_14transform_implILb0ES3_S6_N6thrust23THRUST_200600_302600_NS6detail15normal_iteratorINS9_7pointerIS5_NS9_11hip_rocprim3tagENS9_11use_defaultESF_EEEENSB_INSC_IlSE_SF_SF_EEEEZNS1_13binary_searchIS3_S6_NSB_INS9_10device_ptrIS5_EEEESH_SJ_NS1_21upper_bound_search_opENSA_16wrapped_functionINS9_7greaterIS5_EEbEEEE10hipError_tPvRmT1_T2_T3_mmT4_T5_P12ihipStream_tbEUlRKS5_E_EEST_SX_SY_mSZ_S12_bEUlT_E_NS1_11comp_targetILNS1_3genE3ELNS1_11target_archE908ELNS1_3gpuE7ELNS1_3repE0EEENS1_30default_config_static_selectorELNS0_4arch9wavefront6targetE0EEEvSW_.num_agpr, 0
	.set _ZN7rocprim17ROCPRIM_400000_NS6detail17trampoline_kernelINS0_14default_configENS1_27upper_bound_config_selectorI14custom_numericlEEZNS1_14transform_implILb0ES3_S6_N6thrust23THRUST_200600_302600_NS6detail15normal_iteratorINS9_7pointerIS5_NS9_11hip_rocprim3tagENS9_11use_defaultESF_EEEENSB_INSC_IlSE_SF_SF_EEEEZNS1_13binary_searchIS3_S6_NSB_INS9_10device_ptrIS5_EEEESH_SJ_NS1_21upper_bound_search_opENSA_16wrapped_functionINS9_7greaterIS5_EEbEEEE10hipError_tPvRmT1_T2_T3_mmT4_T5_P12ihipStream_tbEUlRKS5_E_EEST_SX_SY_mSZ_S12_bEUlT_E_NS1_11comp_targetILNS1_3genE3ELNS1_11target_archE908ELNS1_3gpuE7ELNS1_3repE0EEENS1_30default_config_static_selectorELNS0_4arch9wavefront6targetE0EEEvSW_.numbered_sgpr, 0
	.set _ZN7rocprim17ROCPRIM_400000_NS6detail17trampoline_kernelINS0_14default_configENS1_27upper_bound_config_selectorI14custom_numericlEEZNS1_14transform_implILb0ES3_S6_N6thrust23THRUST_200600_302600_NS6detail15normal_iteratorINS9_7pointerIS5_NS9_11hip_rocprim3tagENS9_11use_defaultESF_EEEENSB_INSC_IlSE_SF_SF_EEEEZNS1_13binary_searchIS3_S6_NSB_INS9_10device_ptrIS5_EEEESH_SJ_NS1_21upper_bound_search_opENSA_16wrapped_functionINS9_7greaterIS5_EEbEEEE10hipError_tPvRmT1_T2_T3_mmT4_T5_P12ihipStream_tbEUlRKS5_E_EEST_SX_SY_mSZ_S12_bEUlT_E_NS1_11comp_targetILNS1_3genE3ELNS1_11target_archE908ELNS1_3gpuE7ELNS1_3repE0EEENS1_30default_config_static_selectorELNS0_4arch9wavefront6targetE0EEEvSW_.num_named_barrier, 0
	.set _ZN7rocprim17ROCPRIM_400000_NS6detail17trampoline_kernelINS0_14default_configENS1_27upper_bound_config_selectorI14custom_numericlEEZNS1_14transform_implILb0ES3_S6_N6thrust23THRUST_200600_302600_NS6detail15normal_iteratorINS9_7pointerIS5_NS9_11hip_rocprim3tagENS9_11use_defaultESF_EEEENSB_INSC_IlSE_SF_SF_EEEEZNS1_13binary_searchIS3_S6_NSB_INS9_10device_ptrIS5_EEEESH_SJ_NS1_21upper_bound_search_opENSA_16wrapped_functionINS9_7greaterIS5_EEbEEEE10hipError_tPvRmT1_T2_T3_mmT4_T5_P12ihipStream_tbEUlRKS5_E_EEST_SX_SY_mSZ_S12_bEUlT_E_NS1_11comp_targetILNS1_3genE3ELNS1_11target_archE908ELNS1_3gpuE7ELNS1_3repE0EEENS1_30default_config_static_selectorELNS0_4arch9wavefront6targetE0EEEvSW_.private_seg_size, 0
	.set _ZN7rocprim17ROCPRIM_400000_NS6detail17trampoline_kernelINS0_14default_configENS1_27upper_bound_config_selectorI14custom_numericlEEZNS1_14transform_implILb0ES3_S6_N6thrust23THRUST_200600_302600_NS6detail15normal_iteratorINS9_7pointerIS5_NS9_11hip_rocprim3tagENS9_11use_defaultESF_EEEENSB_INSC_IlSE_SF_SF_EEEEZNS1_13binary_searchIS3_S6_NSB_INS9_10device_ptrIS5_EEEESH_SJ_NS1_21upper_bound_search_opENSA_16wrapped_functionINS9_7greaterIS5_EEbEEEE10hipError_tPvRmT1_T2_T3_mmT4_T5_P12ihipStream_tbEUlRKS5_E_EEST_SX_SY_mSZ_S12_bEUlT_E_NS1_11comp_targetILNS1_3genE3ELNS1_11target_archE908ELNS1_3gpuE7ELNS1_3repE0EEENS1_30default_config_static_selectorELNS0_4arch9wavefront6targetE0EEEvSW_.uses_vcc, 0
	.set _ZN7rocprim17ROCPRIM_400000_NS6detail17trampoline_kernelINS0_14default_configENS1_27upper_bound_config_selectorI14custom_numericlEEZNS1_14transform_implILb0ES3_S6_N6thrust23THRUST_200600_302600_NS6detail15normal_iteratorINS9_7pointerIS5_NS9_11hip_rocprim3tagENS9_11use_defaultESF_EEEENSB_INSC_IlSE_SF_SF_EEEEZNS1_13binary_searchIS3_S6_NSB_INS9_10device_ptrIS5_EEEESH_SJ_NS1_21upper_bound_search_opENSA_16wrapped_functionINS9_7greaterIS5_EEbEEEE10hipError_tPvRmT1_T2_T3_mmT4_T5_P12ihipStream_tbEUlRKS5_E_EEST_SX_SY_mSZ_S12_bEUlT_E_NS1_11comp_targetILNS1_3genE3ELNS1_11target_archE908ELNS1_3gpuE7ELNS1_3repE0EEENS1_30default_config_static_selectorELNS0_4arch9wavefront6targetE0EEEvSW_.uses_flat_scratch, 0
	.set _ZN7rocprim17ROCPRIM_400000_NS6detail17trampoline_kernelINS0_14default_configENS1_27upper_bound_config_selectorI14custom_numericlEEZNS1_14transform_implILb0ES3_S6_N6thrust23THRUST_200600_302600_NS6detail15normal_iteratorINS9_7pointerIS5_NS9_11hip_rocprim3tagENS9_11use_defaultESF_EEEENSB_INSC_IlSE_SF_SF_EEEEZNS1_13binary_searchIS3_S6_NSB_INS9_10device_ptrIS5_EEEESH_SJ_NS1_21upper_bound_search_opENSA_16wrapped_functionINS9_7greaterIS5_EEbEEEE10hipError_tPvRmT1_T2_T3_mmT4_T5_P12ihipStream_tbEUlRKS5_E_EEST_SX_SY_mSZ_S12_bEUlT_E_NS1_11comp_targetILNS1_3genE3ELNS1_11target_archE908ELNS1_3gpuE7ELNS1_3repE0EEENS1_30default_config_static_selectorELNS0_4arch9wavefront6targetE0EEEvSW_.has_dyn_sized_stack, 0
	.set _ZN7rocprim17ROCPRIM_400000_NS6detail17trampoline_kernelINS0_14default_configENS1_27upper_bound_config_selectorI14custom_numericlEEZNS1_14transform_implILb0ES3_S6_N6thrust23THRUST_200600_302600_NS6detail15normal_iteratorINS9_7pointerIS5_NS9_11hip_rocprim3tagENS9_11use_defaultESF_EEEENSB_INSC_IlSE_SF_SF_EEEEZNS1_13binary_searchIS3_S6_NSB_INS9_10device_ptrIS5_EEEESH_SJ_NS1_21upper_bound_search_opENSA_16wrapped_functionINS9_7greaterIS5_EEbEEEE10hipError_tPvRmT1_T2_T3_mmT4_T5_P12ihipStream_tbEUlRKS5_E_EEST_SX_SY_mSZ_S12_bEUlT_E_NS1_11comp_targetILNS1_3genE3ELNS1_11target_archE908ELNS1_3gpuE7ELNS1_3repE0EEENS1_30default_config_static_selectorELNS0_4arch9wavefront6targetE0EEEvSW_.has_recursion, 0
	.set _ZN7rocprim17ROCPRIM_400000_NS6detail17trampoline_kernelINS0_14default_configENS1_27upper_bound_config_selectorI14custom_numericlEEZNS1_14transform_implILb0ES3_S6_N6thrust23THRUST_200600_302600_NS6detail15normal_iteratorINS9_7pointerIS5_NS9_11hip_rocprim3tagENS9_11use_defaultESF_EEEENSB_INSC_IlSE_SF_SF_EEEEZNS1_13binary_searchIS3_S6_NSB_INS9_10device_ptrIS5_EEEESH_SJ_NS1_21upper_bound_search_opENSA_16wrapped_functionINS9_7greaterIS5_EEbEEEE10hipError_tPvRmT1_T2_T3_mmT4_T5_P12ihipStream_tbEUlRKS5_E_EEST_SX_SY_mSZ_S12_bEUlT_E_NS1_11comp_targetILNS1_3genE3ELNS1_11target_archE908ELNS1_3gpuE7ELNS1_3repE0EEENS1_30default_config_static_selectorELNS0_4arch9wavefront6targetE0EEEvSW_.has_indirect_call, 0
	.section	.AMDGPU.csdata,"",@progbits
; Kernel info:
; codeLenInByte = 0
; TotalNumSgprs: 0
; NumVgprs: 0
; ScratchSize: 0
; MemoryBound: 0
; FloatMode: 240
; IeeeMode: 1
; LDSByteSize: 0 bytes/workgroup (compile time only)
; SGPRBlocks: 0
; VGPRBlocks: 0
; NumSGPRsForWavesPerEU: 1
; NumVGPRsForWavesPerEU: 1
; NamedBarCnt: 0
; Occupancy: 16
; WaveLimiterHint : 0
; COMPUTE_PGM_RSRC2:SCRATCH_EN: 0
; COMPUTE_PGM_RSRC2:USER_SGPR: 2
; COMPUTE_PGM_RSRC2:TRAP_HANDLER: 0
; COMPUTE_PGM_RSRC2:TGID_X_EN: 1
; COMPUTE_PGM_RSRC2:TGID_Y_EN: 0
; COMPUTE_PGM_RSRC2:TGID_Z_EN: 0
; COMPUTE_PGM_RSRC2:TIDIG_COMP_CNT: 0
	.section	.text._ZN7rocprim17ROCPRIM_400000_NS6detail17trampoline_kernelINS0_14default_configENS1_27upper_bound_config_selectorI14custom_numericlEEZNS1_14transform_implILb0ES3_S6_N6thrust23THRUST_200600_302600_NS6detail15normal_iteratorINS9_7pointerIS5_NS9_11hip_rocprim3tagENS9_11use_defaultESF_EEEENSB_INSC_IlSE_SF_SF_EEEEZNS1_13binary_searchIS3_S6_NSB_INS9_10device_ptrIS5_EEEESH_SJ_NS1_21upper_bound_search_opENSA_16wrapped_functionINS9_7greaterIS5_EEbEEEE10hipError_tPvRmT1_T2_T3_mmT4_T5_P12ihipStream_tbEUlRKS5_E_EEST_SX_SY_mSZ_S12_bEUlT_E_NS1_11comp_targetILNS1_3genE2ELNS1_11target_archE906ELNS1_3gpuE6ELNS1_3repE0EEENS1_30default_config_static_selectorELNS0_4arch9wavefront6targetE0EEEvSW_,"axG",@progbits,_ZN7rocprim17ROCPRIM_400000_NS6detail17trampoline_kernelINS0_14default_configENS1_27upper_bound_config_selectorI14custom_numericlEEZNS1_14transform_implILb0ES3_S6_N6thrust23THRUST_200600_302600_NS6detail15normal_iteratorINS9_7pointerIS5_NS9_11hip_rocprim3tagENS9_11use_defaultESF_EEEENSB_INSC_IlSE_SF_SF_EEEEZNS1_13binary_searchIS3_S6_NSB_INS9_10device_ptrIS5_EEEESH_SJ_NS1_21upper_bound_search_opENSA_16wrapped_functionINS9_7greaterIS5_EEbEEEE10hipError_tPvRmT1_T2_T3_mmT4_T5_P12ihipStream_tbEUlRKS5_E_EEST_SX_SY_mSZ_S12_bEUlT_E_NS1_11comp_targetILNS1_3genE2ELNS1_11target_archE906ELNS1_3gpuE6ELNS1_3repE0EEENS1_30default_config_static_selectorELNS0_4arch9wavefront6targetE0EEEvSW_,comdat
	.protected	_ZN7rocprim17ROCPRIM_400000_NS6detail17trampoline_kernelINS0_14default_configENS1_27upper_bound_config_selectorI14custom_numericlEEZNS1_14transform_implILb0ES3_S6_N6thrust23THRUST_200600_302600_NS6detail15normal_iteratorINS9_7pointerIS5_NS9_11hip_rocprim3tagENS9_11use_defaultESF_EEEENSB_INSC_IlSE_SF_SF_EEEEZNS1_13binary_searchIS3_S6_NSB_INS9_10device_ptrIS5_EEEESH_SJ_NS1_21upper_bound_search_opENSA_16wrapped_functionINS9_7greaterIS5_EEbEEEE10hipError_tPvRmT1_T2_T3_mmT4_T5_P12ihipStream_tbEUlRKS5_E_EEST_SX_SY_mSZ_S12_bEUlT_E_NS1_11comp_targetILNS1_3genE2ELNS1_11target_archE906ELNS1_3gpuE6ELNS1_3repE0EEENS1_30default_config_static_selectorELNS0_4arch9wavefront6targetE0EEEvSW_ ; -- Begin function _ZN7rocprim17ROCPRIM_400000_NS6detail17trampoline_kernelINS0_14default_configENS1_27upper_bound_config_selectorI14custom_numericlEEZNS1_14transform_implILb0ES3_S6_N6thrust23THRUST_200600_302600_NS6detail15normal_iteratorINS9_7pointerIS5_NS9_11hip_rocprim3tagENS9_11use_defaultESF_EEEENSB_INSC_IlSE_SF_SF_EEEEZNS1_13binary_searchIS3_S6_NSB_INS9_10device_ptrIS5_EEEESH_SJ_NS1_21upper_bound_search_opENSA_16wrapped_functionINS9_7greaterIS5_EEbEEEE10hipError_tPvRmT1_T2_T3_mmT4_T5_P12ihipStream_tbEUlRKS5_E_EEST_SX_SY_mSZ_S12_bEUlT_E_NS1_11comp_targetILNS1_3genE2ELNS1_11target_archE906ELNS1_3gpuE6ELNS1_3repE0EEENS1_30default_config_static_selectorELNS0_4arch9wavefront6targetE0EEEvSW_
	.globl	_ZN7rocprim17ROCPRIM_400000_NS6detail17trampoline_kernelINS0_14default_configENS1_27upper_bound_config_selectorI14custom_numericlEEZNS1_14transform_implILb0ES3_S6_N6thrust23THRUST_200600_302600_NS6detail15normal_iteratorINS9_7pointerIS5_NS9_11hip_rocprim3tagENS9_11use_defaultESF_EEEENSB_INSC_IlSE_SF_SF_EEEEZNS1_13binary_searchIS3_S6_NSB_INS9_10device_ptrIS5_EEEESH_SJ_NS1_21upper_bound_search_opENSA_16wrapped_functionINS9_7greaterIS5_EEbEEEE10hipError_tPvRmT1_T2_T3_mmT4_T5_P12ihipStream_tbEUlRKS5_E_EEST_SX_SY_mSZ_S12_bEUlT_E_NS1_11comp_targetILNS1_3genE2ELNS1_11target_archE906ELNS1_3gpuE6ELNS1_3repE0EEENS1_30default_config_static_selectorELNS0_4arch9wavefront6targetE0EEEvSW_
	.p2align	8
	.type	_ZN7rocprim17ROCPRIM_400000_NS6detail17trampoline_kernelINS0_14default_configENS1_27upper_bound_config_selectorI14custom_numericlEEZNS1_14transform_implILb0ES3_S6_N6thrust23THRUST_200600_302600_NS6detail15normal_iteratorINS9_7pointerIS5_NS9_11hip_rocprim3tagENS9_11use_defaultESF_EEEENSB_INSC_IlSE_SF_SF_EEEEZNS1_13binary_searchIS3_S6_NSB_INS9_10device_ptrIS5_EEEESH_SJ_NS1_21upper_bound_search_opENSA_16wrapped_functionINS9_7greaterIS5_EEbEEEE10hipError_tPvRmT1_T2_T3_mmT4_T5_P12ihipStream_tbEUlRKS5_E_EEST_SX_SY_mSZ_S12_bEUlT_E_NS1_11comp_targetILNS1_3genE2ELNS1_11target_archE906ELNS1_3gpuE6ELNS1_3repE0EEENS1_30default_config_static_selectorELNS0_4arch9wavefront6targetE0EEEvSW_,@function
_ZN7rocprim17ROCPRIM_400000_NS6detail17trampoline_kernelINS0_14default_configENS1_27upper_bound_config_selectorI14custom_numericlEEZNS1_14transform_implILb0ES3_S6_N6thrust23THRUST_200600_302600_NS6detail15normal_iteratorINS9_7pointerIS5_NS9_11hip_rocprim3tagENS9_11use_defaultESF_EEEENSB_INSC_IlSE_SF_SF_EEEEZNS1_13binary_searchIS3_S6_NSB_INS9_10device_ptrIS5_EEEESH_SJ_NS1_21upper_bound_search_opENSA_16wrapped_functionINS9_7greaterIS5_EEbEEEE10hipError_tPvRmT1_T2_T3_mmT4_T5_P12ihipStream_tbEUlRKS5_E_EEST_SX_SY_mSZ_S12_bEUlT_E_NS1_11comp_targetILNS1_3genE2ELNS1_11target_archE906ELNS1_3gpuE6ELNS1_3repE0EEENS1_30default_config_static_selectorELNS0_4arch9wavefront6targetE0EEEvSW_: ; @_ZN7rocprim17ROCPRIM_400000_NS6detail17trampoline_kernelINS0_14default_configENS1_27upper_bound_config_selectorI14custom_numericlEEZNS1_14transform_implILb0ES3_S6_N6thrust23THRUST_200600_302600_NS6detail15normal_iteratorINS9_7pointerIS5_NS9_11hip_rocprim3tagENS9_11use_defaultESF_EEEENSB_INSC_IlSE_SF_SF_EEEEZNS1_13binary_searchIS3_S6_NSB_INS9_10device_ptrIS5_EEEESH_SJ_NS1_21upper_bound_search_opENSA_16wrapped_functionINS9_7greaterIS5_EEbEEEE10hipError_tPvRmT1_T2_T3_mmT4_T5_P12ihipStream_tbEUlRKS5_E_EEST_SX_SY_mSZ_S12_bEUlT_E_NS1_11comp_targetILNS1_3genE2ELNS1_11target_archE906ELNS1_3gpuE6ELNS1_3repE0EEENS1_30default_config_static_selectorELNS0_4arch9wavefront6targetE0EEEvSW_
; %bb.0:
	.section	.rodata,"a",@progbits
	.p2align	6, 0x0
	.amdhsa_kernel _ZN7rocprim17ROCPRIM_400000_NS6detail17trampoline_kernelINS0_14default_configENS1_27upper_bound_config_selectorI14custom_numericlEEZNS1_14transform_implILb0ES3_S6_N6thrust23THRUST_200600_302600_NS6detail15normal_iteratorINS9_7pointerIS5_NS9_11hip_rocprim3tagENS9_11use_defaultESF_EEEENSB_INSC_IlSE_SF_SF_EEEEZNS1_13binary_searchIS3_S6_NSB_INS9_10device_ptrIS5_EEEESH_SJ_NS1_21upper_bound_search_opENSA_16wrapped_functionINS9_7greaterIS5_EEbEEEE10hipError_tPvRmT1_T2_T3_mmT4_T5_P12ihipStream_tbEUlRKS5_E_EEST_SX_SY_mSZ_S12_bEUlT_E_NS1_11comp_targetILNS1_3genE2ELNS1_11target_archE906ELNS1_3gpuE6ELNS1_3repE0EEENS1_30default_config_static_selectorELNS0_4arch9wavefront6targetE0EEEvSW_
		.amdhsa_group_segment_fixed_size 0
		.amdhsa_private_segment_fixed_size 0
		.amdhsa_kernarg_size 56
		.amdhsa_user_sgpr_count 2
		.amdhsa_user_sgpr_dispatch_ptr 0
		.amdhsa_user_sgpr_queue_ptr 0
		.amdhsa_user_sgpr_kernarg_segment_ptr 1
		.amdhsa_user_sgpr_dispatch_id 0
		.amdhsa_user_sgpr_kernarg_preload_length 0
		.amdhsa_user_sgpr_kernarg_preload_offset 0
		.amdhsa_user_sgpr_private_segment_size 0
		.amdhsa_wavefront_size32 1
		.amdhsa_uses_dynamic_stack 0
		.amdhsa_enable_private_segment 0
		.amdhsa_system_sgpr_workgroup_id_x 1
		.amdhsa_system_sgpr_workgroup_id_y 0
		.amdhsa_system_sgpr_workgroup_id_z 0
		.amdhsa_system_sgpr_workgroup_info 0
		.amdhsa_system_vgpr_workitem_id 0
		.amdhsa_next_free_vgpr 1
		.amdhsa_next_free_sgpr 1
		.amdhsa_named_barrier_count 0
		.amdhsa_reserve_vcc 0
		.amdhsa_float_round_mode_32 0
		.amdhsa_float_round_mode_16_64 0
		.amdhsa_float_denorm_mode_32 3
		.amdhsa_float_denorm_mode_16_64 3
		.amdhsa_fp16_overflow 0
		.amdhsa_memory_ordered 1
		.amdhsa_forward_progress 1
		.amdhsa_inst_pref_size 0
		.amdhsa_round_robin_scheduling 0
		.amdhsa_exception_fp_ieee_invalid_op 0
		.amdhsa_exception_fp_denorm_src 0
		.amdhsa_exception_fp_ieee_div_zero 0
		.amdhsa_exception_fp_ieee_overflow 0
		.amdhsa_exception_fp_ieee_underflow 0
		.amdhsa_exception_fp_ieee_inexact 0
		.amdhsa_exception_int_div_zero 0
	.end_amdhsa_kernel
	.section	.text._ZN7rocprim17ROCPRIM_400000_NS6detail17trampoline_kernelINS0_14default_configENS1_27upper_bound_config_selectorI14custom_numericlEEZNS1_14transform_implILb0ES3_S6_N6thrust23THRUST_200600_302600_NS6detail15normal_iteratorINS9_7pointerIS5_NS9_11hip_rocprim3tagENS9_11use_defaultESF_EEEENSB_INSC_IlSE_SF_SF_EEEEZNS1_13binary_searchIS3_S6_NSB_INS9_10device_ptrIS5_EEEESH_SJ_NS1_21upper_bound_search_opENSA_16wrapped_functionINS9_7greaterIS5_EEbEEEE10hipError_tPvRmT1_T2_T3_mmT4_T5_P12ihipStream_tbEUlRKS5_E_EEST_SX_SY_mSZ_S12_bEUlT_E_NS1_11comp_targetILNS1_3genE2ELNS1_11target_archE906ELNS1_3gpuE6ELNS1_3repE0EEENS1_30default_config_static_selectorELNS0_4arch9wavefront6targetE0EEEvSW_,"axG",@progbits,_ZN7rocprim17ROCPRIM_400000_NS6detail17trampoline_kernelINS0_14default_configENS1_27upper_bound_config_selectorI14custom_numericlEEZNS1_14transform_implILb0ES3_S6_N6thrust23THRUST_200600_302600_NS6detail15normal_iteratorINS9_7pointerIS5_NS9_11hip_rocprim3tagENS9_11use_defaultESF_EEEENSB_INSC_IlSE_SF_SF_EEEEZNS1_13binary_searchIS3_S6_NSB_INS9_10device_ptrIS5_EEEESH_SJ_NS1_21upper_bound_search_opENSA_16wrapped_functionINS9_7greaterIS5_EEbEEEE10hipError_tPvRmT1_T2_T3_mmT4_T5_P12ihipStream_tbEUlRKS5_E_EEST_SX_SY_mSZ_S12_bEUlT_E_NS1_11comp_targetILNS1_3genE2ELNS1_11target_archE906ELNS1_3gpuE6ELNS1_3repE0EEENS1_30default_config_static_selectorELNS0_4arch9wavefront6targetE0EEEvSW_,comdat
.Lfunc_end117:
	.size	_ZN7rocprim17ROCPRIM_400000_NS6detail17trampoline_kernelINS0_14default_configENS1_27upper_bound_config_selectorI14custom_numericlEEZNS1_14transform_implILb0ES3_S6_N6thrust23THRUST_200600_302600_NS6detail15normal_iteratorINS9_7pointerIS5_NS9_11hip_rocprim3tagENS9_11use_defaultESF_EEEENSB_INSC_IlSE_SF_SF_EEEEZNS1_13binary_searchIS3_S6_NSB_INS9_10device_ptrIS5_EEEESH_SJ_NS1_21upper_bound_search_opENSA_16wrapped_functionINS9_7greaterIS5_EEbEEEE10hipError_tPvRmT1_T2_T3_mmT4_T5_P12ihipStream_tbEUlRKS5_E_EEST_SX_SY_mSZ_S12_bEUlT_E_NS1_11comp_targetILNS1_3genE2ELNS1_11target_archE906ELNS1_3gpuE6ELNS1_3repE0EEENS1_30default_config_static_selectorELNS0_4arch9wavefront6targetE0EEEvSW_, .Lfunc_end117-_ZN7rocprim17ROCPRIM_400000_NS6detail17trampoline_kernelINS0_14default_configENS1_27upper_bound_config_selectorI14custom_numericlEEZNS1_14transform_implILb0ES3_S6_N6thrust23THRUST_200600_302600_NS6detail15normal_iteratorINS9_7pointerIS5_NS9_11hip_rocprim3tagENS9_11use_defaultESF_EEEENSB_INSC_IlSE_SF_SF_EEEEZNS1_13binary_searchIS3_S6_NSB_INS9_10device_ptrIS5_EEEESH_SJ_NS1_21upper_bound_search_opENSA_16wrapped_functionINS9_7greaterIS5_EEbEEEE10hipError_tPvRmT1_T2_T3_mmT4_T5_P12ihipStream_tbEUlRKS5_E_EEST_SX_SY_mSZ_S12_bEUlT_E_NS1_11comp_targetILNS1_3genE2ELNS1_11target_archE906ELNS1_3gpuE6ELNS1_3repE0EEENS1_30default_config_static_selectorELNS0_4arch9wavefront6targetE0EEEvSW_
                                        ; -- End function
	.set _ZN7rocprim17ROCPRIM_400000_NS6detail17trampoline_kernelINS0_14default_configENS1_27upper_bound_config_selectorI14custom_numericlEEZNS1_14transform_implILb0ES3_S6_N6thrust23THRUST_200600_302600_NS6detail15normal_iteratorINS9_7pointerIS5_NS9_11hip_rocprim3tagENS9_11use_defaultESF_EEEENSB_INSC_IlSE_SF_SF_EEEEZNS1_13binary_searchIS3_S6_NSB_INS9_10device_ptrIS5_EEEESH_SJ_NS1_21upper_bound_search_opENSA_16wrapped_functionINS9_7greaterIS5_EEbEEEE10hipError_tPvRmT1_T2_T3_mmT4_T5_P12ihipStream_tbEUlRKS5_E_EEST_SX_SY_mSZ_S12_bEUlT_E_NS1_11comp_targetILNS1_3genE2ELNS1_11target_archE906ELNS1_3gpuE6ELNS1_3repE0EEENS1_30default_config_static_selectorELNS0_4arch9wavefront6targetE0EEEvSW_.num_vgpr, 0
	.set _ZN7rocprim17ROCPRIM_400000_NS6detail17trampoline_kernelINS0_14default_configENS1_27upper_bound_config_selectorI14custom_numericlEEZNS1_14transform_implILb0ES3_S6_N6thrust23THRUST_200600_302600_NS6detail15normal_iteratorINS9_7pointerIS5_NS9_11hip_rocprim3tagENS9_11use_defaultESF_EEEENSB_INSC_IlSE_SF_SF_EEEEZNS1_13binary_searchIS3_S6_NSB_INS9_10device_ptrIS5_EEEESH_SJ_NS1_21upper_bound_search_opENSA_16wrapped_functionINS9_7greaterIS5_EEbEEEE10hipError_tPvRmT1_T2_T3_mmT4_T5_P12ihipStream_tbEUlRKS5_E_EEST_SX_SY_mSZ_S12_bEUlT_E_NS1_11comp_targetILNS1_3genE2ELNS1_11target_archE906ELNS1_3gpuE6ELNS1_3repE0EEENS1_30default_config_static_selectorELNS0_4arch9wavefront6targetE0EEEvSW_.num_agpr, 0
	.set _ZN7rocprim17ROCPRIM_400000_NS6detail17trampoline_kernelINS0_14default_configENS1_27upper_bound_config_selectorI14custom_numericlEEZNS1_14transform_implILb0ES3_S6_N6thrust23THRUST_200600_302600_NS6detail15normal_iteratorINS9_7pointerIS5_NS9_11hip_rocprim3tagENS9_11use_defaultESF_EEEENSB_INSC_IlSE_SF_SF_EEEEZNS1_13binary_searchIS3_S6_NSB_INS9_10device_ptrIS5_EEEESH_SJ_NS1_21upper_bound_search_opENSA_16wrapped_functionINS9_7greaterIS5_EEbEEEE10hipError_tPvRmT1_T2_T3_mmT4_T5_P12ihipStream_tbEUlRKS5_E_EEST_SX_SY_mSZ_S12_bEUlT_E_NS1_11comp_targetILNS1_3genE2ELNS1_11target_archE906ELNS1_3gpuE6ELNS1_3repE0EEENS1_30default_config_static_selectorELNS0_4arch9wavefront6targetE0EEEvSW_.numbered_sgpr, 0
	.set _ZN7rocprim17ROCPRIM_400000_NS6detail17trampoline_kernelINS0_14default_configENS1_27upper_bound_config_selectorI14custom_numericlEEZNS1_14transform_implILb0ES3_S6_N6thrust23THRUST_200600_302600_NS6detail15normal_iteratorINS9_7pointerIS5_NS9_11hip_rocprim3tagENS9_11use_defaultESF_EEEENSB_INSC_IlSE_SF_SF_EEEEZNS1_13binary_searchIS3_S6_NSB_INS9_10device_ptrIS5_EEEESH_SJ_NS1_21upper_bound_search_opENSA_16wrapped_functionINS9_7greaterIS5_EEbEEEE10hipError_tPvRmT1_T2_T3_mmT4_T5_P12ihipStream_tbEUlRKS5_E_EEST_SX_SY_mSZ_S12_bEUlT_E_NS1_11comp_targetILNS1_3genE2ELNS1_11target_archE906ELNS1_3gpuE6ELNS1_3repE0EEENS1_30default_config_static_selectorELNS0_4arch9wavefront6targetE0EEEvSW_.num_named_barrier, 0
	.set _ZN7rocprim17ROCPRIM_400000_NS6detail17trampoline_kernelINS0_14default_configENS1_27upper_bound_config_selectorI14custom_numericlEEZNS1_14transform_implILb0ES3_S6_N6thrust23THRUST_200600_302600_NS6detail15normal_iteratorINS9_7pointerIS5_NS9_11hip_rocprim3tagENS9_11use_defaultESF_EEEENSB_INSC_IlSE_SF_SF_EEEEZNS1_13binary_searchIS3_S6_NSB_INS9_10device_ptrIS5_EEEESH_SJ_NS1_21upper_bound_search_opENSA_16wrapped_functionINS9_7greaterIS5_EEbEEEE10hipError_tPvRmT1_T2_T3_mmT4_T5_P12ihipStream_tbEUlRKS5_E_EEST_SX_SY_mSZ_S12_bEUlT_E_NS1_11comp_targetILNS1_3genE2ELNS1_11target_archE906ELNS1_3gpuE6ELNS1_3repE0EEENS1_30default_config_static_selectorELNS0_4arch9wavefront6targetE0EEEvSW_.private_seg_size, 0
	.set _ZN7rocprim17ROCPRIM_400000_NS6detail17trampoline_kernelINS0_14default_configENS1_27upper_bound_config_selectorI14custom_numericlEEZNS1_14transform_implILb0ES3_S6_N6thrust23THRUST_200600_302600_NS6detail15normal_iteratorINS9_7pointerIS5_NS9_11hip_rocprim3tagENS9_11use_defaultESF_EEEENSB_INSC_IlSE_SF_SF_EEEEZNS1_13binary_searchIS3_S6_NSB_INS9_10device_ptrIS5_EEEESH_SJ_NS1_21upper_bound_search_opENSA_16wrapped_functionINS9_7greaterIS5_EEbEEEE10hipError_tPvRmT1_T2_T3_mmT4_T5_P12ihipStream_tbEUlRKS5_E_EEST_SX_SY_mSZ_S12_bEUlT_E_NS1_11comp_targetILNS1_3genE2ELNS1_11target_archE906ELNS1_3gpuE6ELNS1_3repE0EEENS1_30default_config_static_selectorELNS0_4arch9wavefront6targetE0EEEvSW_.uses_vcc, 0
	.set _ZN7rocprim17ROCPRIM_400000_NS6detail17trampoline_kernelINS0_14default_configENS1_27upper_bound_config_selectorI14custom_numericlEEZNS1_14transform_implILb0ES3_S6_N6thrust23THRUST_200600_302600_NS6detail15normal_iteratorINS9_7pointerIS5_NS9_11hip_rocprim3tagENS9_11use_defaultESF_EEEENSB_INSC_IlSE_SF_SF_EEEEZNS1_13binary_searchIS3_S6_NSB_INS9_10device_ptrIS5_EEEESH_SJ_NS1_21upper_bound_search_opENSA_16wrapped_functionINS9_7greaterIS5_EEbEEEE10hipError_tPvRmT1_T2_T3_mmT4_T5_P12ihipStream_tbEUlRKS5_E_EEST_SX_SY_mSZ_S12_bEUlT_E_NS1_11comp_targetILNS1_3genE2ELNS1_11target_archE906ELNS1_3gpuE6ELNS1_3repE0EEENS1_30default_config_static_selectorELNS0_4arch9wavefront6targetE0EEEvSW_.uses_flat_scratch, 0
	.set _ZN7rocprim17ROCPRIM_400000_NS6detail17trampoline_kernelINS0_14default_configENS1_27upper_bound_config_selectorI14custom_numericlEEZNS1_14transform_implILb0ES3_S6_N6thrust23THRUST_200600_302600_NS6detail15normal_iteratorINS9_7pointerIS5_NS9_11hip_rocprim3tagENS9_11use_defaultESF_EEEENSB_INSC_IlSE_SF_SF_EEEEZNS1_13binary_searchIS3_S6_NSB_INS9_10device_ptrIS5_EEEESH_SJ_NS1_21upper_bound_search_opENSA_16wrapped_functionINS9_7greaterIS5_EEbEEEE10hipError_tPvRmT1_T2_T3_mmT4_T5_P12ihipStream_tbEUlRKS5_E_EEST_SX_SY_mSZ_S12_bEUlT_E_NS1_11comp_targetILNS1_3genE2ELNS1_11target_archE906ELNS1_3gpuE6ELNS1_3repE0EEENS1_30default_config_static_selectorELNS0_4arch9wavefront6targetE0EEEvSW_.has_dyn_sized_stack, 0
	.set _ZN7rocprim17ROCPRIM_400000_NS6detail17trampoline_kernelINS0_14default_configENS1_27upper_bound_config_selectorI14custom_numericlEEZNS1_14transform_implILb0ES3_S6_N6thrust23THRUST_200600_302600_NS6detail15normal_iteratorINS9_7pointerIS5_NS9_11hip_rocprim3tagENS9_11use_defaultESF_EEEENSB_INSC_IlSE_SF_SF_EEEEZNS1_13binary_searchIS3_S6_NSB_INS9_10device_ptrIS5_EEEESH_SJ_NS1_21upper_bound_search_opENSA_16wrapped_functionINS9_7greaterIS5_EEbEEEE10hipError_tPvRmT1_T2_T3_mmT4_T5_P12ihipStream_tbEUlRKS5_E_EEST_SX_SY_mSZ_S12_bEUlT_E_NS1_11comp_targetILNS1_3genE2ELNS1_11target_archE906ELNS1_3gpuE6ELNS1_3repE0EEENS1_30default_config_static_selectorELNS0_4arch9wavefront6targetE0EEEvSW_.has_recursion, 0
	.set _ZN7rocprim17ROCPRIM_400000_NS6detail17trampoline_kernelINS0_14default_configENS1_27upper_bound_config_selectorI14custom_numericlEEZNS1_14transform_implILb0ES3_S6_N6thrust23THRUST_200600_302600_NS6detail15normal_iteratorINS9_7pointerIS5_NS9_11hip_rocprim3tagENS9_11use_defaultESF_EEEENSB_INSC_IlSE_SF_SF_EEEEZNS1_13binary_searchIS3_S6_NSB_INS9_10device_ptrIS5_EEEESH_SJ_NS1_21upper_bound_search_opENSA_16wrapped_functionINS9_7greaterIS5_EEbEEEE10hipError_tPvRmT1_T2_T3_mmT4_T5_P12ihipStream_tbEUlRKS5_E_EEST_SX_SY_mSZ_S12_bEUlT_E_NS1_11comp_targetILNS1_3genE2ELNS1_11target_archE906ELNS1_3gpuE6ELNS1_3repE0EEENS1_30default_config_static_selectorELNS0_4arch9wavefront6targetE0EEEvSW_.has_indirect_call, 0
	.section	.AMDGPU.csdata,"",@progbits
; Kernel info:
; codeLenInByte = 0
; TotalNumSgprs: 0
; NumVgprs: 0
; ScratchSize: 0
; MemoryBound: 0
; FloatMode: 240
; IeeeMode: 1
; LDSByteSize: 0 bytes/workgroup (compile time only)
; SGPRBlocks: 0
; VGPRBlocks: 0
; NumSGPRsForWavesPerEU: 1
; NumVGPRsForWavesPerEU: 1
; NamedBarCnt: 0
; Occupancy: 16
; WaveLimiterHint : 0
; COMPUTE_PGM_RSRC2:SCRATCH_EN: 0
; COMPUTE_PGM_RSRC2:USER_SGPR: 2
; COMPUTE_PGM_RSRC2:TRAP_HANDLER: 0
; COMPUTE_PGM_RSRC2:TGID_X_EN: 1
; COMPUTE_PGM_RSRC2:TGID_Y_EN: 0
; COMPUTE_PGM_RSRC2:TGID_Z_EN: 0
; COMPUTE_PGM_RSRC2:TIDIG_COMP_CNT: 0
	.section	.text._ZN7rocprim17ROCPRIM_400000_NS6detail17trampoline_kernelINS0_14default_configENS1_27upper_bound_config_selectorI14custom_numericlEEZNS1_14transform_implILb0ES3_S6_N6thrust23THRUST_200600_302600_NS6detail15normal_iteratorINS9_7pointerIS5_NS9_11hip_rocprim3tagENS9_11use_defaultESF_EEEENSB_INSC_IlSE_SF_SF_EEEEZNS1_13binary_searchIS3_S6_NSB_INS9_10device_ptrIS5_EEEESH_SJ_NS1_21upper_bound_search_opENSA_16wrapped_functionINS9_7greaterIS5_EEbEEEE10hipError_tPvRmT1_T2_T3_mmT4_T5_P12ihipStream_tbEUlRKS5_E_EEST_SX_SY_mSZ_S12_bEUlT_E_NS1_11comp_targetILNS1_3genE10ELNS1_11target_archE1201ELNS1_3gpuE5ELNS1_3repE0EEENS1_30default_config_static_selectorELNS0_4arch9wavefront6targetE0EEEvSW_,"axG",@progbits,_ZN7rocprim17ROCPRIM_400000_NS6detail17trampoline_kernelINS0_14default_configENS1_27upper_bound_config_selectorI14custom_numericlEEZNS1_14transform_implILb0ES3_S6_N6thrust23THRUST_200600_302600_NS6detail15normal_iteratorINS9_7pointerIS5_NS9_11hip_rocprim3tagENS9_11use_defaultESF_EEEENSB_INSC_IlSE_SF_SF_EEEEZNS1_13binary_searchIS3_S6_NSB_INS9_10device_ptrIS5_EEEESH_SJ_NS1_21upper_bound_search_opENSA_16wrapped_functionINS9_7greaterIS5_EEbEEEE10hipError_tPvRmT1_T2_T3_mmT4_T5_P12ihipStream_tbEUlRKS5_E_EEST_SX_SY_mSZ_S12_bEUlT_E_NS1_11comp_targetILNS1_3genE10ELNS1_11target_archE1201ELNS1_3gpuE5ELNS1_3repE0EEENS1_30default_config_static_selectorELNS0_4arch9wavefront6targetE0EEEvSW_,comdat
	.protected	_ZN7rocprim17ROCPRIM_400000_NS6detail17trampoline_kernelINS0_14default_configENS1_27upper_bound_config_selectorI14custom_numericlEEZNS1_14transform_implILb0ES3_S6_N6thrust23THRUST_200600_302600_NS6detail15normal_iteratorINS9_7pointerIS5_NS9_11hip_rocprim3tagENS9_11use_defaultESF_EEEENSB_INSC_IlSE_SF_SF_EEEEZNS1_13binary_searchIS3_S6_NSB_INS9_10device_ptrIS5_EEEESH_SJ_NS1_21upper_bound_search_opENSA_16wrapped_functionINS9_7greaterIS5_EEbEEEE10hipError_tPvRmT1_T2_T3_mmT4_T5_P12ihipStream_tbEUlRKS5_E_EEST_SX_SY_mSZ_S12_bEUlT_E_NS1_11comp_targetILNS1_3genE10ELNS1_11target_archE1201ELNS1_3gpuE5ELNS1_3repE0EEENS1_30default_config_static_selectorELNS0_4arch9wavefront6targetE0EEEvSW_ ; -- Begin function _ZN7rocprim17ROCPRIM_400000_NS6detail17trampoline_kernelINS0_14default_configENS1_27upper_bound_config_selectorI14custom_numericlEEZNS1_14transform_implILb0ES3_S6_N6thrust23THRUST_200600_302600_NS6detail15normal_iteratorINS9_7pointerIS5_NS9_11hip_rocprim3tagENS9_11use_defaultESF_EEEENSB_INSC_IlSE_SF_SF_EEEEZNS1_13binary_searchIS3_S6_NSB_INS9_10device_ptrIS5_EEEESH_SJ_NS1_21upper_bound_search_opENSA_16wrapped_functionINS9_7greaterIS5_EEbEEEE10hipError_tPvRmT1_T2_T3_mmT4_T5_P12ihipStream_tbEUlRKS5_E_EEST_SX_SY_mSZ_S12_bEUlT_E_NS1_11comp_targetILNS1_3genE10ELNS1_11target_archE1201ELNS1_3gpuE5ELNS1_3repE0EEENS1_30default_config_static_selectorELNS0_4arch9wavefront6targetE0EEEvSW_
	.globl	_ZN7rocprim17ROCPRIM_400000_NS6detail17trampoline_kernelINS0_14default_configENS1_27upper_bound_config_selectorI14custom_numericlEEZNS1_14transform_implILb0ES3_S6_N6thrust23THRUST_200600_302600_NS6detail15normal_iteratorINS9_7pointerIS5_NS9_11hip_rocprim3tagENS9_11use_defaultESF_EEEENSB_INSC_IlSE_SF_SF_EEEEZNS1_13binary_searchIS3_S6_NSB_INS9_10device_ptrIS5_EEEESH_SJ_NS1_21upper_bound_search_opENSA_16wrapped_functionINS9_7greaterIS5_EEbEEEE10hipError_tPvRmT1_T2_T3_mmT4_T5_P12ihipStream_tbEUlRKS5_E_EEST_SX_SY_mSZ_S12_bEUlT_E_NS1_11comp_targetILNS1_3genE10ELNS1_11target_archE1201ELNS1_3gpuE5ELNS1_3repE0EEENS1_30default_config_static_selectorELNS0_4arch9wavefront6targetE0EEEvSW_
	.p2align	8
	.type	_ZN7rocprim17ROCPRIM_400000_NS6detail17trampoline_kernelINS0_14default_configENS1_27upper_bound_config_selectorI14custom_numericlEEZNS1_14transform_implILb0ES3_S6_N6thrust23THRUST_200600_302600_NS6detail15normal_iteratorINS9_7pointerIS5_NS9_11hip_rocprim3tagENS9_11use_defaultESF_EEEENSB_INSC_IlSE_SF_SF_EEEEZNS1_13binary_searchIS3_S6_NSB_INS9_10device_ptrIS5_EEEESH_SJ_NS1_21upper_bound_search_opENSA_16wrapped_functionINS9_7greaterIS5_EEbEEEE10hipError_tPvRmT1_T2_T3_mmT4_T5_P12ihipStream_tbEUlRKS5_E_EEST_SX_SY_mSZ_S12_bEUlT_E_NS1_11comp_targetILNS1_3genE10ELNS1_11target_archE1201ELNS1_3gpuE5ELNS1_3repE0EEENS1_30default_config_static_selectorELNS0_4arch9wavefront6targetE0EEEvSW_,@function
_ZN7rocprim17ROCPRIM_400000_NS6detail17trampoline_kernelINS0_14default_configENS1_27upper_bound_config_selectorI14custom_numericlEEZNS1_14transform_implILb0ES3_S6_N6thrust23THRUST_200600_302600_NS6detail15normal_iteratorINS9_7pointerIS5_NS9_11hip_rocprim3tagENS9_11use_defaultESF_EEEENSB_INSC_IlSE_SF_SF_EEEEZNS1_13binary_searchIS3_S6_NSB_INS9_10device_ptrIS5_EEEESH_SJ_NS1_21upper_bound_search_opENSA_16wrapped_functionINS9_7greaterIS5_EEbEEEE10hipError_tPvRmT1_T2_T3_mmT4_T5_P12ihipStream_tbEUlRKS5_E_EEST_SX_SY_mSZ_S12_bEUlT_E_NS1_11comp_targetILNS1_3genE10ELNS1_11target_archE1201ELNS1_3gpuE5ELNS1_3repE0EEENS1_30default_config_static_selectorELNS0_4arch9wavefront6targetE0EEEvSW_: ; @_ZN7rocprim17ROCPRIM_400000_NS6detail17trampoline_kernelINS0_14default_configENS1_27upper_bound_config_selectorI14custom_numericlEEZNS1_14transform_implILb0ES3_S6_N6thrust23THRUST_200600_302600_NS6detail15normal_iteratorINS9_7pointerIS5_NS9_11hip_rocprim3tagENS9_11use_defaultESF_EEEENSB_INSC_IlSE_SF_SF_EEEEZNS1_13binary_searchIS3_S6_NSB_INS9_10device_ptrIS5_EEEESH_SJ_NS1_21upper_bound_search_opENSA_16wrapped_functionINS9_7greaterIS5_EEbEEEE10hipError_tPvRmT1_T2_T3_mmT4_T5_P12ihipStream_tbEUlRKS5_E_EEST_SX_SY_mSZ_S12_bEUlT_E_NS1_11comp_targetILNS1_3genE10ELNS1_11target_archE1201ELNS1_3gpuE5ELNS1_3repE0EEENS1_30default_config_static_selectorELNS0_4arch9wavefront6targetE0EEEvSW_
; %bb.0:
	.section	.rodata,"a",@progbits
	.p2align	6, 0x0
	.amdhsa_kernel _ZN7rocprim17ROCPRIM_400000_NS6detail17trampoline_kernelINS0_14default_configENS1_27upper_bound_config_selectorI14custom_numericlEEZNS1_14transform_implILb0ES3_S6_N6thrust23THRUST_200600_302600_NS6detail15normal_iteratorINS9_7pointerIS5_NS9_11hip_rocprim3tagENS9_11use_defaultESF_EEEENSB_INSC_IlSE_SF_SF_EEEEZNS1_13binary_searchIS3_S6_NSB_INS9_10device_ptrIS5_EEEESH_SJ_NS1_21upper_bound_search_opENSA_16wrapped_functionINS9_7greaterIS5_EEbEEEE10hipError_tPvRmT1_T2_T3_mmT4_T5_P12ihipStream_tbEUlRKS5_E_EEST_SX_SY_mSZ_S12_bEUlT_E_NS1_11comp_targetILNS1_3genE10ELNS1_11target_archE1201ELNS1_3gpuE5ELNS1_3repE0EEENS1_30default_config_static_selectorELNS0_4arch9wavefront6targetE0EEEvSW_
		.amdhsa_group_segment_fixed_size 0
		.amdhsa_private_segment_fixed_size 0
		.amdhsa_kernarg_size 56
		.amdhsa_user_sgpr_count 2
		.amdhsa_user_sgpr_dispatch_ptr 0
		.amdhsa_user_sgpr_queue_ptr 0
		.amdhsa_user_sgpr_kernarg_segment_ptr 1
		.amdhsa_user_sgpr_dispatch_id 0
		.amdhsa_user_sgpr_kernarg_preload_length 0
		.amdhsa_user_sgpr_kernarg_preload_offset 0
		.amdhsa_user_sgpr_private_segment_size 0
		.amdhsa_wavefront_size32 1
		.amdhsa_uses_dynamic_stack 0
		.amdhsa_enable_private_segment 0
		.amdhsa_system_sgpr_workgroup_id_x 1
		.amdhsa_system_sgpr_workgroup_id_y 0
		.amdhsa_system_sgpr_workgroup_id_z 0
		.amdhsa_system_sgpr_workgroup_info 0
		.amdhsa_system_vgpr_workitem_id 0
		.amdhsa_next_free_vgpr 1
		.amdhsa_next_free_sgpr 1
		.amdhsa_named_barrier_count 0
		.amdhsa_reserve_vcc 0
		.amdhsa_float_round_mode_32 0
		.amdhsa_float_round_mode_16_64 0
		.amdhsa_float_denorm_mode_32 3
		.amdhsa_float_denorm_mode_16_64 3
		.amdhsa_fp16_overflow 0
		.amdhsa_memory_ordered 1
		.amdhsa_forward_progress 1
		.amdhsa_inst_pref_size 0
		.amdhsa_round_robin_scheduling 0
		.amdhsa_exception_fp_ieee_invalid_op 0
		.amdhsa_exception_fp_denorm_src 0
		.amdhsa_exception_fp_ieee_div_zero 0
		.amdhsa_exception_fp_ieee_overflow 0
		.amdhsa_exception_fp_ieee_underflow 0
		.amdhsa_exception_fp_ieee_inexact 0
		.amdhsa_exception_int_div_zero 0
	.end_amdhsa_kernel
	.section	.text._ZN7rocprim17ROCPRIM_400000_NS6detail17trampoline_kernelINS0_14default_configENS1_27upper_bound_config_selectorI14custom_numericlEEZNS1_14transform_implILb0ES3_S6_N6thrust23THRUST_200600_302600_NS6detail15normal_iteratorINS9_7pointerIS5_NS9_11hip_rocprim3tagENS9_11use_defaultESF_EEEENSB_INSC_IlSE_SF_SF_EEEEZNS1_13binary_searchIS3_S6_NSB_INS9_10device_ptrIS5_EEEESH_SJ_NS1_21upper_bound_search_opENSA_16wrapped_functionINS9_7greaterIS5_EEbEEEE10hipError_tPvRmT1_T2_T3_mmT4_T5_P12ihipStream_tbEUlRKS5_E_EEST_SX_SY_mSZ_S12_bEUlT_E_NS1_11comp_targetILNS1_3genE10ELNS1_11target_archE1201ELNS1_3gpuE5ELNS1_3repE0EEENS1_30default_config_static_selectorELNS0_4arch9wavefront6targetE0EEEvSW_,"axG",@progbits,_ZN7rocprim17ROCPRIM_400000_NS6detail17trampoline_kernelINS0_14default_configENS1_27upper_bound_config_selectorI14custom_numericlEEZNS1_14transform_implILb0ES3_S6_N6thrust23THRUST_200600_302600_NS6detail15normal_iteratorINS9_7pointerIS5_NS9_11hip_rocprim3tagENS9_11use_defaultESF_EEEENSB_INSC_IlSE_SF_SF_EEEEZNS1_13binary_searchIS3_S6_NSB_INS9_10device_ptrIS5_EEEESH_SJ_NS1_21upper_bound_search_opENSA_16wrapped_functionINS9_7greaterIS5_EEbEEEE10hipError_tPvRmT1_T2_T3_mmT4_T5_P12ihipStream_tbEUlRKS5_E_EEST_SX_SY_mSZ_S12_bEUlT_E_NS1_11comp_targetILNS1_3genE10ELNS1_11target_archE1201ELNS1_3gpuE5ELNS1_3repE0EEENS1_30default_config_static_selectorELNS0_4arch9wavefront6targetE0EEEvSW_,comdat
.Lfunc_end118:
	.size	_ZN7rocprim17ROCPRIM_400000_NS6detail17trampoline_kernelINS0_14default_configENS1_27upper_bound_config_selectorI14custom_numericlEEZNS1_14transform_implILb0ES3_S6_N6thrust23THRUST_200600_302600_NS6detail15normal_iteratorINS9_7pointerIS5_NS9_11hip_rocprim3tagENS9_11use_defaultESF_EEEENSB_INSC_IlSE_SF_SF_EEEEZNS1_13binary_searchIS3_S6_NSB_INS9_10device_ptrIS5_EEEESH_SJ_NS1_21upper_bound_search_opENSA_16wrapped_functionINS9_7greaterIS5_EEbEEEE10hipError_tPvRmT1_T2_T3_mmT4_T5_P12ihipStream_tbEUlRKS5_E_EEST_SX_SY_mSZ_S12_bEUlT_E_NS1_11comp_targetILNS1_3genE10ELNS1_11target_archE1201ELNS1_3gpuE5ELNS1_3repE0EEENS1_30default_config_static_selectorELNS0_4arch9wavefront6targetE0EEEvSW_, .Lfunc_end118-_ZN7rocprim17ROCPRIM_400000_NS6detail17trampoline_kernelINS0_14default_configENS1_27upper_bound_config_selectorI14custom_numericlEEZNS1_14transform_implILb0ES3_S6_N6thrust23THRUST_200600_302600_NS6detail15normal_iteratorINS9_7pointerIS5_NS9_11hip_rocprim3tagENS9_11use_defaultESF_EEEENSB_INSC_IlSE_SF_SF_EEEEZNS1_13binary_searchIS3_S6_NSB_INS9_10device_ptrIS5_EEEESH_SJ_NS1_21upper_bound_search_opENSA_16wrapped_functionINS9_7greaterIS5_EEbEEEE10hipError_tPvRmT1_T2_T3_mmT4_T5_P12ihipStream_tbEUlRKS5_E_EEST_SX_SY_mSZ_S12_bEUlT_E_NS1_11comp_targetILNS1_3genE10ELNS1_11target_archE1201ELNS1_3gpuE5ELNS1_3repE0EEENS1_30default_config_static_selectorELNS0_4arch9wavefront6targetE0EEEvSW_
                                        ; -- End function
	.set _ZN7rocprim17ROCPRIM_400000_NS6detail17trampoline_kernelINS0_14default_configENS1_27upper_bound_config_selectorI14custom_numericlEEZNS1_14transform_implILb0ES3_S6_N6thrust23THRUST_200600_302600_NS6detail15normal_iteratorINS9_7pointerIS5_NS9_11hip_rocprim3tagENS9_11use_defaultESF_EEEENSB_INSC_IlSE_SF_SF_EEEEZNS1_13binary_searchIS3_S6_NSB_INS9_10device_ptrIS5_EEEESH_SJ_NS1_21upper_bound_search_opENSA_16wrapped_functionINS9_7greaterIS5_EEbEEEE10hipError_tPvRmT1_T2_T3_mmT4_T5_P12ihipStream_tbEUlRKS5_E_EEST_SX_SY_mSZ_S12_bEUlT_E_NS1_11comp_targetILNS1_3genE10ELNS1_11target_archE1201ELNS1_3gpuE5ELNS1_3repE0EEENS1_30default_config_static_selectorELNS0_4arch9wavefront6targetE0EEEvSW_.num_vgpr, 0
	.set _ZN7rocprim17ROCPRIM_400000_NS6detail17trampoline_kernelINS0_14default_configENS1_27upper_bound_config_selectorI14custom_numericlEEZNS1_14transform_implILb0ES3_S6_N6thrust23THRUST_200600_302600_NS6detail15normal_iteratorINS9_7pointerIS5_NS9_11hip_rocprim3tagENS9_11use_defaultESF_EEEENSB_INSC_IlSE_SF_SF_EEEEZNS1_13binary_searchIS3_S6_NSB_INS9_10device_ptrIS5_EEEESH_SJ_NS1_21upper_bound_search_opENSA_16wrapped_functionINS9_7greaterIS5_EEbEEEE10hipError_tPvRmT1_T2_T3_mmT4_T5_P12ihipStream_tbEUlRKS5_E_EEST_SX_SY_mSZ_S12_bEUlT_E_NS1_11comp_targetILNS1_3genE10ELNS1_11target_archE1201ELNS1_3gpuE5ELNS1_3repE0EEENS1_30default_config_static_selectorELNS0_4arch9wavefront6targetE0EEEvSW_.num_agpr, 0
	.set _ZN7rocprim17ROCPRIM_400000_NS6detail17trampoline_kernelINS0_14default_configENS1_27upper_bound_config_selectorI14custom_numericlEEZNS1_14transform_implILb0ES3_S6_N6thrust23THRUST_200600_302600_NS6detail15normal_iteratorINS9_7pointerIS5_NS9_11hip_rocprim3tagENS9_11use_defaultESF_EEEENSB_INSC_IlSE_SF_SF_EEEEZNS1_13binary_searchIS3_S6_NSB_INS9_10device_ptrIS5_EEEESH_SJ_NS1_21upper_bound_search_opENSA_16wrapped_functionINS9_7greaterIS5_EEbEEEE10hipError_tPvRmT1_T2_T3_mmT4_T5_P12ihipStream_tbEUlRKS5_E_EEST_SX_SY_mSZ_S12_bEUlT_E_NS1_11comp_targetILNS1_3genE10ELNS1_11target_archE1201ELNS1_3gpuE5ELNS1_3repE0EEENS1_30default_config_static_selectorELNS0_4arch9wavefront6targetE0EEEvSW_.numbered_sgpr, 0
	.set _ZN7rocprim17ROCPRIM_400000_NS6detail17trampoline_kernelINS0_14default_configENS1_27upper_bound_config_selectorI14custom_numericlEEZNS1_14transform_implILb0ES3_S6_N6thrust23THRUST_200600_302600_NS6detail15normal_iteratorINS9_7pointerIS5_NS9_11hip_rocprim3tagENS9_11use_defaultESF_EEEENSB_INSC_IlSE_SF_SF_EEEEZNS1_13binary_searchIS3_S6_NSB_INS9_10device_ptrIS5_EEEESH_SJ_NS1_21upper_bound_search_opENSA_16wrapped_functionINS9_7greaterIS5_EEbEEEE10hipError_tPvRmT1_T2_T3_mmT4_T5_P12ihipStream_tbEUlRKS5_E_EEST_SX_SY_mSZ_S12_bEUlT_E_NS1_11comp_targetILNS1_3genE10ELNS1_11target_archE1201ELNS1_3gpuE5ELNS1_3repE0EEENS1_30default_config_static_selectorELNS0_4arch9wavefront6targetE0EEEvSW_.num_named_barrier, 0
	.set _ZN7rocprim17ROCPRIM_400000_NS6detail17trampoline_kernelINS0_14default_configENS1_27upper_bound_config_selectorI14custom_numericlEEZNS1_14transform_implILb0ES3_S6_N6thrust23THRUST_200600_302600_NS6detail15normal_iteratorINS9_7pointerIS5_NS9_11hip_rocprim3tagENS9_11use_defaultESF_EEEENSB_INSC_IlSE_SF_SF_EEEEZNS1_13binary_searchIS3_S6_NSB_INS9_10device_ptrIS5_EEEESH_SJ_NS1_21upper_bound_search_opENSA_16wrapped_functionINS9_7greaterIS5_EEbEEEE10hipError_tPvRmT1_T2_T3_mmT4_T5_P12ihipStream_tbEUlRKS5_E_EEST_SX_SY_mSZ_S12_bEUlT_E_NS1_11comp_targetILNS1_3genE10ELNS1_11target_archE1201ELNS1_3gpuE5ELNS1_3repE0EEENS1_30default_config_static_selectorELNS0_4arch9wavefront6targetE0EEEvSW_.private_seg_size, 0
	.set _ZN7rocprim17ROCPRIM_400000_NS6detail17trampoline_kernelINS0_14default_configENS1_27upper_bound_config_selectorI14custom_numericlEEZNS1_14transform_implILb0ES3_S6_N6thrust23THRUST_200600_302600_NS6detail15normal_iteratorINS9_7pointerIS5_NS9_11hip_rocprim3tagENS9_11use_defaultESF_EEEENSB_INSC_IlSE_SF_SF_EEEEZNS1_13binary_searchIS3_S6_NSB_INS9_10device_ptrIS5_EEEESH_SJ_NS1_21upper_bound_search_opENSA_16wrapped_functionINS9_7greaterIS5_EEbEEEE10hipError_tPvRmT1_T2_T3_mmT4_T5_P12ihipStream_tbEUlRKS5_E_EEST_SX_SY_mSZ_S12_bEUlT_E_NS1_11comp_targetILNS1_3genE10ELNS1_11target_archE1201ELNS1_3gpuE5ELNS1_3repE0EEENS1_30default_config_static_selectorELNS0_4arch9wavefront6targetE0EEEvSW_.uses_vcc, 0
	.set _ZN7rocprim17ROCPRIM_400000_NS6detail17trampoline_kernelINS0_14default_configENS1_27upper_bound_config_selectorI14custom_numericlEEZNS1_14transform_implILb0ES3_S6_N6thrust23THRUST_200600_302600_NS6detail15normal_iteratorINS9_7pointerIS5_NS9_11hip_rocprim3tagENS9_11use_defaultESF_EEEENSB_INSC_IlSE_SF_SF_EEEEZNS1_13binary_searchIS3_S6_NSB_INS9_10device_ptrIS5_EEEESH_SJ_NS1_21upper_bound_search_opENSA_16wrapped_functionINS9_7greaterIS5_EEbEEEE10hipError_tPvRmT1_T2_T3_mmT4_T5_P12ihipStream_tbEUlRKS5_E_EEST_SX_SY_mSZ_S12_bEUlT_E_NS1_11comp_targetILNS1_3genE10ELNS1_11target_archE1201ELNS1_3gpuE5ELNS1_3repE0EEENS1_30default_config_static_selectorELNS0_4arch9wavefront6targetE0EEEvSW_.uses_flat_scratch, 0
	.set _ZN7rocprim17ROCPRIM_400000_NS6detail17trampoline_kernelINS0_14default_configENS1_27upper_bound_config_selectorI14custom_numericlEEZNS1_14transform_implILb0ES3_S6_N6thrust23THRUST_200600_302600_NS6detail15normal_iteratorINS9_7pointerIS5_NS9_11hip_rocprim3tagENS9_11use_defaultESF_EEEENSB_INSC_IlSE_SF_SF_EEEEZNS1_13binary_searchIS3_S6_NSB_INS9_10device_ptrIS5_EEEESH_SJ_NS1_21upper_bound_search_opENSA_16wrapped_functionINS9_7greaterIS5_EEbEEEE10hipError_tPvRmT1_T2_T3_mmT4_T5_P12ihipStream_tbEUlRKS5_E_EEST_SX_SY_mSZ_S12_bEUlT_E_NS1_11comp_targetILNS1_3genE10ELNS1_11target_archE1201ELNS1_3gpuE5ELNS1_3repE0EEENS1_30default_config_static_selectorELNS0_4arch9wavefront6targetE0EEEvSW_.has_dyn_sized_stack, 0
	.set _ZN7rocprim17ROCPRIM_400000_NS6detail17trampoline_kernelINS0_14default_configENS1_27upper_bound_config_selectorI14custom_numericlEEZNS1_14transform_implILb0ES3_S6_N6thrust23THRUST_200600_302600_NS6detail15normal_iteratorINS9_7pointerIS5_NS9_11hip_rocprim3tagENS9_11use_defaultESF_EEEENSB_INSC_IlSE_SF_SF_EEEEZNS1_13binary_searchIS3_S6_NSB_INS9_10device_ptrIS5_EEEESH_SJ_NS1_21upper_bound_search_opENSA_16wrapped_functionINS9_7greaterIS5_EEbEEEE10hipError_tPvRmT1_T2_T3_mmT4_T5_P12ihipStream_tbEUlRKS5_E_EEST_SX_SY_mSZ_S12_bEUlT_E_NS1_11comp_targetILNS1_3genE10ELNS1_11target_archE1201ELNS1_3gpuE5ELNS1_3repE0EEENS1_30default_config_static_selectorELNS0_4arch9wavefront6targetE0EEEvSW_.has_recursion, 0
	.set _ZN7rocprim17ROCPRIM_400000_NS6detail17trampoline_kernelINS0_14default_configENS1_27upper_bound_config_selectorI14custom_numericlEEZNS1_14transform_implILb0ES3_S6_N6thrust23THRUST_200600_302600_NS6detail15normal_iteratorINS9_7pointerIS5_NS9_11hip_rocprim3tagENS9_11use_defaultESF_EEEENSB_INSC_IlSE_SF_SF_EEEEZNS1_13binary_searchIS3_S6_NSB_INS9_10device_ptrIS5_EEEESH_SJ_NS1_21upper_bound_search_opENSA_16wrapped_functionINS9_7greaterIS5_EEbEEEE10hipError_tPvRmT1_T2_T3_mmT4_T5_P12ihipStream_tbEUlRKS5_E_EEST_SX_SY_mSZ_S12_bEUlT_E_NS1_11comp_targetILNS1_3genE10ELNS1_11target_archE1201ELNS1_3gpuE5ELNS1_3repE0EEENS1_30default_config_static_selectorELNS0_4arch9wavefront6targetE0EEEvSW_.has_indirect_call, 0
	.section	.AMDGPU.csdata,"",@progbits
; Kernel info:
; codeLenInByte = 0
; TotalNumSgprs: 0
; NumVgprs: 0
; ScratchSize: 0
; MemoryBound: 0
; FloatMode: 240
; IeeeMode: 1
; LDSByteSize: 0 bytes/workgroup (compile time only)
; SGPRBlocks: 0
; VGPRBlocks: 0
; NumSGPRsForWavesPerEU: 1
; NumVGPRsForWavesPerEU: 1
; NamedBarCnt: 0
; Occupancy: 16
; WaveLimiterHint : 0
; COMPUTE_PGM_RSRC2:SCRATCH_EN: 0
; COMPUTE_PGM_RSRC2:USER_SGPR: 2
; COMPUTE_PGM_RSRC2:TRAP_HANDLER: 0
; COMPUTE_PGM_RSRC2:TGID_X_EN: 1
; COMPUTE_PGM_RSRC2:TGID_Y_EN: 0
; COMPUTE_PGM_RSRC2:TGID_Z_EN: 0
; COMPUTE_PGM_RSRC2:TIDIG_COMP_CNT: 0
	.section	.text._ZN7rocprim17ROCPRIM_400000_NS6detail17trampoline_kernelINS0_14default_configENS1_27upper_bound_config_selectorI14custom_numericlEEZNS1_14transform_implILb0ES3_S6_N6thrust23THRUST_200600_302600_NS6detail15normal_iteratorINS9_7pointerIS5_NS9_11hip_rocprim3tagENS9_11use_defaultESF_EEEENSB_INSC_IlSE_SF_SF_EEEEZNS1_13binary_searchIS3_S6_NSB_INS9_10device_ptrIS5_EEEESH_SJ_NS1_21upper_bound_search_opENSA_16wrapped_functionINS9_7greaterIS5_EEbEEEE10hipError_tPvRmT1_T2_T3_mmT4_T5_P12ihipStream_tbEUlRKS5_E_EEST_SX_SY_mSZ_S12_bEUlT_E_NS1_11comp_targetILNS1_3genE10ELNS1_11target_archE1200ELNS1_3gpuE4ELNS1_3repE0EEENS1_30default_config_static_selectorELNS0_4arch9wavefront6targetE0EEEvSW_,"axG",@progbits,_ZN7rocprim17ROCPRIM_400000_NS6detail17trampoline_kernelINS0_14default_configENS1_27upper_bound_config_selectorI14custom_numericlEEZNS1_14transform_implILb0ES3_S6_N6thrust23THRUST_200600_302600_NS6detail15normal_iteratorINS9_7pointerIS5_NS9_11hip_rocprim3tagENS9_11use_defaultESF_EEEENSB_INSC_IlSE_SF_SF_EEEEZNS1_13binary_searchIS3_S6_NSB_INS9_10device_ptrIS5_EEEESH_SJ_NS1_21upper_bound_search_opENSA_16wrapped_functionINS9_7greaterIS5_EEbEEEE10hipError_tPvRmT1_T2_T3_mmT4_T5_P12ihipStream_tbEUlRKS5_E_EEST_SX_SY_mSZ_S12_bEUlT_E_NS1_11comp_targetILNS1_3genE10ELNS1_11target_archE1200ELNS1_3gpuE4ELNS1_3repE0EEENS1_30default_config_static_selectorELNS0_4arch9wavefront6targetE0EEEvSW_,comdat
	.protected	_ZN7rocprim17ROCPRIM_400000_NS6detail17trampoline_kernelINS0_14default_configENS1_27upper_bound_config_selectorI14custom_numericlEEZNS1_14transform_implILb0ES3_S6_N6thrust23THRUST_200600_302600_NS6detail15normal_iteratorINS9_7pointerIS5_NS9_11hip_rocprim3tagENS9_11use_defaultESF_EEEENSB_INSC_IlSE_SF_SF_EEEEZNS1_13binary_searchIS3_S6_NSB_INS9_10device_ptrIS5_EEEESH_SJ_NS1_21upper_bound_search_opENSA_16wrapped_functionINS9_7greaterIS5_EEbEEEE10hipError_tPvRmT1_T2_T3_mmT4_T5_P12ihipStream_tbEUlRKS5_E_EEST_SX_SY_mSZ_S12_bEUlT_E_NS1_11comp_targetILNS1_3genE10ELNS1_11target_archE1200ELNS1_3gpuE4ELNS1_3repE0EEENS1_30default_config_static_selectorELNS0_4arch9wavefront6targetE0EEEvSW_ ; -- Begin function _ZN7rocprim17ROCPRIM_400000_NS6detail17trampoline_kernelINS0_14default_configENS1_27upper_bound_config_selectorI14custom_numericlEEZNS1_14transform_implILb0ES3_S6_N6thrust23THRUST_200600_302600_NS6detail15normal_iteratorINS9_7pointerIS5_NS9_11hip_rocprim3tagENS9_11use_defaultESF_EEEENSB_INSC_IlSE_SF_SF_EEEEZNS1_13binary_searchIS3_S6_NSB_INS9_10device_ptrIS5_EEEESH_SJ_NS1_21upper_bound_search_opENSA_16wrapped_functionINS9_7greaterIS5_EEbEEEE10hipError_tPvRmT1_T2_T3_mmT4_T5_P12ihipStream_tbEUlRKS5_E_EEST_SX_SY_mSZ_S12_bEUlT_E_NS1_11comp_targetILNS1_3genE10ELNS1_11target_archE1200ELNS1_3gpuE4ELNS1_3repE0EEENS1_30default_config_static_selectorELNS0_4arch9wavefront6targetE0EEEvSW_
	.globl	_ZN7rocprim17ROCPRIM_400000_NS6detail17trampoline_kernelINS0_14default_configENS1_27upper_bound_config_selectorI14custom_numericlEEZNS1_14transform_implILb0ES3_S6_N6thrust23THRUST_200600_302600_NS6detail15normal_iteratorINS9_7pointerIS5_NS9_11hip_rocprim3tagENS9_11use_defaultESF_EEEENSB_INSC_IlSE_SF_SF_EEEEZNS1_13binary_searchIS3_S6_NSB_INS9_10device_ptrIS5_EEEESH_SJ_NS1_21upper_bound_search_opENSA_16wrapped_functionINS9_7greaterIS5_EEbEEEE10hipError_tPvRmT1_T2_T3_mmT4_T5_P12ihipStream_tbEUlRKS5_E_EEST_SX_SY_mSZ_S12_bEUlT_E_NS1_11comp_targetILNS1_3genE10ELNS1_11target_archE1200ELNS1_3gpuE4ELNS1_3repE0EEENS1_30default_config_static_selectorELNS0_4arch9wavefront6targetE0EEEvSW_
	.p2align	8
	.type	_ZN7rocprim17ROCPRIM_400000_NS6detail17trampoline_kernelINS0_14default_configENS1_27upper_bound_config_selectorI14custom_numericlEEZNS1_14transform_implILb0ES3_S6_N6thrust23THRUST_200600_302600_NS6detail15normal_iteratorINS9_7pointerIS5_NS9_11hip_rocprim3tagENS9_11use_defaultESF_EEEENSB_INSC_IlSE_SF_SF_EEEEZNS1_13binary_searchIS3_S6_NSB_INS9_10device_ptrIS5_EEEESH_SJ_NS1_21upper_bound_search_opENSA_16wrapped_functionINS9_7greaterIS5_EEbEEEE10hipError_tPvRmT1_T2_T3_mmT4_T5_P12ihipStream_tbEUlRKS5_E_EEST_SX_SY_mSZ_S12_bEUlT_E_NS1_11comp_targetILNS1_3genE10ELNS1_11target_archE1200ELNS1_3gpuE4ELNS1_3repE0EEENS1_30default_config_static_selectorELNS0_4arch9wavefront6targetE0EEEvSW_,@function
_ZN7rocprim17ROCPRIM_400000_NS6detail17trampoline_kernelINS0_14default_configENS1_27upper_bound_config_selectorI14custom_numericlEEZNS1_14transform_implILb0ES3_S6_N6thrust23THRUST_200600_302600_NS6detail15normal_iteratorINS9_7pointerIS5_NS9_11hip_rocprim3tagENS9_11use_defaultESF_EEEENSB_INSC_IlSE_SF_SF_EEEEZNS1_13binary_searchIS3_S6_NSB_INS9_10device_ptrIS5_EEEESH_SJ_NS1_21upper_bound_search_opENSA_16wrapped_functionINS9_7greaterIS5_EEbEEEE10hipError_tPvRmT1_T2_T3_mmT4_T5_P12ihipStream_tbEUlRKS5_E_EEST_SX_SY_mSZ_S12_bEUlT_E_NS1_11comp_targetILNS1_3genE10ELNS1_11target_archE1200ELNS1_3gpuE4ELNS1_3repE0EEENS1_30default_config_static_selectorELNS0_4arch9wavefront6targetE0EEEvSW_: ; @_ZN7rocprim17ROCPRIM_400000_NS6detail17trampoline_kernelINS0_14default_configENS1_27upper_bound_config_selectorI14custom_numericlEEZNS1_14transform_implILb0ES3_S6_N6thrust23THRUST_200600_302600_NS6detail15normal_iteratorINS9_7pointerIS5_NS9_11hip_rocprim3tagENS9_11use_defaultESF_EEEENSB_INSC_IlSE_SF_SF_EEEEZNS1_13binary_searchIS3_S6_NSB_INS9_10device_ptrIS5_EEEESH_SJ_NS1_21upper_bound_search_opENSA_16wrapped_functionINS9_7greaterIS5_EEbEEEE10hipError_tPvRmT1_T2_T3_mmT4_T5_P12ihipStream_tbEUlRKS5_E_EEST_SX_SY_mSZ_S12_bEUlT_E_NS1_11comp_targetILNS1_3genE10ELNS1_11target_archE1200ELNS1_3gpuE4ELNS1_3repE0EEENS1_30default_config_static_selectorELNS0_4arch9wavefront6targetE0EEEvSW_
; %bb.0:
	.section	.rodata,"a",@progbits
	.p2align	6, 0x0
	.amdhsa_kernel _ZN7rocprim17ROCPRIM_400000_NS6detail17trampoline_kernelINS0_14default_configENS1_27upper_bound_config_selectorI14custom_numericlEEZNS1_14transform_implILb0ES3_S6_N6thrust23THRUST_200600_302600_NS6detail15normal_iteratorINS9_7pointerIS5_NS9_11hip_rocprim3tagENS9_11use_defaultESF_EEEENSB_INSC_IlSE_SF_SF_EEEEZNS1_13binary_searchIS3_S6_NSB_INS9_10device_ptrIS5_EEEESH_SJ_NS1_21upper_bound_search_opENSA_16wrapped_functionINS9_7greaterIS5_EEbEEEE10hipError_tPvRmT1_T2_T3_mmT4_T5_P12ihipStream_tbEUlRKS5_E_EEST_SX_SY_mSZ_S12_bEUlT_E_NS1_11comp_targetILNS1_3genE10ELNS1_11target_archE1200ELNS1_3gpuE4ELNS1_3repE0EEENS1_30default_config_static_selectorELNS0_4arch9wavefront6targetE0EEEvSW_
		.amdhsa_group_segment_fixed_size 0
		.amdhsa_private_segment_fixed_size 0
		.amdhsa_kernarg_size 56
		.amdhsa_user_sgpr_count 2
		.amdhsa_user_sgpr_dispatch_ptr 0
		.amdhsa_user_sgpr_queue_ptr 0
		.amdhsa_user_sgpr_kernarg_segment_ptr 1
		.amdhsa_user_sgpr_dispatch_id 0
		.amdhsa_user_sgpr_kernarg_preload_length 0
		.amdhsa_user_sgpr_kernarg_preload_offset 0
		.amdhsa_user_sgpr_private_segment_size 0
		.amdhsa_wavefront_size32 1
		.amdhsa_uses_dynamic_stack 0
		.amdhsa_enable_private_segment 0
		.amdhsa_system_sgpr_workgroup_id_x 1
		.amdhsa_system_sgpr_workgroup_id_y 0
		.amdhsa_system_sgpr_workgroup_id_z 0
		.amdhsa_system_sgpr_workgroup_info 0
		.amdhsa_system_vgpr_workitem_id 0
		.amdhsa_next_free_vgpr 1
		.amdhsa_next_free_sgpr 1
		.amdhsa_named_barrier_count 0
		.amdhsa_reserve_vcc 0
		.amdhsa_float_round_mode_32 0
		.amdhsa_float_round_mode_16_64 0
		.amdhsa_float_denorm_mode_32 3
		.amdhsa_float_denorm_mode_16_64 3
		.amdhsa_fp16_overflow 0
		.amdhsa_memory_ordered 1
		.amdhsa_forward_progress 1
		.amdhsa_inst_pref_size 0
		.amdhsa_round_robin_scheduling 0
		.amdhsa_exception_fp_ieee_invalid_op 0
		.amdhsa_exception_fp_denorm_src 0
		.amdhsa_exception_fp_ieee_div_zero 0
		.amdhsa_exception_fp_ieee_overflow 0
		.amdhsa_exception_fp_ieee_underflow 0
		.amdhsa_exception_fp_ieee_inexact 0
		.amdhsa_exception_int_div_zero 0
	.end_amdhsa_kernel
	.section	.text._ZN7rocprim17ROCPRIM_400000_NS6detail17trampoline_kernelINS0_14default_configENS1_27upper_bound_config_selectorI14custom_numericlEEZNS1_14transform_implILb0ES3_S6_N6thrust23THRUST_200600_302600_NS6detail15normal_iteratorINS9_7pointerIS5_NS9_11hip_rocprim3tagENS9_11use_defaultESF_EEEENSB_INSC_IlSE_SF_SF_EEEEZNS1_13binary_searchIS3_S6_NSB_INS9_10device_ptrIS5_EEEESH_SJ_NS1_21upper_bound_search_opENSA_16wrapped_functionINS9_7greaterIS5_EEbEEEE10hipError_tPvRmT1_T2_T3_mmT4_T5_P12ihipStream_tbEUlRKS5_E_EEST_SX_SY_mSZ_S12_bEUlT_E_NS1_11comp_targetILNS1_3genE10ELNS1_11target_archE1200ELNS1_3gpuE4ELNS1_3repE0EEENS1_30default_config_static_selectorELNS0_4arch9wavefront6targetE0EEEvSW_,"axG",@progbits,_ZN7rocprim17ROCPRIM_400000_NS6detail17trampoline_kernelINS0_14default_configENS1_27upper_bound_config_selectorI14custom_numericlEEZNS1_14transform_implILb0ES3_S6_N6thrust23THRUST_200600_302600_NS6detail15normal_iteratorINS9_7pointerIS5_NS9_11hip_rocprim3tagENS9_11use_defaultESF_EEEENSB_INSC_IlSE_SF_SF_EEEEZNS1_13binary_searchIS3_S6_NSB_INS9_10device_ptrIS5_EEEESH_SJ_NS1_21upper_bound_search_opENSA_16wrapped_functionINS9_7greaterIS5_EEbEEEE10hipError_tPvRmT1_T2_T3_mmT4_T5_P12ihipStream_tbEUlRKS5_E_EEST_SX_SY_mSZ_S12_bEUlT_E_NS1_11comp_targetILNS1_3genE10ELNS1_11target_archE1200ELNS1_3gpuE4ELNS1_3repE0EEENS1_30default_config_static_selectorELNS0_4arch9wavefront6targetE0EEEvSW_,comdat
.Lfunc_end119:
	.size	_ZN7rocprim17ROCPRIM_400000_NS6detail17trampoline_kernelINS0_14default_configENS1_27upper_bound_config_selectorI14custom_numericlEEZNS1_14transform_implILb0ES3_S6_N6thrust23THRUST_200600_302600_NS6detail15normal_iteratorINS9_7pointerIS5_NS9_11hip_rocprim3tagENS9_11use_defaultESF_EEEENSB_INSC_IlSE_SF_SF_EEEEZNS1_13binary_searchIS3_S6_NSB_INS9_10device_ptrIS5_EEEESH_SJ_NS1_21upper_bound_search_opENSA_16wrapped_functionINS9_7greaterIS5_EEbEEEE10hipError_tPvRmT1_T2_T3_mmT4_T5_P12ihipStream_tbEUlRKS5_E_EEST_SX_SY_mSZ_S12_bEUlT_E_NS1_11comp_targetILNS1_3genE10ELNS1_11target_archE1200ELNS1_3gpuE4ELNS1_3repE0EEENS1_30default_config_static_selectorELNS0_4arch9wavefront6targetE0EEEvSW_, .Lfunc_end119-_ZN7rocprim17ROCPRIM_400000_NS6detail17trampoline_kernelINS0_14default_configENS1_27upper_bound_config_selectorI14custom_numericlEEZNS1_14transform_implILb0ES3_S6_N6thrust23THRUST_200600_302600_NS6detail15normal_iteratorINS9_7pointerIS5_NS9_11hip_rocprim3tagENS9_11use_defaultESF_EEEENSB_INSC_IlSE_SF_SF_EEEEZNS1_13binary_searchIS3_S6_NSB_INS9_10device_ptrIS5_EEEESH_SJ_NS1_21upper_bound_search_opENSA_16wrapped_functionINS9_7greaterIS5_EEbEEEE10hipError_tPvRmT1_T2_T3_mmT4_T5_P12ihipStream_tbEUlRKS5_E_EEST_SX_SY_mSZ_S12_bEUlT_E_NS1_11comp_targetILNS1_3genE10ELNS1_11target_archE1200ELNS1_3gpuE4ELNS1_3repE0EEENS1_30default_config_static_selectorELNS0_4arch9wavefront6targetE0EEEvSW_
                                        ; -- End function
	.set _ZN7rocprim17ROCPRIM_400000_NS6detail17trampoline_kernelINS0_14default_configENS1_27upper_bound_config_selectorI14custom_numericlEEZNS1_14transform_implILb0ES3_S6_N6thrust23THRUST_200600_302600_NS6detail15normal_iteratorINS9_7pointerIS5_NS9_11hip_rocprim3tagENS9_11use_defaultESF_EEEENSB_INSC_IlSE_SF_SF_EEEEZNS1_13binary_searchIS3_S6_NSB_INS9_10device_ptrIS5_EEEESH_SJ_NS1_21upper_bound_search_opENSA_16wrapped_functionINS9_7greaterIS5_EEbEEEE10hipError_tPvRmT1_T2_T3_mmT4_T5_P12ihipStream_tbEUlRKS5_E_EEST_SX_SY_mSZ_S12_bEUlT_E_NS1_11comp_targetILNS1_3genE10ELNS1_11target_archE1200ELNS1_3gpuE4ELNS1_3repE0EEENS1_30default_config_static_selectorELNS0_4arch9wavefront6targetE0EEEvSW_.num_vgpr, 0
	.set _ZN7rocprim17ROCPRIM_400000_NS6detail17trampoline_kernelINS0_14default_configENS1_27upper_bound_config_selectorI14custom_numericlEEZNS1_14transform_implILb0ES3_S6_N6thrust23THRUST_200600_302600_NS6detail15normal_iteratorINS9_7pointerIS5_NS9_11hip_rocprim3tagENS9_11use_defaultESF_EEEENSB_INSC_IlSE_SF_SF_EEEEZNS1_13binary_searchIS3_S6_NSB_INS9_10device_ptrIS5_EEEESH_SJ_NS1_21upper_bound_search_opENSA_16wrapped_functionINS9_7greaterIS5_EEbEEEE10hipError_tPvRmT1_T2_T3_mmT4_T5_P12ihipStream_tbEUlRKS5_E_EEST_SX_SY_mSZ_S12_bEUlT_E_NS1_11comp_targetILNS1_3genE10ELNS1_11target_archE1200ELNS1_3gpuE4ELNS1_3repE0EEENS1_30default_config_static_selectorELNS0_4arch9wavefront6targetE0EEEvSW_.num_agpr, 0
	.set _ZN7rocprim17ROCPRIM_400000_NS6detail17trampoline_kernelINS0_14default_configENS1_27upper_bound_config_selectorI14custom_numericlEEZNS1_14transform_implILb0ES3_S6_N6thrust23THRUST_200600_302600_NS6detail15normal_iteratorINS9_7pointerIS5_NS9_11hip_rocprim3tagENS9_11use_defaultESF_EEEENSB_INSC_IlSE_SF_SF_EEEEZNS1_13binary_searchIS3_S6_NSB_INS9_10device_ptrIS5_EEEESH_SJ_NS1_21upper_bound_search_opENSA_16wrapped_functionINS9_7greaterIS5_EEbEEEE10hipError_tPvRmT1_T2_T3_mmT4_T5_P12ihipStream_tbEUlRKS5_E_EEST_SX_SY_mSZ_S12_bEUlT_E_NS1_11comp_targetILNS1_3genE10ELNS1_11target_archE1200ELNS1_3gpuE4ELNS1_3repE0EEENS1_30default_config_static_selectorELNS0_4arch9wavefront6targetE0EEEvSW_.numbered_sgpr, 0
	.set _ZN7rocprim17ROCPRIM_400000_NS6detail17trampoline_kernelINS0_14default_configENS1_27upper_bound_config_selectorI14custom_numericlEEZNS1_14transform_implILb0ES3_S6_N6thrust23THRUST_200600_302600_NS6detail15normal_iteratorINS9_7pointerIS5_NS9_11hip_rocprim3tagENS9_11use_defaultESF_EEEENSB_INSC_IlSE_SF_SF_EEEEZNS1_13binary_searchIS3_S6_NSB_INS9_10device_ptrIS5_EEEESH_SJ_NS1_21upper_bound_search_opENSA_16wrapped_functionINS9_7greaterIS5_EEbEEEE10hipError_tPvRmT1_T2_T3_mmT4_T5_P12ihipStream_tbEUlRKS5_E_EEST_SX_SY_mSZ_S12_bEUlT_E_NS1_11comp_targetILNS1_3genE10ELNS1_11target_archE1200ELNS1_3gpuE4ELNS1_3repE0EEENS1_30default_config_static_selectorELNS0_4arch9wavefront6targetE0EEEvSW_.num_named_barrier, 0
	.set _ZN7rocprim17ROCPRIM_400000_NS6detail17trampoline_kernelINS0_14default_configENS1_27upper_bound_config_selectorI14custom_numericlEEZNS1_14transform_implILb0ES3_S6_N6thrust23THRUST_200600_302600_NS6detail15normal_iteratorINS9_7pointerIS5_NS9_11hip_rocprim3tagENS9_11use_defaultESF_EEEENSB_INSC_IlSE_SF_SF_EEEEZNS1_13binary_searchIS3_S6_NSB_INS9_10device_ptrIS5_EEEESH_SJ_NS1_21upper_bound_search_opENSA_16wrapped_functionINS9_7greaterIS5_EEbEEEE10hipError_tPvRmT1_T2_T3_mmT4_T5_P12ihipStream_tbEUlRKS5_E_EEST_SX_SY_mSZ_S12_bEUlT_E_NS1_11comp_targetILNS1_3genE10ELNS1_11target_archE1200ELNS1_3gpuE4ELNS1_3repE0EEENS1_30default_config_static_selectorELNS0_4arch9wavefront6targetE0EEEvSW_.private_seg_size, 0
	.set _ZN7rocprim17ROCPRIM_400000_NS6detail17trampoline_kernelINS0_14default_configENS1_27upper_bound_config_selectorI14custom_numericlEEZNS1_14transform_implILb0ES3_S6_N6thrust23THRUST_200600_302600_NS6detail15normal_iteratorINS9_7pointerIS5_NS9_11hip_rocprim3tagENS9_11use_defaultESF_EEEENSB_INSC_IlSE_SF_SF_EEEEZNS1_13binary_searchIS3_S6_NSB_INS9_10device_ptrIS5_EEEESH_SJ_NS1_21upper_bound_search_opENSA_16wrapped_functionINS9_7greaterIS5_EEbEEEE10hipError_tPvRmT1_T2_T3_mmT4_T5_P12ihipStream_tbEUlRKS5_E_EEST_SX_SY_mSZ_S12_bEUlT_E_NS1_11comp_targetILNS1_3genE10ELNS1_11target_archE1200ELNS1_3gpuE4ELNS1_3repE0EEENS1_30default_config_static_selectorELNS0_4arch9wavefront6targetE0EEEvSW_.uses_vcc, 0
	.set _ZN7rocprim17ROCPRIM_400000_NS6detail17trampoline_kernelINS0_14default_configENS1_27upper_bound_config_selectorI14custom_numericlEEZNS1_14transform_implILb0ES3_S6_N6thrust23THRUST_200600_302600_NS6detail15normal_iteratorINS9_7pointerIS5_NS9_11hip_rocprim3tagENS9_11use_defaultESF_EEEENSB_INSC_IlSE_SF_SF_EEEEZNS1_13binary_searchIS3_S6_NSB_INS9_10device_ptrIS5_EEEESH_SJ_NS1_21upper_bound_search_opENSA_16wrapped_functionINS9_7greaterIS5_EEbEEEE10hipError_tPvRmT1_T2_T3_mmT4_T5_P12ihipStream_tbEUlRKS5_E_EEST_SX_SY_mSZ_S12_bEUlT_E_NS1_11comp_targetILNS1_3genE10ELNS1_11target_archE1200ELNS1_3gpuE4ELNS1_3repE0EEENS1_30default_config_static_selectorELNS0_4arch9wavefront6targetE0EEEvSW_.uses_flat_scratch, 0
	.set _ZN7rocprim17ROCPRIM_400000_NS6detail17trampoline_kernelINS0_14default_configENS1_27upper_bound_config_selectorI14custom_numericlEEZNS1_14transform_implILb0ES3_S6_N6thrust23THRUST_200600_302600_NS6detail15normal_iteratorINS9_7pointerIS5_NS9_11hip_rocprim3tagENS9_11use_defaultESF_EEEENSB_INSC_IlSE_SF_SF_EEEEZNS1_13binary_searchIS3_S6_NSB_INS9_10device_ptrIS5_EEEESH_SJ_NS1_21upper_bound_search_opENSA_16wrapped_functionINS9_7greaterIS5_EEbEEEE10hipError_tPvRmT1_T2_T3_mmT4_T5_P12ihipStream_tbEUlRKS5_E_EEST_SX_SY_mSZ_S12_bEUlT_E_NS1_11comp_targetILNS1_3genE10ELNS1_11target_archE1200ELNS1_3gpuE4ELNS1_3repE0EEENS1_30default_config_static_selectorELNS0_4arch9wavefront6targetE0EEEvSW_.has_dyn_sized_stack, 0
	.set _ZN7rocprim17ROCPRIM_400000_NS6detail17trampoline_kernelINS0_14default_configENS1_27upper_bound_config_selectorI14custom_numericlEEZNS1_14transform_implILb0ES3_S6_N6thrust23THRUST_200600_302600_NS6detail15normal_iteratorINS9_7pointerIS5_NS9_11hip_rocprim3tagENS9_11use_defaultESF_EEEENSB_INSC_IlSE_SF_SF_EEEEZNS1_13binary_searchIS3_S6_NSB_INS9_10device_ptrIS5_EEEESH_SJ_NS1_21upper_bound_search_opENSA_16wrapped_functionINS9_7greaterIS5_EEbEEEE10hipError_tPvRmT1_T2_T3_mmT4_T5_P12ihipStream_tbEUlRKS5_E_EEST_SX_SY_mSZ_S12_bEUlT_E_NS1_11comp_targetILNS1_3genE10ELNS1_11target_archE1200ELNS1_3gpuE4ELNS1_3repE0EEENS1_30default_config_static_selectorELNS0_4arch9wavefront6targetE0EEEvSW_.has_recursion, 0
	.set _ZN7rocprim17ROCPRIM_400000_NS6detail17trampoline_kernelINS0_14default_configENS1_27upper_bound_config_selectorI14custom_numericlEEZNS1_14transform_implILb0ES3_S6_N6thrust23THRUST_200600_302600_NS6detail15normal_iteratorINS9_7pointerIS5_NS9_11hip_rocprim3tagENS9_11use_defaultESF_EEEENSB_INSC_IlSE_SF_SF_EEEEZNS1_13binary_searchIS3_S6_NSB_INS9_10device_ptrIS5_EEEESH_SJ_NS1_21upper_bound_search_opENSA_16wrapped_functionINS9_7greaterIS5_EEbEEEE10hipError_tPvRmT1_T2_T3_mmT4_T5_P12ihipStream_tbEUlRKS5_E_EEST_SX_SY_mSZ_S12_bEUlT_E_NS1_11comp_targetILNS1_3genE10ELNS1_11target_archE1200ELNS1_3gpuE4ELNS1_3repE0EEENS1_30default_config_static_selectorELNS0_4arch9wavefront6targetE0EEEvSW_.has_indirect_call, 0
	.section	.AMDGPU.csdata,"",@progbits
; Kernel info:
; codeLenInByte = 0
; TotalNumSgprs: 0
; NumVgprs: 0
; ScratchSize: 0
; MemoryBound: 0
; FloatMode: 240
; IeeeMode: 1
; LDSByteSize: 0 bytes/workgroup (compile time only)
; SGPRBlocks: 0
; VGPRBlocks: 0
; NumSGPRsForWavesPerEU: 1
; NumVGPRsForWavesPerEU: 1
; NamedBarCnt: 0
; Occupancy: 16
; WaveLimiterHint : 0
; COMPUTE_PGM_RSRC2:SCRATCH_EN: 0
; COMPUTE_PGM_RSRC2:USER_SGPR: 2
; COMPUTE_PGM_RSRC2:TRAP_HANDLER: 0
; COMPUTE_PGM_RSRC2:TGID_X_EN: 1
; COMPUTE_PGM_RSRC2:TGID_Y_EN: 0
; COMPUTE_PGM_RSRC2:TGID_Z_EN: 0
; COMPUTE_PGM_RSRC2:TIDIG_COMP_CNT: 0
	.section	.text._ZN7rocprim17ROCPRIM_400000_NS6detail17trampoline_kernelINS0_14default_configENS1_27upper_bound_config_selectorI14custom_numericlEEZNS1_14transform_implILb0ES3_S6_N6thrust23THRUST_200600_302600_NS6detail15normal_iteratorINS9_7pointerIS5_NS9_11hip_rocprim3tagENS9_11use_defaultESF_EEEENSB_INSC_IlSE_SF_SF_EEEEZNS1_13binary_searchIS3_S6_NSB_INS9_10device_ptrIS5_EEEESH_SJ_NS1_21upper_bound_search_opENSA_16wrapped_functionINS9_7greaterIS5_EEbEEEE10hipError_tPvRmT1_T2_T3_mmT4_T5_P12ihipStream_tbEUlRKS5_E_EEST_SX_SY_mSZ_S12_bEUlT_E_NS1_11comp_targetILNS1_3genE9ELNS1_11target_archE1100ELNS1_3gpuE3ELNS1_3repE0EEENS1_30default_config_static_selectorELNS0_4arch9wavefront6targetE0EEEvSW_,"axG",@progbits,_ZN7rocprim17ROCPRIM_400000_NS6detail17trampoline_kernelINS0_14default_configENS1_27upper_bound_config_selectorI14custom_numericlEEZNS1_14transform_implILb0ES3_S6_N6thrust23THRUST_200600_302600_NS6detail15normal_iteratorINS9_7pointerIS5_NS9_11hip_rocprim3tagENS9_11use_defaultESF_EEEENSB_INSC_IlSE_SF_SF_EEEEZNS1_13binary_searchIS3_S6_NSB_INS9_10device_ptrIS5_EEEESH_SJ_NS1_21upper_bound_search_opENSA_16wrapped_functionINS9_7greaterIS5_EEbEEEE10hipError_tPvRmT1_T2_T3_mmT4_T5_P12ihipStream_tbEUlRKS5_E_EEST_SX_SY_mSZ_S12_bEUlT_E_NS1_11comp_targetILNS1_3genE9ELNS1_11target_archE1100ELNS1_3gpuE3ELNS1_3repE0EEENS1_30default_config_static_selectorELNS0_4arch9wavefront6targetE0EEEvSW_,comdat
	.protected	_ZN7rocprim17ROCPRIM_400000_NS6detail17trampoline_kernelINS0_14default_configENS1_27upper_bound_config_selectorI14custom_numericlEEZNS1_14transform_implILb0ES3_S6_N6thrust23THRUST_200600_302600_NS6detail15normal_iteratorINS9_7pointerIS5_NS9_11hip_rocprim3tagENS9_11use_defaultESF_EEEENSB_INSC_IlSE_SF_SF_EEEEZNS1_13binary_searchIS3_S6_NSB_INS9_10device_ptrIS5_EEEESH_SJ_NS1_21upper_bound_search_opENSA_16wrapped_functionINS9_7greaterIS5_EEbEEEE10hipError_tPvRmT1_T2_T3_mmT4_T5_P12ihipStream_tbEUlRKS5_E_EEST_SX_SY_mSZ_S12_bEUlT_E_NS1_11comp_targetILNS1_3genE9ELNS1_11target_archE1100ELNS1_3gpuE3ELNS1_3repE0EEENS1_30default_config_static_selectorELNS0_4arch9wavefront6targetE0EEEvSW_ ; -- Begin function _ZN7rocprim17ROCPRIM_400000_NS6detail17trampoline_kernelINS0_14default_configENS1_27upper_bound_config_selectorI14custom_numericlEEZNS1_14transform_implILb0ES3_S6_N6thrust23THRUST_200600_302600_NS6detail15normal_iteratorINS9_7pointerIS5_NS9_11hip_rocprim3tagENS9_11use_defaultESF_EEEENSB_INSC_IlSE_SF_SF_EEEEZNS1_13binary_searchIS3_S6_NSB_INS9_10device_ptrIS5_EEEESH_SJ_NS1_21upper_bound_search_opENSA_16wrapped_functionINS9_7greaterIS5_EEbEEEE10hipError_tPvRmT1_T2_T3_mmT4_T5_P12ihipStream_tbEUlRKS5_E_EEST_SX_SY_mSZ_S12_bEUlT_E_NS1_11comp_targetILNS1_3genE9ELNS1_11target_archE1100ELNS1_3gpuE3ELNS1_3repE0EEENS1_30default_config_static_selectorELNS0_4arch9wavefront6targetE0EEEvSW_
	.globl	_ZN7rocprim17ROCPRIM_400000_NS6detail17trampoline_kernelINS0_14default_configENS1_27upper_bound_config_selectorI14custom_numericlEEZNS1_14transform_implILb0ES3_S6_N6thrust23THRUST_200600_302600_NS6detail15normal_iteratorINS9_7pointerIS5_NS9_11hip_rocprim3tagENS9_11use_defaultESF_EEEENSB_INSC_IlSE_SF_SF_EEEEZNS1_13binary_searchIS3_S6_NSB_INS9_10device_ptrIS5_EEEESH_SJ_NS1_21upper_bound_search_opENSA_16wrapped_functionINS9_7greaterIS5_EEbEEEE10hipError_tPvRmT1_T2_T3_mmT4_T5_P12ihipStream_tbEUlRKS5_E_EEST_SX_SY_mSZ_S12_bEUlT_E_NS1_11comp_targetILNS1_3genE9ELNS1_11target_archE1100ELNS1_3gpuE3ELNS1_3repE0EEENS1_30default_config_static_selectorELNS0_4arch9wavefront6targetE0EEEvSW_
	.p2align	8
	.type	_ZN7rocprim17ROCPRIM_400000_NS6detail17trampoline_kernelINS0_14default_configENS1_27upper_bound_config_selectorI14custom_numericlEEZNS1_14transform_implILb0ES3_S6_N6thrust23THRUST_200600_302600_NS6detail15normal_iteratorINS9_7pointerIS5_NS9_11hip_rocprim3tagENS9_11use_defaultESF_EEEENSB_INSC_IlSE_SF_SF_EEEEZNS1_13binary_searchIS3_S6_NSB_INS9_10device_ptrIS5_EEEESH_SJ_NS1_21upper_bound_search_opENSA_16wrapped_functionINS9_7greaterIS5_EEbEEEE10hipError_tPvRmT1_T2_T3_mmT4_T5_P12ihipStream_tbEUlRKS5_E_EEST_SX_SY_mSZ_S12_bEUlT_E_NS1_11comp_targetILNS1_3genE9ELNS1_11target_archE1100ELNS1_3gpuE3ELNS1_3repE0EEENS1_30default_config_static_selectorELNS0_4arch9wavefront6targetE0EEEvSW_,@function
_ZN7rocprim17ROCPRIM_400000_NS6detail17trampoline_kernelINS0_14default_configENS1_27upper_bound_config_selectorI14custom_numericlEEZNS1_14transform_implILb0ES3_S6_N6thrust23THRUST_200600_302600_NS6detail15normal_iteratorINS9_7pointerIS5_NS9_11hip_rocprim3tagENS9_11use_defaultESF_EEEENSB_INSC_IlSE_SF_SF_EEEEZNS1_13binary_searchIS3_S6_NSB_INS9_10device_ptrIS5_EEEESH_SJ_NS1_21upper_bound_search_opENSA_16wrapped_functionINS9_7greaterIS5_EEbEEEE10hipError_tPvRmT1_T2_T3_mmT4_T5_P12ihipStream_tbEUlRKS5_E_EEST_SX_SY_mSZ_S12_bEUlT_E_NS1_11comp_targetILNS1_3genE9ELNS1_11target_archE1100ELNS1_3gpuE3ELNS1_3repE0EEENS1_30default_config_static_selectorELNS0_4arch9wavefront6targetE0EEEvSW_: ; @_ZN7rocprim17ROCPRIM_400000_NS6detail17trampoline_kernelINS0_14default_configENS1_27upper_bound_config_selectorI14custom_numericlEEZNS1_14transform_implILb0ES3_S6_N6thrust23THRUST_200600_302600_NS6detail15normal_iteratorINS9_7pointerIS5_NS9_11hip_rocprim3tagENS9_11use_defaultESF_EEEENSB_INSC_IlSE_SF_SF_EEEEZNS1_13binary_searchIS3_S6_NSB_INS9_10device_ptrIS5_EEEESH_SJ_NS1_21upper_bound_search_opENSA_16wrapped_functionINS9_7greaterIS5_EEbEEEE10hipError_tPvRmT1_T2_T3_mmT4_T5_P12ihipStream_tbEUlRKS5_E_EEST_SX_SY_mSZ_S12_bEUlT_E_NS1_11comp_targetILNS1_3genE9ELNS1_11target_archE1100ELNS1_3gpuE3ELNS1_3repE0EEENS1_30default_config_static_selectorELNS0_4arch9wavefront6targetE0EEEvSW_
; %bb.0:
	.section	.rodata,"a",@progbits
	.p2align	6, 0x0
	.amdhsa_kernel _ZN7rocprim17ROCPRIM_400000_NS6detail17trampoline_kernelINS0_14default_configENS1_27upper_bound_config_selectorI14custom_numericlEEZNS1_14transform_implILb0ES3_S6_N6thrust23THRUST_200600_302600_NS6detail15normal_iteratorINS9_7pointerIS5_NS9_11hip_rocprim3tagENS9_11use_defaultESF_EEEENSB_INSC_IlSE_SF_SF_EEEEZNS1_13binary_searchIS3_S6_NSB_INS9_10device_ptrIS5_EEEESH_SJ_NS1_21upper_bound_search_opENSA_16wrapped_functionINS9_7greaterIS5_EEbEEEE10hipError_tPvRmT1_T2_T3_mmT4_T5_P12ihipStream_tbEUlRKS5_E_EEST_SX_SY_mSZ_S12_bEUlT_E_NS1_11comp_targetILNS1_3genE9ELNS1_11target_archE1100ELNS1_3gpuE3ELNS1_3repE0EEENS1_30default_config_static_selectorELNS0_4arch9wavefront6targetE0EEEvSW_
		.amdhsa_group_segment_fixed_size 0
		.amdhsa_private_segment_fixed_size 0
		.amdhsa_kernarg_size 56
		.amdhsa_user_sgpr_count 2
		.amdhsa_user_sgpr_dispatch_ptr 0
		.amdhsa_user_sgpr_queue_ptr 0
		.amdhsa_user_sgpr_kernarg_segment_ptr 1
		.amdhsa_user_sgpr_dispatch_id 0
		.amdhsa_user_sgpr_kernarg_preload_length 0
		.amdhsa_user_sgpr_kernarg_preload_offset 0
		.amdhsa_user_sgpr_private_segment_size 0
		.amdhsa_wavefront_size32 1
		.amdhsa_uses_dynamic_stack 0
		.amdhsa_enable_private_segment 0
		.amdhsa_system_sgpr_workgroup_id_x 1
		.amdhsa_system_sgpr_workgroup_id_y 0
		.amdhsa_system_sgpr_workgroup_id_z 0
		.amdhsa_system_sgpr_workgroup_info 0
		.amdhsa_system_vgpr_workitem_id 0
		.amdhsa_next_free_vgpr 1
		.amdhsa_next_free_sgpr 1
		.amdhsa_named_barrier_count 0
		.amdhsa_reserve_vcc 0
		.amdhsa_float_round_mode_32 0
		.amdhsa_float_round_mode_16_64 0
		.amdhsa_float_denorm_mode_32 3
		.amdhsa_float_denorm_mode_16_64 3
		.amdhsa_fp16_overflow 0
		.amdhsa_memory_ordered 1
		.amdhsa_forward_progress 1
		.amdhsa_inst_pref_size 0
		.amdhsa_round_robin_scheduling 0
		.amdhsa_exception_fp_ieee_invalid_op 0
		.amdhsa_exception_fp_denorm_src 0
		.amdhsa_exception_fp_ieee_div_zero 0
		.amdhsa_exception_fp_ieee_overflow 0
		.amdhsa_exception_fp_ieee_underflow 0
		.amdhsa_exception_fp_ieee_inexact 0
		.amdhsa_exception_int_div_zero 0
	.end_amdhsa_kernel
	.section	.text._ZN7rocprim17ROCPRIM_400000_NS6detail17trampoline_kernelINS0_14default_configENS1_27upper_bound_config_selectorI14custom_numericlEEZNS1_14transform_implILb0ES3_S6_N6thrust23THRUST_200600_302600_NS6detail15normal_iteratorINS9_7pointerIS5_NS9_11hip_rocprim3tagENS9_11use_defaultESF_EEEENSB_INSC_IlSE_SF_SF_EEEEZNS1_13binary_searchIS3_S6_NSB_INS9_10device_ptrIS5_EEEESH_SJ_NS1_21upper_bound_search_opENSA_16wrapped_functionINS9_7greaterIS5_EEbEEEE10hipError_tPvRmT1_T2_T3_mmT4_T5_P12ihipStream_tbEUlRKS5_E_EEST_SX_SY_mSZ_S12_bEUlT_E_NS1_11comp_targetILNS1_3genE9ELNS1_11target_archE1100ELNS1_3gpuE3ELNS1_3repE0EEENS1_30default_config_static_selectorELNS0_4arch9wavefront6targetE0EEEvSW_,"axG",@progbits,_ZN7rocprim17ROCPRIM_400000_NS6detail17trampoline_kernelINS0_14default_configENS1_27upper_bound_config_selectorI14custom_numericlEEZNS1_14transform_implILb0ES3_S6_N6thrust23THRUST_200600_302600_NS6detail15normal_iteratorINS9_7pointerIS5_NS9_11hip_rocprim3tagENS9_11use_defaultESF_EEEENSB_INSC_IlSE_SF_SF_EEEEZNS1_13binary_searchIS3_S6_NSB_INS9_10device_ptrIS5_EEEESH_SJ_NS1_21upper_bound_search_opENSA_16wrapped_functionINS9_7greaterIS5_EEbEEEE10hipError_tPvRmT1_T2_T3_mmT4_T5_P12ihipStream_tbEUlRKS5_E_EEST_SX_SY_mSZ_S12_bEUlT_E_NS1_11comp_targetILNS1_3genE9ELNS1_11target_archE1100ELNS1_3gpuE3ELNS1_3repE0EEENS1_30default_config_static_selectorELNS0_4arch9wavefront6targetE0EEEvSW_,comdat
.Lfunc_end120:
	.size	_ZN7rocprim17ROCPRIM_400000_NS6detail17trampoline_kernelINS0_14default_configENS1_27upper_bound_config_selectorI14custom_numericlEEZNS1_14transform_implILb0ES3_S6_N6thrust23THRUST_200600_302600_NS6detail15normal_iteratorINS9_7pointerIS5_NS9_11hip_rocprim3tagENS9_11use_defaultESF_EEEENSB_INSC_IlSE_SF_SF_EEEEZNS1_13binary_searchIS3_S6_NSB_INS9_10device_ptrIS5_EEEESH_SJ_NS1_21upper_bound_search_opENSA_16wrapped_functionINS9_7greaterIS5_EEbEEEE10hipError_tPvRmT1_T2_T3_mmT4_T5_P12ihipStream_tbEUlRKS5_E_EEST_SX_SY_mSZ_S12_bEUlT_E_NS1_11comp_targetILNS1_3genE9ELNS1_11target_archE1100ELNS1_3gpuE3ELNS1_3repE0EEENS1_30default_config_static_selectorELNS0_4arch9wavefront6targetE0EEEvSW_, .Lfunc_end120-_ZN7rocprim17ROCPRIM_400000_NS6detail17trampoline_kernelINS0_14default_configENS1_27upper_bound_config_selectorI14custom_numericlEEZNS1_14transform_implILb0ES3_S6_N6thrust23THRUST_200600_302600_NS6detail15normal_iteratorINS9_7pointerIS5_NS9_11hip_rocprim3tagENS9_11use_defaultESF_EEEENSB_INSC_IlSE_SF_SF_EEEEZNS1_13binary_searchIS3_S6_NSB_INS9_10device_ptrIS5_EEEESH_SJ_NS1_21upper_bound_search_opENSA_16wrapped_functionINS9_7greaterIS5_EEbEEEE10hipError_tPvRmT1_T2_T3_mmT4_T5_P12ihipStream_tbEUlRKS5_E_EEST_SX_SY_mSZ_S12_bEUlT_E_NS1_11comp_targetILNS1_3genE9ELNS1_11target_archE1100ELNS1_3gpuE3ELNS1_3repE0EEENS1_30default_config_static_selectorELNS0_4arch9wavefront6targetE0EEEvSW_
                                        ; -- End function
	.set _ZN7rocprim17ROCPRIM_400000_NS6detail17trampoline_kernelINS0_14default_configENS1_27upper_bound_config_selectorI14custom_numericlEEZNS1_14transform_implILb0ES3_S6_N6thrust23THRUST_200600_302600_NS6detail15normal_iteratorINS9_7pointerIS5_NS9_11hip_rocprim3tagENS9_11use_defaultESF_EEEENSB_INSC_IlSE_SF_SF_EEEEZNS1_13binary_searchIS3_S6_NSB_INS9_10device_ptrIS5_EEEESH_SJ_NS1_21upper_bound_search_opENSA_16wrapped_functionINS9_7greaterIS5_EEbEEEE10hipError_tPvRmT1_T2_T3_mmT4_T5_P12ihipStream_tbEUlRKS5_E_EEST_SX_SY_mSZ_S12_bEUlT_E_NS1_11comp_targetILNS1_3genE9ELNS1_11target_archE1100ELNS1_3gpuE3ELNS1_3repE0EEENS1_30default_config_static_selectorELNS0_4arch9wavefront6targetE0EEEvSW_.num_vgpr, 0
	.set _ZN7rocprim17ROCPRIM_400000_NS6detail17trampoline_kernelINS0_14default_configENS1_27upper_bound_config_selectorI14custom_numericlEEZNS1_14transform_implILb0ES3_S6_N6thrust23THRUST_200600_302600_NS6detail15normal_iteratorINS9_7pointerIS5_NS9_11hip_rocprim3tagENS9_11use_defaultESF_EEEENSB_INSC_IlSE_SF_SF_EEEEZNS1_13binary_searchIS3_S6_NSB_INS9_10device_ptrIS5_EEEESH_SJ_NS1_21upper_bound_search_opENSA_16wrapped_functionINS9_7greaterIS5_EEbEEEE10hipError_tPvRmT1_T2_T3_mmT4_T5_P12ihipStream_tbEUlRKS5_E_EEST_SX_SY_mSZ_S12_bEUlT_E_NS1_11comp_targetILNS1_3genE9ELNS1_11target_archE1100ELNS1_3gpuE3ELNS1_3repE0EEENS1_30default_config_static_selectorELNS0_4arch9wavefront6targetE0EEEvSW_.num_agpr, 0
	.set _ZN7rocprim17ROCPRIM_400000_NS6detail17trampoline_kernelINS0_14default_configENS1_27upper_bound_config_selectorI14custom_numericlEEZNS1_14transform_implILb0ES3_S6_N6thrust23THRUST_200600_302600_NS6detail15normal_iteratorINS9_7pointerIS5_NS9_11hip_rocprim3tagENS9_11use_defaultESF_EEEENSB_INSC_IlSE_SF_SF_EEEEZNS1_13binary_searchIS3_S6_NSB_INS9_10device_ptrIS5_EEEESH_SJ_NS1_21upper_bound_search_opENSA_16wrapped_functionINS9_7greaterIS5_EEbEEEE10hipError_tPvRmT1_T2_T3_mmT4_T5_P12ihipStream_tbEUlRKS5_E_EEST_SX_SY_mSZ_S12_bEUlT_E_NS1_11comp_targetILNS1_3genE9ELNS1_11target_archE1100ELNS1_3gpuE3ELNS1_3repE0EEENS1_30default_config_static_selectorELNS0_4arch9wavefront6targetE0EEEvSW_.numbered_sgpr, 0
	.set _ZN7rocprim17ROCPRIM_400000_NS6detail17trampoline_kernelINS0_14default_configENS1_27upper_bound_config_selectorI14custom_numericlEEZNS1_14transform_implILb0ES3_S6_N6thrust23THRUST_200600_302600_NS6detail15normal_iteratorINS9_7pointerIS5_NS9_11hip_rocprim3tagENS9_11use_defaultESF_EEEENSB_INSC_IlSE_SF_SF_EEEEZNS1_13binary_searchIS3_S6_NSB_INS9_10device_ptrIS5_EEEESH_SJ_NS1_21upper_bound_search_opENSA_16wrapped_functionINS9_7greaterIS5_EEbEEEE10hipError_tPvRmT1_T2_T3_mmT4_T5_P12ihipStream_tbEUlRKS5_E_EEST_SX_SY_mSZ_S12_bEUlT_E_NS1_11comp_targetILNS1_3genE9ELNS1_11target_archE1100ELNS1_3gpuE3ELNS1_3repE0EEENS1_30default_config_static_selectorELNS0_4arch9wavefront6targetE0EEEvSW_.num_named_barrier, 0
	.set _ZN7rocprim17ROCPRIM_400000_NS6detail17trampoline_kernelINS0_14default_configENS1_27upper_bound_config_selectorI14custom_numericlEEZNS1_14transform_implILb0ES3_S6_N6thrust23THRUST_200600_302600_NS6detail15normal_iteratorINS9_7pointerIS5_NS9_11hip_rocprim3tagENS9_11use_defaultESF_EEEENSB_INSC_IlSE_SF_SF_EEEEZNS1_13binary_searchIS3_S6_NSB_INS9_10device_ptrIS5_EEEESH_SJ_NS1_21upper_bound_search_opENSA_16wrapped_functionINS9_7greaterIS5_EEbEEEE10hipError_tPvRmT1_T2_T3_mmT4_T5_P12ihipStream_tbEUlRKS5_E_EEST_SX_SY_mSZ_S12_bEUlT_E_NS1_11comp_targetILNS1_3genE9ELNS1_11target_archE1100ELNS1_3gpuE3ELNS1_3repE0EEENS1_30default_config_static_selectorELNS0_4arch9wavefront6targetE0EEEvSW_.private_seg_size, 0
	.set _ZN7rocprim17ROCPRIM_400000_NS6detail17trampoline_kernelINS0_14default_configENS1_27upper_bound_config_selectorI14custom_numericlEEZNS1_14transform_implILb0ES3_S6_N6thrust23THRUST_200600_302600_NS6detail15normal_iteratorINS9_7pointerIS5_NS9_11hip_rocprim3tagENS9_11use_defaultESF_EEEENSB_INSC_IlSE_SF_SF_EEEEZNS1_13binary_searchIS3_S6_NSB_INS9_10device_ptrIS5_EEEESH_SJ_NS1_21upper_bound_search_opENSA_16wrapped_functionINS9_7greaterIS5_EEbEEEE10hipError_tPvRmT1_T2_T3_mmT4_T5_P12ihipStream_tbEUlRKS5_E_EEST_SX_SY_mSZ_S12_bEUlT_E_NS1_11comp_targetILNS1_3genE9ELNS1_11target_archE1100ELNS1_3gpuE3ELNS1_3repE0EEENS1_30default_config_static_selectorELNS0_4arch9wavefront6targetE0EEEvSW_.uses_vcc, 0
	.set _ZN7rocprim17ROCPRIM_400000_NS6detail17trampoline_kernelINS0_14default_configENS1_27upper_bound_config_selectorI14custom_numericlEEZNS1_14transform_implILb0ES3_S6_N6thrust23THRUST_200600_302600_NS6detail15normal_iteratorINS9_7pointerIS5_NS9_11hip_rocprim3tagENS9_11use_defaultESF_EEEENSB_INSC_IlSE_SF_SF_EEEEZNS1_13binary_searchIS3_S6_NSB_INS9_10device_ptrIS5_EEEESH_SJ_NS1_21upper_bound_search_opENSA_16wrapped_functionINS9_7greaterIS5_EEbEEEE10hipError_tPvRmT1_T2_T3_mmT4_T5_P12ihipStream_tbEUlRKS5_E_EEST_SX_SY_mSZ_S12_bEUlT_E_NS1_11comp_targetILNS1_3genE9ELNS1_11target_archE1100ELNS1_3gpuE3ELNS1_3repE0EEENS1_30default_config_static_selectorELNS0_4arch9wavefront6targetE0EEEvSW_.uses_flat_scratch, 0
	.set _ZN7rocprim17ROCPRIM_400000_NS6detail17trampoline_kernelINS0_14default_configENS1_27upper_bound_config_selectorI14custom_numericlEEZNS1_14transform_implILb0ES3_S6_N6thrust23THRUST_200600_302600_NS6detail15normal_iteratorINS9_7pointerIS5_NS9_11hip_rocprim3tagENS9_11use_defaultESF_EEEENSB_INSC_IlSE_SF_SF_EEEEZNS1_13binary_searchIS3_S6_NSB_INS9_10device_ptrIS5_EEEESH_SJ_NS1_21upper_bound_search_opENSA_16wrapped_functionINS9_7greaterIS5_EEbEEEE10hipError_tPvRmT1_T2_T3_mmT4_T5_P12ihipStream_tbEUlRKS5_E_EEST_SX_SY_mSZ_S12_bEUlT_E_NS1_11comp_targetILNS1_3genE9ELNS1_11target_archE1100ELNS1_3gpuE3ELNS1_3repE0EEENS1_30default_config_static_selectorELNS0_4arch9wavefront6targetE0EEEvSW_.has_dyn_sized_stack, 0
	.set _ZN7rocprim17ROCPRIM_400000_NS6detail17trampoline_kernelINS0_14default_configENS1_27upper_bound_config_selectorI14custom_numericlEEZNS1_14transform_implILb0ES3_S6_N6thrust23THRUST_200600_302600_NS6detail15normal_iteratorINS9_7pointerIS5_NS9_11hip_rocprim3tagENS9_11use_defaultESF_EEEENSB_INSC_IlSE_SF_SF_EEEEZNS1_13binary_searchIS3_S6_NSB_INS9_10device_ptrIS5_EEEESH_SJ_NS1_21upper_bound_search_opENSA_16wrapped_functionINS9_7greaterIS5_EEbEEEE10hipError_tPvRmT1_T2_T3_mmT4_T5_P12ihipStream_tbEUlRKS5_E_EEST_SX_SY_mSZ_S12_bEUlT_E_NS1_11comp_targetILNS1_3genE9ELNS1_11target_archE1100ELNS1_3gpuE3ELNS1_3repE0EEENS1_30default_config_static_selectorELNS0_4arch9wavefront6targetE0EEEvSW_.has_recursion, 0
	.set _ZN7rocprim17ROCPRIM_400000_NS6detail17trampoline_kernelINS0_14default_configENS1_27upper_bound_config_selectorI14custom_numericlEEZNS1_14transform_implILb0ES3_S6_N6thrust23THRUST_200600_302600_NS6detail15normal_iteratorINS9_7pointerIS5_NS9_11hip_rocprim3tagENS9_11use_defaultESF_EEEENSB_INSC_IlSE_SF_SF_EEEEZNS1_13binary_searchIS3_S6_NSB_INS9_10device_ptrIS5_EEEESH_SJ_NS1_21upper_bound_search_opENSA_16wrapped_functionINS9_7greaterIS5_EEbEEEE10hipError_tPvRmT1_T2_T3_mmT4_T5_P12ihipStream_tbEUlRKS5_E_EEST_SX_SY_mSZ_S12_bEUlT_E_NS1_11comp_targetILNS1_3genE9ELNS1_11target_archE1100ELNS1_3gpuE3ELNS1_3repE0EEENS1_30default_config_static_selectorELNS0_4arch9wavefront6targetE0EEEvSW_.has_indirect_call, 0
	.section	.AMDGPU.csdata,"",@progbits
; Kernel info:
; codeLenInByte = 0
; TotalNumSgprs: 0
; NumVgprs: 0
; ScratchSize: 0
; MemoryBound: 0
; FloatMode: 240
; IeeeMode: 1
; LDSByteSize: 0 bytes/workgroup (compile time only)
; SGPRBlocks: 0
; VGPRBlocks: 0
; NumSGPRsForWavesPerEU: 1
; NumVGPRsForWavesPerEU: 1
; NamedBarCnt: 0
; Occupancy: 16
; WaveLimiterHint : 0
; COMPUTE_PGM_RSRC2:SCRATCH_EN: 0
; COMPUTE_PGM_RSRC2:USER_SGPR: 2
; COMPUTE_PGM_RSRC2:TRAP_HANDLER: 0
; COMPUTE_PGM_RSRC2:TGID_X_EN: 1
; COMPUTE_PGM_RSRC2:TGID_Y_EN: 0
; COMPUTE_PGM_RSRC2:TGID_Z_EN: 0
; COMPUTE_PGM_RSRC2:TIDIG_COMP_CNT: 0
	.section	.text._ZN7rocprim17ROCPRIM_400000_NS6detail17trampoline_kernelINS0_14default_configENS1_27upper_bound_config_selectorI14custom_numericlEEZNS1_14transform_implILb0ES3_S6_N6thrust23THRUST_200600_302600_NS6detail15normal_iteratorINS9_7pointerIS5_NS9_11hip_rocprim3tagENS9_11use_defaultESF_EEEENSB_INSC_IlSE_SF_SF_EEEEZNS1_13binary_searchIS3_S6_NSB_INS9_10device_ptrIS5_EEEESH_SJ_NS1_21upper_bound_search_opENSA_16wrapped_functionINS9_7greaterIS5_EEbEEEE10hipError_tPvRmT1_T2_T3_mmT4_T5_P12ihipStream_tbEUlRKS5_E_EEST_SX_SY_mSZ_S12_bEUlT_E_NS1_11comp_targetILNS1_3genE8ELNS1_11target_archE1030ELNS1_3gpuE2ELNS1_3repE0EEENS1_30default_config_static_selectorELNS0_4arch9wavefront6targetE0EEEvSW_,"axG",@progbits,_ZN7rocprim17ROCPRIM_400000_NS6detail17trampoline_kernelINS0_14default_configENS1_27upper_bound_config_selectorI14custom_numericlEEZNS1_14transform_implILb0ES3_S6_N6thrust23THRUST_200600_302600_NS6detail15normal_iteratorINS9_7pointerIS5_NS9_11hip_rocprim3tagENS9_11use_defaultESF_EEEENSB_INSC_IlSE_SF_SF_EEEEZNS1_13binary_searchIS3_S6_NSB_INS9_10device_ptrIS5_EEEESH_SJ_NS1_21upper_bound_search_opENSA_16wrapped_functionINS9_7greaterIS5_EEbEEEE10hipError_tPvRmT1_T2_T3_mmT4_T5_P12ihipStream_tbEUlRKS5_E_EEST_SX_SY_mSZ_S12_bEUlT_E_NS1_11comp_targetILNS1_3genE8ELNS1_11target_archE1030ELNS1_3gpuE2ELNS1_3repE0EEENS1_30default_config_static_selectorELNS0_4arch9wavefront6targetE0EEEvSW_,comdat
	.protected	_ZN7rocprim17ROCPRIM_400000_NS6detail17trampoline_kernelINS0_14default_configENS1_27upper_bound_config_selectorI14custom_numericlEEZNS1_14transform_implILb0ES3_S6_N6thrust23THRUST_200600_302600_NS6detail15normal_iteratorINS9_7pointerIS5_NS9_11hip_rocprim3tagENS9_11use_defaultESF_EEEENSB_INSC_IlSE_SF_SF_EEEEZNS1_13binary_searchIS3_S6_NSB_INS9_10device_ptrIS5_EEEESH_SJ_NS1_21upper_bound_search_opENSA_16wrapped_functionINS9_7greaterIS5_EEbEEEE10hipError_tPvRmT1_T2_T3_mmT4_T5_P12ihipStream_tbEUlRKS5_E_EEST_SX_SY_mSZ_S12_bEUlT_E_NS1_11comp_targetILNS1_3genE8ELNS1_11target_archE1030ELNS1_3gpuE2ELNS1_3repE0EEENS1_30default_config_static_selectorELNS0_4arch9wavefront6targetE0EEEvSW_ ; -- Begin function _ZN7rocprim17ROCPRIM_400000_NS6detail17trampoline_kernelINS0_14default_configENS1_27upper_bound_config_selectorI14custom_numericlEEZNS1_14transform_implILb0ES3_S6_N6thrust23THRUST_200600_302600_NS6detail15normal_iteratorINS9_7pointerIS5_NS9_11hip_rocprim3tagENS9_11use_defaultESF_EEEENSB_INSC_IlSE_SF_SF_EEEEZNS1_13binary_searchIS3_S6_NSB_INS9_10device_ptrIS5_EEEESH_SJ_NS1_21upper_bound_search_opENSA_16wrapped_functionINS9_7greaterIS5_EEbEEEE10hipError_tPvRmT1_T2_T3_mmT4_T5_P12ihipStream_tbEUlRKS5_E_EEST_SX_SY_mSZ_S12_bEUlT_E_NS1_11comp_targetILNS1_3genE8ELNS1_11target_archE1030ELNS1_3gpuE2ELNS1_3repE0EEENS1_30default_config_static_selectorELNS0_4arch9wavefront6targetE0EEEvSW_
	.globl	_ZN7rocprim17ROCPRIM_400000_NS6detail17trampoline_kernelINS0_14default_configENS1_27upper_bound_config_selectorI14custom_numericlEEZNS1_14transform_implILb0ES3_S6_N6thrust23THRUST_200600_302600_NS6detail15normal_iteratorINS9_7pointerIS5_NS9_11hip_rocprim3tagENS9_11use_defaultESF_EEEENSB_INSC_IlSE_SF_SF_EEEEZNS1_13binary_searchIS3_S6_NSB_INS9_10device_ptrIS5_EEEESH_SJ_NS1_21upper_bound_search_opENSA_16wrapped_functionINS9_7greaterIS5_EEbEEEE10hipError_tPvRmT1_T2_T3_mmT4_T5_P12ihipStream_tbEUlRKS5_E_EEST_SX_SY_mSZ_S12_bEUlT_E_NS1_11comp_targetILNS1_3genE8ELNS1_11target_archE1030ELNS1_3gpuE2ELNS1_3repE0EEENS1_30default_config_static_selectorELNS0_4arch9wavefront6targetE0EEEvSW_
	.p2align	8
	.type	_ZN7rocprim17ROCPRIM_400000_NS6detail17trampoline_kernelINS0_14default_configENS1_27upper_bound_config_selectorI14custom_numericlEEZNS1_14transform_implILb0ES3_S6_N6thrust23THRUST_200600_302600_NS6detail15normal_iteratorINS9_7pointerIS5_NS9_11hip_rocprim3tagENS9_11use_defaultESF_EEEENSB_INSC_IlSE_SF_SF_EEEEZNS1_13binary_searchIS3_S6_NSB_INS9_10device_ptrIS5_EEEESH_SJ_NS1_21upper_bound_search_opENSA_16wrapped_functionINS9_7greaterIS5_EEbEEEE10hipError_tPvRmT1_T2_T3_mmT4_T5_P12ihipStream_tbEUlRKS5_E_EEST_SX_SY_mSZ_S12_bEUlT_E_NS1_11comp_targetILNS1_3genE8ELNS1_11target_archE1030ELNS1_3gpuE2ELNS1_3repE0EEENS1_30default_config_static_selectorELNS0_4arch9wavefront6targetE0EEEvSW_,@function
_ZN7rocprim17ROCPRIM_400000_NS6detail17trampoline_kernelINS0_14default_configENS1_27upper_bound_config_selectorI14custom_numericlEEZNS1_14transform_implILb0ES3_S6_N6thrust23THRUST_200600_302600_NS6detail15normal_iteratorINS9_7pointerIS5_NS9_11hip_rocprim3tagENS9_11use_defaultESF_EEEENSB_INSC_IlSE_SF_SF_EEEEZNS1_13binary_searchIS3_S6_NSB_INS9_10device_ptrIS5_EEEESH_SJ_NS1_21upper_bound_search_opENSA_16wrapped_functionINS9_7greaterIS5_EEbEEEE10hipError_tPvRmT1_T2_T3_mmT4_T5_P12ihipStream_tbEUlRKS5_E_EEST_SX_SY_mSZ_S12_bEUlT_E_NS1_11comp_targetILNS1_3genE8ELNS1_11target_archE1030ELNS1_3gpuE2ELNS1_3repE0EEENS1_30default_config_static_selectorELNS0_4arch9wavefront6targetE0EEEvSW_: ; @_ZN7rocprim17ROCPRIM_400000_NS6detail17trampoline_kernelINS0_14default_configENS1_27upper_bound_config_selectorI14custom_numericlEEZNS1_14transform_implILb0ES3_S6_N6thrust23THRUST_200600_302600_NS6detail15normal_iteratorINS9_7pointerIS5_NS9_11hip_rocprim3tagENS9_11use_defaultESF_EEEENSB_INSC_IlSE_SF_SF_EEEEZNS1_13binary_searchIS3_S6_NSB_INS9_10device_ptrIS5_EEEESH_SJ_NS1_21upper_bound_search_opENSA_16wrapped_functionINS9_7greaterIS5_EEbEEEE10hipError_tPvRmT1_T2_T3_mmT4_T5_P12ihipStream_tbEUlRKS5_E_EEST_SX_SY_mSZ_S12_bEUlT_E_NS1_11comp_targetILNS1_3genE8ELNS1_11target_archE1030ELNS1_3gpuE2ELNS1_3repE0EEENS1_30default_config_static_selectorELNS0_4arch9wavefront6targetE0EEEvSW_
; %bb.0:
	.section	.rodata,"a",@progbits
	.p2align	6, 0x0
	.amdhsa_kernel _ZN7rocprim17ROCPRIM_400000_NS6detail17trampoline_kernelINS0_14default_configENS1_27upper_bound_config_selectorI14custom_numericlEEZNS1_14transform_implILb0ES3_S6_N6thrust23THRUST_200600_302600_NS6detail15normal_iteratorINS9_7pointerIS5_NS9_11hip_rocprim3tagENS9_11use_defaultESF_EEEENSB_INSC_IlSE_SF_SF_EEEEZNS1_13binary_searchIS3_S6_NSB_INS9_10device_ptrIS5_EEEESH_SJ_NS1_21upper_bound_search_opENSA_16wrapped_functionINS9_7greaterIS5_EEbEEEE10hipError_tPvRmT1_T2_T3_mmT4_T5_P12ihipStream_tbEUlRKS5_E_EEST_SX_SY_mSZ_S12_bEUlT_E_NS1_11comp_targetILNS1_3genE8ELNS1_11target_archE1030ELNS1_3gpuE2ELNS1_3repE0EEENS1_30default_config_static_selectorELNS0_4arch9wavefront6targetE0EEEvSW_
		.amdhsa_group_segment_fixed_size 0
		.amdhsa_private_segment_fixed_size 0
		.amdhsa_kernarg_size 56
		.amdhsa_user_sgpr_count 2
		.amdhsa_user_sgpr_dispatch_ptr 0
		.amdhsa_user_sgpr_queue_ptr 0
		.amdhsa_user_sgpr_kernarg_segment_ptr 1
		.amdhsa_user_sgpr_dispatch_id 0
		.amdhsa_user_sgpr_kernarg_preload_length 0
		.amdhsa_user_sgpr_kernarg_preload_offset 0
		.amdhsa_user_sgpr_private_segment_size 0
		.amdhsa_wavefront_size32 1
		.amdhsa_uses_dynamic_stack 0
		.amdhsa_enable_private_segment 0
		.amdhsa_system_sgpr_workgroup_id_x 1
		.amdhsa_system_sgpr_workgroup_id_y 0
		.amdhsa_system_sgpr_workgroup_id_z 0
		.amdhsa_system_sgpr_workgroup_info 0
		.amdhsa_system_vgpr_workitem_id 0
		.amdhsa_next_free_vgpr 1
		.amdhsa_next_free_sgpr 1
		.amdhsa_named_barrier_count 0
		.amdhsa_reserve_vcc 0
		.amdhsa_float_round_mode_32 0
		.amdhsa_float_round_mode_16_64 0
		.amdhsa_float_denorm_mode_32 3
		.amdhsa_float_denorm_mode_16_64 3
		.amdhsa_fp16_overflow 0
		.amdhsa_memory_ordered 1
		.amdhsa_forward_progress 1
		.amdhsa_inst_pref_size 0
		.amdhsa_round_robin_scheduling 0
		.amdhsa_exception_fp_ieee_invalid_op 0
		.amdhsa_exception_fp_denorm_src 0
		.amdhsa_exception_fp_ieee_div_zero 0
		.amdhsa_exception_fp_ieee_overflow 0
		.amdhsa_exception_fp_ieee_underflow 0
		.amdhsa_exception_fp_ieee_inexact 0
		.amdhsa_exception_int_div_zero 0
	.end_amdhsa_kernel
	.section	.text._ZN7rocprim17ROCPRIM_400000_NS6detail17trampoline_kernelINS0_14default_configENS1_27upper_bound_config_selectorI14custom_numericlEEZNS1_14transform_implILb0ES3_S6_N6thrust23THRUST_200600_302600_NS6detail15normal_iteratorINS9_7pointerIS5_NS9_11hip_rocprim3tagENS9_11use_defaultESF_EEEENSB_INSC_IlSE_SF_SF_EEEEZNS1_13binary_searchIS3_S6_NSB_INS9_10device_ptrIS5_EEEESH_SJ_NS1_21upper_bound_search_opENSA_16wrapped_functionINS9_7greaterIS5_EEbEEEE10hipError_tPvRmT1_T2_T3_mmT4_T5_P12ihipStream_tbEUlRKS5_E_EEST_SX_SY_mSZ_S12_bEUlT_E_NS1_11comp_targetILNS1_3genE8ELNS1_11target_archE1030ELNS1_3gpuE2ELNS1_3repE0EEENS1_30default_config_static_selectorELNS0_4arch9wavefront6targetE0EEEvSW_,"axG",@progbits,_ZN7rocprim17ROCPRIM_400000_NS6detail17trampoline_kernelINS0_14default_configENS1_27upper_bound_config_selectorI14custom_numericlEEZNS1_14transform_implILb0ES3_S6_N6thrust23THRUST_200600_302600_NS6detail15normal_iteratorINS9_7pointerIS5_NS9_11hip_rocprim3tagENS9_11use_defaultESF_EEEENSB_INSC_IlSE_SF_SF_EEEEZNS1_13binary_searchIS3_S6_NSB_INS9_10device_ptrIS5_EEEESH_SJ_NS1_21upper_bound_search_opENSA_16wrapped_functionINS9_7greaterIS5_EEbEEEE10hipError_tPvRmT1_T2_T3_mmT4_T5_P12ihipStream_tbEUlRKS5_E_EEST_SX_SY_mSZ_S12_bEUlT_E_NS1_11comp_targetILNS1_3genE8ELNS1_11target_archE1030ELNS1_3gpuE2ELNS1_3repE0EEENS1_30default_config_static_selectorELNS0_4arch9wavefront6targetE0EEEvSW_,comdat
.Lfunc_end121:
	.size	_ZN7rocprim17ROCPRIM_400000_NS6detail17trampoline_kernelINS0_14default_configENS1_27upper_bound_config_selectorI14custom_numericlEEZNS1_14transform_implILb0ES3_S6_N6thrust23THRUST_200600_302600_NS6detail15normal_iteratorINS9_7pointerIS5_NS9_11hip_rocprim3tagENS9_11use_defaultESF_EEEENSB_INSC_IlSE_SF_SF_EEEEZNS1_13binary_searchIS3_S6_NSB_INS9_10device_ptrIS5_EEEESH_SJ_NS1_21upper_bound_search_opENSA_16wrapped_functionINS9_7greaterIS5_EEbEEEE10hipError_tPvRmT1_T2_T3_mmT4_T5_P12ihipStream_tbEUlRKS5_E_EEST_SX_SY_mSZ_S12_bEUlT_E_NS1_11comp_targetILNS1_3genE8ELNS1_11target_archE1030ELNS1_3gpuE2ELNS1_3repE0EEENS1_30default_config_static_selectorELNS0_4arch9wavefront6targetE0EEEvSW_, .Lfunc_end121-_ZN7rocprim17ROCPRIM_400000_NS6detail17trampoline_kernelINS0_14default_configENS1_27upper_bound_config_selectorI14custom_numericlEEZNS1_14transform_implILb0ES3_S6_N6thrust23THRUST_200600_302600_NS6detail15normal_iteratorINS9_7pointerIS5_NS9_11hip_rocprim3tagENS9_11use_defaultESF_EEEENSB_INSC_IlSE_SF_SF_EEEEZNS1_13binary_searchIS3_S6_NSB_INS9_10device_ptrIS5_EEEESH_SJ_NS1_21upper_bound_search_opENSA_16wrapped_functionINS9_7greaterIS5_EEbEEEE10hipError_tPvRmT1_T2_T3_mmT4_T5_P12ihipStream_tbEUlRKS5_E_EEST_SX_SY_mSZ_S12_bEUlT_E_NS1_11comp_targetILNS1_3genE8ELNS1_11target_archE1030ELNS1_3gpuE2ELNS1_3repE0EEENS1_30default_config_static_selectorELNS0_4arch9wavefront6targetE0EEEvSW_
                                        ; -- End function
	.set _ZN7rocprim17ROCPRIM_400000_NS6detail17trampoline_kernelINS0_14default_configENS1_27upper_bound_config_selectorI14custom_numericlEEZNS1_14transform_implILb0ES3_S6_N6thrust23THRUST_200600_302600_NS6detail15normal_iteratorINS9_7pointerIS5_NS9_11hip_rocprim3tagENS9_11use_defaultESF_EEEENSB_INSC_IlSE_SF_SF_EEEEZNS1_13binary_searchIS3_S6_NSB_INS9_10device_ptrIS5_EEEESH_SJ_NS1_21upper_bound_search_opENSA_16wrapped_functionINS9_7greaterIS5_EEbEEEE10hipError_tPvRmT1_T2_T3_mmT4_T5_P12ihipStream_tbEUlRKS5_E_EEST_SX_SY_mSZ_S12_bEUlT_E_NS1_11comp_targetILNS1_3genE8ELNS1_11target_archE1030ELNS1_3gpuE2ELNS1_3repE0EEENS1_30default_config_static_selectorELNS0_4arch9wavefront6targetE0EEEvSW_.num_vgpr, 0
	.set _ZN7rocprim17ROCPRIM_400000_NS6detail17trampoline_kernelINS0_14default_configENS1_27upper_bound_config_selectorI14custom_numericlEEZNS1_14transform_implILb0ES3_S6_N6thrust23THRUST_200600_302600_NS6detail15normal_iteratorINS9_7pointerIS5_NS9_11hip_rocprim3tagENS9_11use_defaultESF_EEEENSB_INSC_IlSE_SF_SF_EEEEZNS1_13binary_searchIS3_S6_NSB_INS9_10device_ptrIS5_EEEESH_SJ_NS1_21upper_bound_search_opENSA_16wrapped_functionINS9_7greaterIS5_EEbEEEE10hipError_tPvRmT1_T2_T3_mmT4_T5_P12ihipStream_tbEUlRKS5_E_EEST_SX_SY_mSZ_S12_bEUlT_E_NS1_11comp_targetILNS1_3genE8ELNS1_11target_archE1030ELNS1_3gpuE2ELNS1_3repE0EEENS1_30default_config_static_selectorELNS0_4arch9wavefront6targetE0EEEvSW_.num_agpr, 0
	.set _ZN7rocprim17ROCPRIM_400000_NS6detail17trampoline_kernelINS0_14default_configENS1_27upper_bound_config_selectorI14custom_numericlEEZNS1_14transform_implILb0ES3_S6_N6thrust23THRUST_200600_302600_NS6detail15normal_iteratorINS9_7pointerIS5_NS9_11hip_rocprim3tagENS9_11use_defaultESF_EEEENSB_INSC_IlSE_SF_SF_EEEEZNS1_13binary_searchIS3_S6_NSB_INS9_10device_ptrIS5_EEEESH_SJ_NS1_21upper_bound_search_opENSA_16wrapped_functionINS9_7greaterIS5_EEbEEEE10hipError_tPvRmT1_T2_T3_mmT4_T5_P12ihipStream_tbEUlRKS5_E_EEST_SX_SY_mSZ_S12_bEUlT_E_NS1_11comp_targetILNS1_3genE8ELNS1_11target_archE1030ELNS1_3gpuE2ELNS1_3repE0EEENS1_30default_config_static_selectorELNS0_4arch9wavefront6targetE0EEEvSW_.numbered_sgpr, 0
	.set _ZN7rocprim17ROCPRIM_400000_NS6detail17trampoline_kernelINS0_14default_configENS1_27upper_bound_config_selectorI14custom_numericlEEZNS1_14transform_implILb0ES3_S6_N6thrust23THRUST_200600_302600_NS6detail15normal_iteratorINS9_7pointerIS5_NS9_11hip_rocprim3tagENS9_11use_defaultESF_EEEENSB_INSC_IlSE_SF_SF_EEEEZNS1_13binary_searchIS3_S6_NSB_INS9_10device_ptrIS5_EEEESH_SJ_NS1_21upper_bound_search_opENSA_16wrapped_functionINS9_7greaterIS5_EEbEEEE10hipError_tPvRmT1_T2_T3_mmT4_T5_P12ihipStream_tbEUlRKS5_E_EEST_SX_SY_mSZ_S12_bEUlT_E_NS1_11comp_targetILNS1_3genE8ELNS1_11target_archE1030ELNS1_3gpuE2ELNS1_3repE0EEENS1_30default_config_static_selectorELNS0_4arch9wavefront6targetE0EEEvSW_.num_named_barrier, 0
	.set _ZN7rocprim17ROCPRIM_400000_NS6detail17trampoline_kernelINS0_14default_configENS1_27upper_bound_config_selectorI14custom_numericlEEZNS1_14transform_implILb0ES3_S6_N6thrust23THRUST_200600_302600_NS6detail15normal_iteratorINS9_7pointerIS5_NS9_11hip_rocprim3tagENS9_11use_defaultESF_EEEENSB_INSC_IlSE_SF_SF_EEEEZNS1_13binary_searchIS3_S6_NSB_INS9_10device_ptrIS5_EEEESH_SJ_NS1_21upper_bound_search_opENSA_16wrapped_functionINS9_7greaterIS5_EEbEEEE10hipError_tPvRmT1_T2_T3_mmT4_T5_P12ihipStream_tbEUlRKS5_E_EEST_SX_SY_mSZ_S12_bEUlT_E_NS1_11comp_targetILNS1_3genE8ELNS1_11target_archE1030ELNS1_3gpuE2ELNS1_3repE0EEENS1_30default_config_static_selectorELNS0_4arch9wavefront6targetE0EEEvSW_.private_seg_size, 0
	.set _ZN7rocprim17ROCPRIM_400000_NS6detail17trampoline_kernelINS0_14default_configENS1_27upper_bound_config_selectorI14custom_numericlEEZNS1_14transform_implILb0ES3_S6_N6thrust23THRUST_200600_302600_NS6detail15normal_iteratorINS9_7pointerIS5_NS9_11hip_rocprim3tagENS9_11use_defaultESF_EEEENSB_INSC_IlSE_SF_SF_EEEEZNS1_13binary_searchIS3_S6_NSB_INS9_10device_ptrIS5_EEEESH_SJ_NS1_21upper_bound_search_opENSA_16wrapped_functionINS9_7greaterIS5_EEbEEEE10hipError_tPvRmT1_T2_T3_mmT4_T5_P12ihipStream_tbEUlRKS5_E_EEST_SX_SY_mSZ_S12_bEUlT_E_NS1_11comp_targetILNS1_3genE8ELNS1_11target_archE1030ELNS1_3gpuE2ELNS1_3repE0EEENS1_30default_config_static_selectorELNS0_4arch9wavefront6targetE0EEEvSW_.uses_vcc, 0
	.set _ZN7rocprim17ROCPRIM_400000_NS6detail17trampoline_kernelINS0_14default_configENS1_27upper_bound_config_selectorI14custom_numericlEEZNS1_14transform_implILb0ES3_S6_N6thrust23THRUST_200600_302600_NS6detail15normal_iteratorINS9_7pointerIS5_NS9_11hip_rocprim3tagENS9_11use_defaultESF_EEEENSB_INSC_IlSE_SF_SF_EEEEZNS1_13binary_searchIS3_S6_NSB_INS9_10device_ptrIS5_EEEESH_SJ_NS1_21upper_bound_search_opENSA_16wrapped_functionINS9_7greaterIS5_EEbEEEE10hipError_tPvRmT1_T2_T3_mmT4_T5_P12ihipStream_tbEUlRKS5_E_EEST_SX_SY_mSZ_S12_bEUlT_E_NS1_11comp_targetILNS1_3genE8ELNS1_11target_archE1030ELNS1_3gpuE2ELNS1_3repE0EEENS1_30default_config_static_selectorELNS0_4arch9wavefront6targetE0EEEvSW_.uses_flat_scratch, 0
	.set _ZN7rocprim17ROCPRIM_400000_NS6detail17trampoline_kernelINS0_14default_configENS1_27upper_bound_config_selectorI14custom_numericlEEZNS1_14transform_implILb0ES3_S6_N6thrust23THRUST_200600_302600_NS6detail15normal_iteratorINS9_7pointerIS5_NS9_11hip_rocprim3tagENS9_11use_defaultESF_EEEENSB_INSC_IlSE_SF_SF_EEEEZNS1_13binary_searchIS3_S6_NSB_INS9_10device_ptrIS5_EEEESH_SJ_NS1_21upper_bound_search_opENSA_16wrapped_functionINS9_7greaterIS5_EEbEEEE10hipError_tPvRmT1_T2_T3_mmT4_T5_P12ihipStream_tbEUlRKS5_E_EEST_SX_SY_mSZ_S12_bEUlT_E_NS1_11comp_targetILNS1_3genE8ELNS1_11target_archE1030ELNS1_3gpuE2ELNS1_3repE0EEENS1_30default_config_static_selectorELNS0_4arch9wavefront6targetE0EEEvSW_.has_dyn_sized_stack, 0
	.set _ZN7rocprim17ROCPRIM_400000_NS6detail17trampoline_kernelINS0_14default_configENS1_27upper_bound_config_selectorI14custom_numericlEEZNS1_14transform_implILb0ES3_S6_N6thrust23THRUST_200600_302600_NS6detail15normal_iteratorINS9_7pointerIS5_NS9_11hip_rocprim3tagENS9_11use_defaultESF_EEEENSB_INSC_IlSE_SF_SF_EEEEZNS1_13binary_searchIS3_S6_NSB_INS9_10device_ptrIS5_EEEESH_SJ_NS1_21upper_bound_search_opENSA_16wrapped_functionINS9_7greaterIS5_EEbEEEE10hipError_tPvRmT1_T2_T3_mmT4_T5_P12ihipStream_tbEUlRKS5_E_EEST_SX_SY_mSZ_S12_bEUlT_E_NS1_11comp_targetILNS1_3genE8ELNS1_11target_archE1030ELNS1_3gpuE2ELNS1_3repE0EEENS1_30default_config_static_selectorELNS0_4arch9wavefront6targetE0EEEvSW_.has_recursion, 0
	.set _ZN7rocprim17ROCPRIM_400000_NS6detail17trampoline_kernelINS0_14default_configENS1_27upper_bound_config_selectorI14custom_numericlEEZNS1_14transform_implILb0ES3_S6_N6thrust23THRUST_200600_302600_NS6detail15normal_iteratorINS9_7pointerIS5_NS9_11hip_rocprim3tagENS9_11use_defaultESF_EEEENSB_INSC_IlSE_SF_SF_EEEEZNS1_13binary_searchIS3_S6_NSB_INS9_10device_ptrIS5_EEEESH_SJ_NS1_21upper_bound_search_opENSA_16wrapped_functionINS9_7greaterIS5_EEbEEEE10hipError_tPvRmT1_T2_T3_mmT4_T5_P12ihipStream_tbEUlRKS5_E_EEST_SX_SY_mSZ_S12_bEUlT_E_NS1_11comp_targetILNS1_3genE8ELNS1_11target_archE1030ELNS1_3gpuE2ELNS1_3repE0EEENS1_30default_config_static_selectorELNS0_4arch9wavefront6targetE0EEEvSW_.has_indirect_call, 0
	.section	.AMDGPU.csdata,"",@progbits
; Kernel info:
; codeLenInByte = 0
; TotalNumSgprs: 0
; NumVgprs: 0
; ScratchSize: 0
; MemoryBound: 0
; FloatMode: 240
; IeeeMode: 1
; LDSByteSize: 0 bytes/workgroup (compile time only)
; SGPRBlocks: 0
; VGPRBlocks: 0
; NumSGPRsForWavesPerEU: 1
; NumVGPRsForWavesPerEU: 1
; NamedBarCnt: 0
; Occupancy: 16
; WaveLimiterHint : 0
; COMPUTE_PGM_RSRC2:SCRATCH_EN: 0
; COMPUTE_PGM_RSRC2:USER_SGPR: 2
; COMPUTE_PGM_RSRC2:TRAP_HANDLER: 0
; COMPUTE_PGM_RSRC2:TGID_X_EN: 1
; COMPUTE_PGM_RSRC2:TGID_Y_EN: 0
; COMPUTE_PGM_RSRC2:TGID_Z_EN: 0
; COMPUTE_PGM_RSRC2:TIDIG_COMP_CNT: 0
	.section	.text._ZN7rocprim17ROCPRIM_400000_NS6detail17trampoline_kernelINS0_14default_configENS1_27upper_bound_config_selectorIilEEZNS1_14transform_implILb0ES3_S5_N6thrust23THRUST_200600_302600_NS6detail15normal_iteratorINS8_7pointerIiNS8_11hip_rocprim3tagENS8_11use_defaultESE_EEEENSA_INSB_IlSD_SE_SE_EEEEZNS1_13binary_searchIS3_S5_NSA_INSB_IiSD_NS8_16tagged_referenceIiSD_EESE_EEEESG_SI_NS1_21upper_bound_search_opENS9_16wrapped_functionINS8_7greaterIiEEbEEEE10hipError_tPvRmT1_T2_T3_mmT4_T5_P12ihipStream_tbEUlRKiE_EEST_SX_SY_mSZ_S12_bEUlT_E_NS1_11comp_targetILNS1_3genE0ELNS1_11target_archE4294967295ELNS1_3gpuE0ELNS1_3repE0EEENS1_30default_config_static_selectorELNS0_4arch9wavefront6targetE0EEEvSW_,"axG",@progbits,_ZN7rocprim17ROCPRIM_400000_NS6detail17trampoline_kernelINS0_14default_configENS1_27upper_bound_config_selectorIilEEZNS1_14transform_implILb0ES3_S5_N6thrust23THRUST_200600_302600_NS6detail15normal_iteratorINS8_7pointerIiNS8_11hip_rocprim3tagENS8_11use_defaultESE_EEEENSA_INSB_IlSD_SE_SE_EEEEZNS1_13binary_searchIS3_S5_NSA_INSB_IiSD_NS8_16tagged_referenceIiSD_EESE_EEEESG_SI_NS1_21upper_bound_search_opENS9_16wrapped_functionINS8_7greaterIiEEbEEEE10hipError_tPvRmT1_T2_T3_mmT4_T5_P12ihipStream_tbEUlRKiE_EEST_SX_SY_mSZ_S12_bEUlT_E_NS1_11comp_targetILNS1_3genE0ELNS1_11target_archE4294967295ELNS1_3gpuE0ELNS1_3repE0EEENS1_30default_config_static_selectorELNS0_4arch9wavefront6targetE0EEEvSW_,comdat
	.protected	_ZN7rocprim17ROCPRIM_400000_NS6detail17trampoline_kernelINS0_14default_configENS1_27upper_bound_config_selectorIilEEZNS1_14transform_implILb0ES3_S5_N6thrust23THRUST_200600_302600_NS6detail15normal_iteratorINS8_7pointerIiNS8_11hip_rocprim3tagENS8_11use_defaultESE_EEEENSA_INSB_IlSD_SE_SE_EEEEZNS1_13binary_searchIS3_S5_NSA_INSB_IiSD_NS8_16tagged_referenceIiSD_EESE_EEEESG_SI_NS1_21upper_bound_search_opENS9_16wrapped_functionINS8_7greaterIiEEbEEEE10hipError_tPvRmT1_T2_T3_mmT4_T5_P12ihipStream_tbEUlRKiE_EEST_SX_SY_mSZ_S12_bEUlT_E_NS1_11comp_targetILNS1_3genE0ELNS1_11target_archE4294967295ELNS1_3gpuE0ELNS1_3repE0EEENS1_30default_config_static_selectorELNS0_4arch9wavefront6targetE0EEEvSW_ ; -- Begin function _ZN7rocprim17ROCPRIM_400000_NS6detail17trampoline_kernelINS0_14default_configENS1_27upper_bound_config_selectorIilEEZNS1_14transform_implILb0ES3_S5_N6thrust23THRUST_200600_302600_NS6detail15normal_iteratorINS8_7pointerIiNS8_11hip_rocprim3tagENS8_11use_defaultESE_EEEENSA_INSB_IlSD_SE_SE_EEEEZNS1_13binary_searchIS3_S5_NSA_INSB_IiSD_NS8_16tagged_referenceIiSD_EESE_EEEESG_SI_NS1_21upper_bound_search_opENS9_16wrapped_functionINS8_7greaterIiEEbEEEE10hipError_tPvRmT1_T2_T3_mmT4_T5_P12ihipStream_tbEUlRKiE_EEST_SX_SY_mSZ_S12_bEUlT_E_NS1_11comp_targetILNS1_3genE0ELNS1_11target_archE4294967295ELNS1_3gpuE0ELNS1_3repE0EEENS1_30default_config_static_selectorELNS0_4arch9wavefront6targetE0EEEvSW_
	.globl	_ZN7rocprim17ROCPRIM_400000_NS6detail17trampoline_kernelINS0_14default_configENS1_27upper_bound_config_selectorIilEEZNS1_14transform_implILb0ES3_S5_N6thrust23THRUST_200600_302600_NS6detail15normal_iteratorINS8_7pointerIiNS8_11hip_rocprim3tagENS8_11use_defaultESE_EEEENSA_INSB_IlSD_SE_SE_EEEEZNS1_13binary_searchIS3_S5_NSA_INSB_IiSD_NS8_16tagged_referenceIiSD_EESE_EEEESG_SI_NS1_21upper_bound_search_opENS9_16wrapped_functionINS8_7greaterIiEEbEEEE10hipError_tPvRmT1_T2_T3_mmT4_T5_P12ihipStream_tbEUlRKiE_EEST_SX_SY_mSZ_S12_bEUlT_E_NS1_11comp_targetILNS1_3genE0ELNS1_11target_archE4294967295ELNS1_3gpuE0ELNS1_3repE0EEENS1_30default_config_static_selectorELNS0_4arch9wavefront6targetE0EEEvSW_
	.p2align	8
	.type	_ZN7rocprim17ROCPRIM_400000_NS6detail17trampoline_kernelINS0_14default_configENS1_27upper_bound_config_selectorIilEEZNS1_14transform_implILb0ES3_S5_N6thrust23THRUST_200600_302600_NS6detail15normal_iteratorINS8_7pointerIiNS8_11hip_rocprim3tagENS8_11use_defaultESE_EEEENSA_INSB_IlSD_SE_SE_EEEEZNS1_13binary_searchIS3_S5_NSA_INSB_IiSD_NS8_16tagged_referenceIiSD_EESE_EEEESG_SI_NS1_21upper_bound_search_opENS9_16wrapped_functionINS8_7greaterIiEEbEEEE10hipError_tPvRmT1_T2_T3_mmT4_T5_P12ihipStream_tbEUlRKiE_EEST_SX_SY_mSZ_S12_bEUlT_E_NS1_11comp_targetILNS1_3genE0ELNS1_11target_archE4294967295ELNS1_3gpuE0ELNS1_3repE0EEENS1_30default_config_static_selectorELNS0_4arch9wavefront6targetE0EEEvSW_,@function
_ZN7rocprim17ROCPRIM_400000_NS6detail17trampoline_kernelINS0_14default_configENS1_27upper_bound_config_selectorIilEEZNS1_14transform_implILb0ES3_S5_N6thrust23THRUST_200600_302600_NS6detail15normal_iteratorINS8_7pointerIiNS8_11hip_rocprim3tagENS8_11use_defaultESE_EEEENSA_INSB_IlSD_SE_SE_EEEEZNS1_13binary_searchIS3_S5_NSA_INSB_IiSD_NS8_16tagged_referenceIiSD_EESE_EEEESG_SI_NS1_21upper_bound_search_opENS9_16wrapped_functionINS8_7greaterIiEEbEEEE10hipError_tPvRmT1_T2_T3_mmT4_T5_P12ihipStream_tbEUlRKiE_EEST_SX_SY_mSZ_S12_bEUlT_E_NS1_11comp_targetILNS1_3genE0ELNS1_11target_archE4294967295ELNS1_3gpuE0ELNS1_3repE0EEENS1_30default_config_static_selectorELNS0_4arch9wavefront6targetE0EEEvSW_: ; @_ZN7rocprim17ROCPRIM_400000_NS6detail17trampoline_kernelINS0_14default_configENS1_27upper_bound_config_selectorIilEEZNS1_14transform_implILb0ES3_S5_N6thrust23THRUST_200600_302600_NS6detail15normal_iteratorINS8_7pointerIiNS8_11hip_rocprim3tagENS8_11use_defaultESE_EEEENSA_INSB_IlSD_SE_SE_EEEEZNS1_13binary_searchIS3_S5_NSA_INSB_IiSD_NS8_16tagged_referenceIiSD_EESE_EEEESG_SI_NS1_21upper_bound_search_opENS9_16wrapped_functionINS8_7greaterIiEEbEEEE10hipError_tPvRmT1_T2_T3_mmT4_T5_P12ihipStream_tbEUlRKiE_EEST_SX_SY_mSZ_S12_bEUlT_E_NS1_11comp_targetILNS1_3genE0ELNS1_11target_archE4294967295ELNS1_3gpuE0ELNS1_3repE0EEENS1_30default_config_static_selectorELNS0_4arch9wavefront6targetE0EEEvSW_
; %bb.0:
	s_clause 0x3
	s_load_b128 s[12:15], s[0:1], 0x0
	s_load_b128 s[4:7], s[0:1], 0x18
	s_load_b32 s16, s[0:1], 0x38
	s_load_b64 s[8:9], s[0:1], 0x28
	s_bfe_u32 s2, ttmp6, 0x4000c
	s_and_b32 s3, ttmp6, 15
	s_add_co_i32 s2, s2, 1
	s_getreg_b32 s10, hwreg(HW_REG_IB_STS2, 6, 4)
	s_mul_i32 s2, ttmp9, s2
	s_delay_alu instid0(SALU_CYCLE_1)
	s_add_co_i32 s17, s3, s2
	s_wait_kmcnt 0x0
	s_lshl_b64 s[2:3], s[14:15], 2
	s_lshl_b64 s[14:15], s[14:15], 3
	s_cmp_eq_u32 s10, 0
	s_add_nc_u64 s[10:11], s[12:13], s[2:3]
	s_cselect_b32 s12, ttmp9, s17
	s_add_co_i32 s16, s16, -1
	s_add_nc_u64 s[2:3], s[4:5], s[14:15]
	s_lshl_b32 s4, s12, 8
	s_mov_b32 s5, 0
	s_cmp_lg_u32 s12, s16
	s_mov_b32 s12, -1
	s_cbranch_scc0 .LBB122_7
; %bb.1:
	s_cmp_eq_u64 s[8:9], 0
	s_cbranch_scc1 .LBB122_5
; %bb.2:
	s_lshl_b64 s[12:13], s[4:5], 2
	v_mov_b64_e32 v[2:3], 0
	s_add_nc_u64 s[12:13], s[10:11], s[12:13]
	v_mov_b64_e32 v[4:5], s[8:9]
	flat_load_b32 v1, v0, s[12:13] scale_offset
	s_wait_xcnt 0x0
	s_mov_b32 s12, 0
.LBB122_3:                              ; =>This Inner Loop Header: Depth=1
	v_sub_nc_u64_e32 v[6:7], v[4:5], v[2:3]
	s_delay_alu instid0(VALU_DEP_1) | instskip(SKIP_1) | instid1(VALU_DEP_2)
	v_lshrrev_b64 v[8:9], 1, v[6:7]
	v_lshrrev_b64 v[6:7], 6, v[6:7]
	v_add_nc_u64_e32 v[8:9], v[8:9], v[2:3]
	s_delay_alu instid0(VALU_DEP_1) | instskip(NEXT) | instid1(VALU_DEP_1)
	v_add_nc_u64_e32 v[6:7], v[8:9], v[6:7]
	v_lshl_add_u64 v[8:9], v[6:7], 2, s[6:7]
	global_load_b32 v10, v[8:9], off
	s_wait_xcnt 0x0
	v_add_nc_u64_e32 v[8:9], 1, v[6:7]
	s_wait_loadcnt_dscnt 0x0
	v_cmp_gt_i32_e32 vcc_lo, v1, v10
	v_dual_cndmask_b32 v5, v5, v7 :: v_dual_cndmask_b32 v4, v4, v6
	s_delay_alu instid0(VALU_DEP_3) | instskip(NEXT) | instid1(VALU_DEP_1)
	v_dual_cndmask_b32 v3, v9, v3 :: v_dual_cndmask_b32 v2, v8, v2
	v_cmp_ge_u64_e32 vcc_lo, v[2:3], v[4:5]
	s_or_b32 s12, vcc_lo, s12
	s_delay_alu instid0(SALU_CYCLE_1)
	s_and_not1_b32 exec_lo, exec_lo, s12
	s_cbranch_execnz .LBB122_3
; %bb.4:
	s_or_b32 exec_lo, exec_lo, s12
	s_branch .LBB122_6
.LBB122_5:
	v_mov_b64_e32 v[2:3], 0
.LBB122_6:
	s_lshl_b64 s[12:13], s[4:5], 3
	s_delay_alu instid0(SALU_CYCLE_1)
	s_add_nc_u64 s[14:15], s[2:3], s[12:13]
	s_mov_b32 s12, 0
	flat_store_b64 v0, v[2:3], s[14:15] scale_offset
.LBB122_7:
	s_and_b32 vcc_lo, exec_lo, s12
	s_cbranch_vccz .LBB122_16
; %bb.8:
	s_load_b32 s0, s[0:1], 0x10
                                        ; implicit-def: $vgpr1
	s_wait_kmcnt 0x0
	s_sub_co_i32 s1, s0, s4
	s_delay_alu instid0(SALU_CYCLE_1)
	v_cmp_le_u32_e64 s0, s1, v0
	v_cmp_gt_u32_e32 vcc_lo, s1, v0
	s_and_saveexec_b32 s1, vcc_lo
	s_cbranch_execz .LBB122_10
; %bb.9:
	s_lshl_b64 s[12:13], s[4:5], 2
	s_delay_alu instid0(SALU_CYCLE_1)
	s_add_nc_u64 s[10:11], s[10:11], s[12:13]
	flat_load_b32 v1, v0, s[10:11] scale_offset
.LBB122_10:
	s_wait_xcnt 0x0
	s_or_b32 exec_lo, exec_lo, s1
	v_mov_b64_e32 v[2:3], 0
	s_cmp_lg_u64 s[8:9], 0
	s_cselect_b32 s1, -1, 0
	s_xor_b32 s0, s0, -1
	s_delay_alu instid0(SALU_CYCLE_1) | instskip(NEXT) | instid1(SALU_CYCLE_1)
	s_and_b32 s0, s0, s1
	s_and_saveexec_b32 s1, s0
	s_cbranch_execz .LBB122_14
; %bb.11:
	v_mov_b64_e32 v[2:3], 0
	v_mov_b64_e32 v[4:5], s[8:9]
	s_mov_b32 s8, 0
.LBB122_12:                             ; =>This Inner Loop Header: Depth=1
	s_delay_alu instid0(VALU_DEP_1) | instskip(NEXT) | instid1(VALU_DEP_1)
	v_sub_nc_u64_e32 v[6:7], v[4:5], v[2:3]
	v_lshrrev_b64 v[8:9], 1, v[6:7]
	v_lshrrev_b64 v[6:7], 6, v[6:7]
	s_delay_alu instid0(VALU_DEP_2) | instskip(NEXT) | instid1(VALU_DEP_1)
	v_add_nc_u64_e32 v[8:9], v[8:9], v[2:3]
	v_add_nc_u64_e32 v[6:7], v[8:9], v[6:7]
	s_delay_alu instid0(VALU_DEP_1)
	v_lshl_add_u64 v[8:9], v[6:7], 2, s[6:7]
	global_load_b32 v10, v[8:9], off
	s_wait_xcnt 0x0
	v_add_nc_u64_e32 v[8:9], 1, v[6:7]
	s_wait_loadcnt_dscnt 0x0
	v_cmp_gt_i32_e64 s0, v1, v10
	s_delay_alu instid0(VALU_DEP_1) | instskip(NEXT) | instid1(VALU_DEP_3)
	v_dual_cndmask_b32 v5, v5, v7, s0 :: v_dual_cndmask_b32 v4, v4, v6, s0
	v_dual_cndmask_b32 v3, v9, v3, s0 :: v_dual_cndmask_b32 v2, v8, v2, s0
	s_delay_alu instid0(VALU_DEP_1) | instskip(SKIP_1) | instid1(SALU_CYCLE_1)
	v_cmp_ge_u64_e64 s0, v[2:3], v[4:5]
	s_or_b32 s8, s0, s8
	s_and_not1_b32 exec_lo, exec_lo, s8
	s_cbranch_execnz .LBB122_12
; %bb.13:
	s_or_b32 exec_lo, exec_lo, s8
.LBB122_14:
	s_delay_alu instid0(SALU_CYCLE_1)
	s_or_b32 exec_lo, exec_lo, s1
	s_and_saveexec_b32 s0, vcc_lo
	s_cbranch_execz .LBB122_16
; %bb.15:
	s_lshl_b64 s[0:1], s[4:5], 3
	s_delay_alu instid0(SALU_CYCLE_1)
	s_add_nc_u64 s[0:1], s[2:3], s[0:1]
	flat_store_b64 v0, v[2:3], s[0:1] scale_offset
.LBB122_16:
	s_endpgm
	.section	.rodata,"a",@progbits
	.p2align	6, 0x0
	.amdhsa_kernel _ZN7rocprim17ROCPRIM_400000_NS6detail17trampoline_kernelINS0_14default_configENS1_27upper_bound_config_selectorIilEEZNS1_14transform_implILb0ES3_S5_N6thrust23THRUST_200600_302600_NS6detail15normal_iteratorINS8_7pointerIiNS8_11hip_rocprim3tagENS8_11use_defaultESE_EEEENSA_INSB_IlSD_SE_SE_EEEEZNS1_13binary_searchIS3_S5_NSA_INSB_IiSD_NS8_16tagged_referenceIiSD_EESE_EEEESG_SI_NS1_21upper_bound_search_opENS9_16wrapped_functionINS8_7greaterIiEEbEEEE10hipError_tPvRmT1_T2_T3_mmT4_T5_P12ihipStream_tbEUlRKiE_EEST_SX_SY_mSZ_S12_bEUlT_E_NS1_11comp_targetILNS1_3genE0ELNS1_11target_archE4294967295ELNS1_3gpuE0ELNS1_3repE0EEENS1_30default_config_static_selectorELNS0_4arch9wavefront6targetE0EEEvSW_
		.amdhsa_group_segment_fixed_size 0
		.amdhsa_private_segment_fixed_size 0
		.amdhsa_kernarg_size 312
		.amdhsa_user_sgpr_count 2
		.amdhsa_user_sgpr_dispatch_ptr 0
		.amdhsa_user_sgpr_queue_ptr 0
		.amdhsa_user_sgpr_kernarg_segment_ptr 1
		.amdhsa_user_sgpr_dispatch_id 0
		.amdhsa_user_sgpr_kernarg_preload_length 0
		.amdhsa_user_sgpr_kernarg_preload_offset 0
		.amdhsa_user_sgpr_private_segment_size 0
		.amdhsa_wavefront_size32 1
		.amdhsa_uses_dynamic_stack 0
		.amdhsa_enable_private_segment 0
		.amdhsa_system_sgpr_workgroup_id_x 1
		.amdhsa_system_sgpr_workgroup_id_y 0
		.amdhsa_system_sgpr_workgroup_id_z 0
		.amdhsa_system_sgpr_workgroup_info 0
		.amdhsa_system_vgpr_workitem_id 0
		.amdhsa_next_free_vgpr 11
		.amdhsa_next_free_sgpr 18
		.amdhsa_named_barrier_count 0
		.amdhsa_reserve_vcc 1
		.amdhsa_float_round_mode_32 0
		.amdhsa_float_round_mode_16_64 0
		.amdhsa_float_denorm_mode_32 3
		.amdhsa_float_denorm_mode_16_64 3
		.amdhsa_fp16_overflow 0
		.amdhsa_memory_ordered 1
		.amdhsa_forward_progress 1
		.amdhsa_inst_pref_size 5
		.amdhsa_round_robin_scheduling 0
		.amdhsa_exception_fp_ieee_invalid_op 0
		.amdhsa_exception_fp_denorm_src 0
		.amdhsa_exception_fp_ieee_div_zero 0
		.amdhsa_exception_fp_ieee_overflow 0
		.amdhsa_exception_fp_ieee_underflow 0
		.amdhsa_exception_fp_ieee_inexact 0
		.amdhsa_exception_int_div_zero 0
	.end_amdhsa_kernel
	.section	.text._ZN7rocprim17ROCPRIM_400000_NS6detail17trampoline_kernelINS0_14default_configENS1_27upper_bound_config_selectorIilEEZNS1_14transform_implILb0ES3_S5_N6thrust23THRUST_200600_302600_NS6detail15normal_iteratorINS8_7pointerIiNS8_11hip_rocprim3tagENS8_11use_defaultESE_EEEENSA_INSB_IlSD_SE_SE_EEEEZNS1_13binary_searchIS3_S5_NSA_INSB_IiSD_NS8_16tagged_referenceIiSD_EESE_EEEESG_SI_NS1_21upper_bound_search_opENS9_16wrapped_functionINS8_7greaterIiEEbEEEE10hipError_tPvRmT1_T2_T3_mmT4_T5_P12ihipStream_tbEUlRKiE_EEST_SX_SY_mSZ_S12_bEUlT_E_NS1_11comp_targetILNS1_3genE0ELNS1_11target_archE4294967295ELNS1_3gpuE0ELNS1_3repE0EEENS1_30default_config_static_selectorELNS0_4arch9wavefront6targetE0EEEvSW_,"axG",@progbits,_ZN7rocprim17ROCPRIM_400000_NS6detail17trampoline_kernelINS0_14default_configENS1_27upper_bound_config_selectorIilEEZNS1_14transform_implILb0ES3_S5_N6thrust23THRUST_200600_302600_NS6detail15normal_iteratorINS8_7pointerIiNS8_11hip_rocprim3tagENS8_11use_defaultESE_EEEENSA_INSB_IlSD_SE_SE_EEEEZNS1_13binary_searchIS3_S5_NSA_INSB_IiSD_NS8_16tagged_referenceIiSD_EESE_EEEESG_SI_NS1_21upper_bound_search_opENS9_16wrapped_functionINS8_7greaterIiEEbEEEE10hipError_tPvRmT1_T2_T3_mmT4_T5_P12ihipStream_tbEUlRKiE_EEST_SX_SY_mSZ_S12_bEUlT_E_NS1_11comp_targetILNS1_3genE0ELNS1_11target_archE4294967295ELNS1_3gpuE0ELNS1_3repE0EEENS1_30default_config_static_selectorELNS0_4arch9wavefront6targetE0EEEvSW_,comdat
.Lfunc_end122:
	.size	_ZN7rocprim17ROCPRIM_400000_NS6detail17trampoline_kernelINS0_14default_configENS1_27upper_bound_config_selectorIilEEZNS1_14transform_implILb0ES3_S5_N6thrust23THRUST_200600_302600_NS6detail15normal_iteratorINS8_7pointerIiNS8_11hip_rocprim3tagENS8_11use_defaultESE_EEEENSA_INSB_IlSD_SE_SE_EEEEZNS1_13binary_searchIS3_S5_NSA_INSB_IiSD_NS8_16tagged_referenceIiSD_EESE_EEEESG_SI_NS1_21upper_bound_search_opENS9_16wrapped_functionINS8_7greaterIiEEbEEEE10hipError_tPvRmT1_T2_T3_mmT4_T5_P12ihipStream_tbEUlRKiE_EEST_SX_SY_mSZ_S12_bEUlT_E_NS1_11comp_targetILNS1_3genE0ELNS1_11target_archE4294967295ELNS1_3gpuE0ELNS1_3repE0EEENS1_30default_config_static_selectorELNS0_4arch9wavefront6targetE0EEEvSW_, .Lfunc_end122-_ZN7rocprim17ROCPRIM_400000_NS6detail17trampoline_kernelINS0_14default_configENS1_27upper_bound_config_selectorIilEEZNS1_14transform_implILb0ES3_S5_N6thrust23THRUST_200600_302600_NS6detail15normal_iteratorINS8_7pointerIiNS8_11hip_rocprim3tagENS8_11use_defaultESE_EEEENSA_INSB_IlSD_SE_SE_EEEEZNS1_13binary_searchIS3_S5_NSA_INSB_IiSD_NS8_16tagged_referenceIiSD_EESE_EEEESG_SI_NS1_21upper_bound_search_opENS9_16wrapped_functionINS8_7greaterIiEEbEEEE10hipError_tPvRmT1_T2_T3_mmT4_T5_P12ihipStream_tbEUlRKiE_EEST_SX_SY_mSZ_S12_bEUlT_E_NS1_11comp_targetILNS1_3genE0ELNS1_11target_archE4294967295ELNS1_3gpuE0ELNS1_3repE0EEENS1_30default_config_static_selectorELNS0_4arch9wavefront6targetE0EEEvSW_
                                        ; -- End function
	.set _ZN7rocprim17ROCPRIM_400000_NS6detail17trampoline_kernelINS0_14default_configENS1_27upper_bound_config_selectorIilEEZNS1_14transform_implILb0ES3_S5_N6thrust23THRUST_200600_302600_NS6detail15normal_iteratorINS8_7pointerIiNS8_11hip_rocprim3tagENS8_11use_defaultESE_EEEENSA_INSB_IlSD_SE_SE_EEEEZNS1_13binary_searchIS3_S5_NSA_INSB_IiSD_NS8_16tagged_referenceIiSD_EESE_EEEESG_SI_NS1_21upper_bound_search_opENS9_16wrapped_functionINS8_7greaterIiEEbEEEE10hipError_tPvRmT1_T2_T3_mmT4_T5_P12ihipStream_tbEUlRKiE_EEST_SX_SY_mSZ_S12_bEUlT_E_NS1_11comp_targetILNS1_3genE0ELNS1_11target_archE4294967295ELNS1_3gpuE0ELNS1_3repE0EEENS1_30default_config_static_selectorELNS0_4arch9wavefront6targetE0EEEvSW_.num_vgpr, 11
	.set _ZN7rocprim17ROCPRIM_400000_NS6detail17trampoline_kernelINS0_14default_configENS1_27upper_bound_config_selectorIilEEZNS1_14transform_implILb0ES3_S5_N6thrust23THRUST_200600_302600_NS6detail15normal_iteratorINS8_7pointerIiNS8_11hip_rocprim3tagENS8_11use_defaultESE_EEEENSA_INSB_IlSD_SE_SE_EEEEZNS1_13binary_searchIS3_S5_NSA_INSB_IiSD_NS8_16tagged_referenceIiSD_EESE_EEEESG_SI_NS1_21upper_bound_search_opENS9_16wrapped_functionINS8_7greaterIiEEbEEEE10hipError_tPvRmT1_T2_T3_mmT4_T5_P12ihipStream_tbEUlRKiE_EEST_SX_SY_mSZ_S12_bEUlT_E_NS1_11comp_targetILNS1_3genE0ELNS1_11target_archE4294967295ELNS1_3gpuE0ELNS1_3repE0EEENS1_30default_config_static_selectorELNS0_4arch9wavefront6targetE0EEEvSW_.num_agpr, 0
	.set _ZN7rocprim17ROCPRIM_400000_NS6detail17trampoline_kernelINS0_14default_configENS1_27upper_bound_config_selectorIilEEZNS1_14transform_implILb0ES3_S5_N6thrust23THRUST_200600_302600_NS6detail15normal_iteratorINS8_7pointerIiNS8_11hip_rocprim3tagENS8_11use_defaultESE_EEEENSA_INSB_IlSD_SE_SE_EEEEZNS1_13binary_searchIS3_S5_NSA_INSB_IiSD_NS8_16tagged_referenceIiSD_EESE_EEEESG_SI_NS1_21upper_bound_search_opENS9_16wrapped_functionINS8_7greaterIiEEbEEEE10hipError_tPvRmT1_T2_T3_mmT4_T5_P12ihipStream_tbEUlRKiE_EEST_SX_SY_mSZ_S12_bEUlT_E_NS1_11comp_targetILNS1_3genE0ELNS1_11target_archE4294967295ELNS1_3gpuE0ELNS1_3repE0EEENS1_30default_config_static_selectorELNS0_4arch9wavefront6targetE0EEEvSW_.numbered_sgpr, 18
	.set _ZN7rocprim17ROCPRIM_400000_NS6detail17trampoline_kernelINS0_14default_configENS1_27upper_bound_config_selectorIilEEZNS1_14transform_implILb0ES3_S5_N6thrust23THRUST_200600_302600_NS6detail15normal_iteratorINS8_7pointerIiNS8_11hip_rocprim3tagENS8_11use_defaultESE_EEEENSA_INSB_IlSD_SE_SE_EEEEZNS1_13binary_searchIS3_S5_NSA_INSB_IiSD_NS8_16tagged_referenceIiSD_EESE_EEEESG_SI_NS1_21upper_bound_search_opENS9_16wrapped_functionINS8_7greaterIiEEbEEEE10hipError_tPvRmT1_T2_T3_mmT4_T5_P12ihipStream_tbEUlRKiE_EEST_SX_SY_mSZ_S12_bEUlT_E_NS1_11comp_targetILNS1_3genE0ELNS1_11target_archE4294967295ELNS1_3gpuE0ELNS1_3repE0EEENS1_30default_config_static_selectorELNS0_4arch9wavefront6targetE0EEEvSW_.num_named_barrier, 0
	.set _ZN7rocprim17ROCPRIM_400000_NS6detail17trampoline_kernelINS0_14default_configENS1_27upper_bound_config_selectorIilEEZNS1_14transform_implILb0ES3_S5_N6thrust23THRUST_200600_302600_NS6detail15normal_iteratorINS8_7pointerIiNS8_11hip_rocprim3tagENS8_11use_defaultESE_EEEENSA_INSB_IlSD_SE_SE_EEEEZNS1_13binary_searchIS3_S5_NSA_INSB_IiSD_NS8_16tagged_referenceIiSD_EESE_EEEESG_SI_NS1_21upper_bound_search_opENS9_16wrapped_functionINS8_7greaterIiEEbEEEE10hipError_tPvRmT1_T2_T3_mmT4_T5_P12ihipStream_tbEUlRKiE_EEST_SX_SY_mSZ_S12_bEUlT_E_NS1_11comp_targetILNS1_3genE0ELNS1_11target_archE4294967295ELNS1_3gpuE0ELNS1_3repE0EEENS1_30default_config_static_selectorELNS0_4arch9wavefront6targetE0EEEvSW_.private_seg_size, 0
	.set _ZN7rocprim17ROCPRIM_400000_NS6detail17trampoline_kernelINS0_14default_configENS1_27upper_bound_config_selectorIilEEZNS1_14transform_implILb0ES3_S5_N6thrust23THRUST_200600_302600_NS6detail15normal_iteratorINS8_7pointerIiNS8_11hip_rocprim3tagENS8_11use_defaultESE_EEEENSA_INSB_IlSD_SE_SE_EEEEZNS1_13binary_searchIS3_S5_NSA_INSB_IiSD_NS8_16tagged_referenceIiSD_EESE_EEEESG_SI_NS1_21upper_bound_search_opENS9_16wrapped_functionINS8_7greaterIiEEbEEEE10hipError_tPvRmT1_T2_T3_mmT4_T5_P12ihipStream_tbEUlRKiE_EEST_SX_SY_mSZ_S12_bEUlT_E_NS1_11comp_targetILNS1_3genE0ELNS1_11target_archE4294967295ELNS1_3gpuE0ELNS1_3repE0EEENS1_30default_config_static_selectorELNS0_4arch9wavefront6targetE0EEEvSW_.uses_vcc, 1
	.set _ZN7rocprim17ROCPRIM_400000_NS6detail17trampoline_kernelINS0_14default_configENS1_27upper_bound_config_selectorIilEEZNS1_14transform_implILb0ES3_S5_N6thrust23THRUST_200600_302600_NS6detail15normal_iteratorINS8_7pointerIiNS8_11hip_rocprim3tagENS8_11use_defaultESE_EEEENSA_INSB_IlSD_SE_SE_EEEEZNS1_13binary_searchIS3_S5_NSA_INSB_IiSD_NS8_16tagged_referenceIiSD_EESE_EEEESG_SI_NS1_21upper_bound_search_opENS9_16wrapped_functionINS8_7greaterIiEEbEEEE10hipError_tPvRmT1_T2_T3_mmT4_T5_P12ihipStream_tbEUlRKiE_EEST_SX_SY_mSZ_S12_bEUlT_E_NS1_11comp_targetILNS1_3genE0ELNS1_11target_archE4294967295ELNS1_3gpuE0ELNS1_3repE0EEENS1_30default_config_static_selectorELNS0_4arch9wavefront6targetE0EEEvSW_.uses_flat_scratch, 0
	.set _ZN7rocprim17ROCPRIM_400000_NS6detail17trampoline_kernelINS0_14default_configENS1_27upper_bound_config_selectorIilEEZNS1_14transform_implILb0ES3_S5_N6thrust23THRUST_200600_302600_NS6detail15normal_iteratorINS8_7pointerIiNS8_11hip_rocprim3tagENS8_11use_defaultESE_EEEENSA_INSB_IlSD_SE_SE_EEEEZNS1_13binary_searchIS3_S5_NSA_INSB_IiSD_NS8_16tagged_referenceIiSD_EESE_EEEESG_SI_NS1_21upper_bound_search_opENS9_16wrapped_functionINS8_7greaterIiEEbEEEE10hipError_tPvRmT1_T2_T3_mmT4_T5_P12ihipStream_tbEUlRKiE_EEST_SX_SY_mSZ_S12_bEUlT_E_NS1_11comp_targetILNS1_3genE0ELNS1_11target_archE4294967295ELNS1_3gpuE0ELNS1_3repE0EEENS1_30default_config_static_selectorELNS0_4arch9wavefront6targetE0EEEvSW_.has_dyn_sized_stack, 0
	.set _ZN7rocprim17ROCPRIM_400000_NS6detail17trampoline_kernelINS0_14default_configENS1_27upper_bound_config_selectorIilEEZNS1_14transform_implILb0ES3_S5_N6thrust23THRUST_200600_302600_NS6detail15normal_iteratorINS8_7pointerIiNS8_11hip_rocprim3tagENS8_11use_defaultESE_EEEENSA_INSB_IlSD_SE_SE_EEEEZNS1_13binary_searchIS3_S5_NSA_INSB_IiSD_NS8_16tagged_referenceIiSD_EESE_EEEESG_SI_NS1_21upper_bound_search_opENS9_16wrapped_functionINS8_7greaterIiEEbEEEE10hipError_tPvRmT1_T2_T3_mmT4_T5_P12ihipStream_tbEUlRKiE_EEST_SX_SY_mSZ_S12_bEUlT_E_NS1_11comp_targetILNS1_3genE0ELNS1_11target_archE4294967295ELNS1_3gpuE0ELNS1_3repE0EEENS1_30default_config_static_selectorELNS0_4arch9wavefront6targetE0EEEvSW_.has_recursion, 0
	.set _ZN7rocprim17ROCPRIM_400000_NS6detail17trampoline_kernelINS0_14default_configENS1_27upper_bound_config_selectorIilEEZNS1_14transform_implILb0ES3_S5_N6thrust23THRUST_200600_302600_NS6detail15normal_iteratorINS8_7pointerIiNS8_11hip_rocprim3tagENS8_11use_defaultESE_EEEENSA_INSB_IlSD_SE_SE_EEEEZNS1_13binary_searchIS3_S5_NSA_INSB_IiSD_NS8_16tagged_referenceIiSD_EESE_EEEESG_SI_NS1_21upper_bound_search_opENS9_16wrapped_functionINS8_7greaterIiEEbEEEE10hipError_tPvRmT1_T2_T3_mmT4_T5_P12ihipStream_tbEUlRKiE_EEST_SX_SY_mSZ_S12_bEUlT_E_NS1_11comp_targetILNS1_3genE0ELNS1_11target_archE4294967295ELNS1_3gpuE0ELNS1_3repE0EEENS1_30default_config_static_selectorELNS0_4arch9wavefront6targetE0EEEvSW_.has_indirect_call, 0
	.section	.AMDGPU.csdata,"",@progbits
; Kernel info:
; codeLenInByte = 620
; TotalNumSgprs: 20
; NumVgprs: 11
; ScratchSize: 0
; MemoryBound: 0
; FloatMode: 240
; IeeeMode: 1
; LDSByteSize: 0 bytes/workgroup (compile time only)
; SGPRBlocks: 0
; VGPRBlocks: 0
; NumSGPRsForWavesPerEU: 20
; NumVGPRsForWavesPerEU: 11
; NamedBarCnt: 0
; Occupancy: 16
; WaveLimiterHint : 0
; COMPUTE_PGM_RSRC2:SCRATCH_EN: 0
; COMPUTE_PGM_RSRC2:USER_SGPR: 2
; COMPUTE_PGM_RSRC2:TRAP_HANDLER: 0
; COMPUTE_PGM_RSRC2:TGID_X_EN: 1
; COMPUTE_PGM_RSRC2:TGID_Y_EN: 0
; COMPUTE_PGM_RSRC2:TGID_Z_EN: 0
; COMPUTE_PGM_RSRC2:TIDIG_COMP_CNT: 0
	.section	.text._ZN7rocprim17ROCPRIM_400000_NS6detail17trampoline_kernelINS0_14default_configENS1_27upper_bound_config_selectorIilEEZNS1_14transform_implILb0ES3_S5_N6thrust23THRUST_200600_302600_NS6detail15normal_iteratorINS8_7pointerIiNS8_11hip_rocprim3tagENS8_11use_defaultESE_EEEENSA_INSB_IlSD_SE_SE_EEEEZNS1_13binary_searchIS3_S5_NSA_INSB_IiSD_NS8_16tagged_referenceIiSD_EESE_EEEESG_SI_NS1_21upper_bound_search_opENS9_16wrapped_functionINS8_7greaterIiEEbEEEE10hipError_tPvRmT1_T2_T3_mmT4_T5_P12ihipStream_tbEUlRKiE_EEST_SX_SY_mSZ_S12_bEUlT_E_NS1_11comp_targetILNS1_3genE5ELNS1_11target_archE942ELNS1_3gpuE9ELNS1_3repE0EEENS1_30default_config_static_selectorELNS0_4arch9wavefront6targetE0EEEvSW_,"axG",@progbits,_ZN7rocprim17ROCPRIM_400000_NS6detail17trampoline_kernelINS0_14default_configENS1_27upper_bound_config_selectorIilEEZNS1_14transform_implILb0ES3_S5_N6thrust23THRUST_200600_302600_NS6detail15normal_iteratorINS8_7pointerIiNS8_11hip_rocprim3tagENS8_11use_defaultESE_EEEENSA_INSB_IlSD_SE_SE_EEEEZNS1_13binary_searchIS3_S5_NSA_INSB_IiSD_NS8_16tagged_referenceIiSD_EESE_EEEESG_SI_NS1_21upper_bound_search_opENS9_16wrapped_functionINS8_7greaterIiEEbEEEE10hipError_tPvRmT1_T2_T3_mmT4_T5_P12ihipStream_tbEUlRKiE_EEST_SX_SY_mSZ_S12_bEUlT_E_NS1_11comp_targetILNS1_3genE5ELNS1_11target_archE942ELNS1_3gpuE9ELNS1_3repE0EEENS1_30default_config_static_selectorELNS0_4arch9wavefront6targetE0EEEvSW_,comdat
	.protected	_ZN7rocprim17ROCPRIM_400000_NS6detail17trampoline_kernelINS0_14default_configENS1_27upper_bound_config_selectorIilEEZNS1_14transform_implILb0ES3_S5_N6thrust23THRUST_200600_302600_NS6detail15normal_iteratorINS8_7pointerIiNS8_11hip_rocprim3tagENS8_11use_defaultESE_EEEENSA_INSB_IlSD_SE_SE_EEEEZNS1_13binary_searchIS3_S5_NSA_INSB_IiSD_NS8_16tagged_referenceIiSD_EESE_EEEESG_SI_NS1_21upper_bound_search_opENS9_16wrapped_functionINS8_7greaterIiEEbEEEE10hipError_tPvRmT1_T2_T3_mmT4_T5_P12ihipStream_tbEUlRKiE_EEST_SX_SY_mSZ_S12_bEUlT_E_NS1_11comp_targetILNS1_3genE5ELNS1_11target_archE942ELNS1_3gpuE9ELNS1_3repE0EEENS1_30default_config_static_selectorELNS0_4arch9wavefront6targetE0EEEvSW_ ; -- Begin function _ZN7rocprim17ROCPRIM_400000_NS6detail17trampoline_kernelINS0_14default_configENS1_27upper_bound_config_selectorIilEEZNS1_14transform_implILb0ES3_S5_N6thrust23THRUST_200600_302600_NS6detail15normal_iteratorINS8_7pointerIiNS8_11hip_rocprim3tagENS8_11use_defaultESE_EEEENSA_INSB_IlSD_SE_SE_EEEEZNS1_13binary_searchIS3_S5_NSA_INSB_IiSD_NS8_16tagged_referenceIiSD_EESE_EEEESG_SI_NS1_21upper_bound_search_opENS9_16wrapped_functionINS8_7greaterIiEEbEEEE10hipError_tPvRmT1_T2_T3_mmT4_T5_P12ihipStream_tbEUlRKiE_EEST_SX_SY_mSZ_S12_bEUlT_E_NS1_11comp_targetILNS1_3genE5ELNS1_11target_archE942ELNS1_3gpuE9ELNS1_3repE0EEENS1_30default_config_static_selectorELNS0_4arch9wavefront6targetE0EEEvSW_
	.globl	_ZN7rocprim17ROCPRIM_400000_NS6detail17trampoline_kernelINS0_14default_configENS1_27upper_bound_config_selectorIilEEZNS1_14transform_implILb0ES3_S5_N6thrust23THRUST_200600_302600_NS6detail15normal_iteratorINS8_7pointerIiNS8_11hip_rocprim3tagENS8_11use_defaultESE_EEEENSA_INSB_IlSD_SE_SE_EEEEZNS1_13binary_searchIS3_S5_NSA_INSB_IiSD_NS8_16tagged_referenceIiSD_EESE_EEEESG_SI_NS1_21upper_bound_search_opENS9_16wrapped_functionINS8_7greaterIiEEbEEEE10hipError_tPvRmT1_T2_T3_mmT4_T5_P12ihipStream_tbEUlRKiE_EEST_SX_SY_mSZ_S12_bEUlT_E_NS1_11comp_targetILNS1_3genE5ELNS1_11target_archE942ELNS1_3gpuE9ELNS1_3repE0EEENS1_30default_config_static_selectorELNS0_4arch9wavefront6targetE0EEEvSW_
	.p2align	8
	.type	_ZN7rocprim17ROCPRIM_400000_NS6detail17trampoline_kernelINS0_14default_configENS1_27upper_bound_config_selectorIilEEZNS1_14transform_implILb0ES3_S5_N6thrust23THRUST_200600_302600_NS6detail15normal_iteratorINS8_7pointerIiNS8_11hip_rocprim3tagENS8_11use_defaultESE_EEEENSA_INSB_IlSD_SE_SE_EEEEZNS1_13binary_searchIS3_S5_NSA_INSB_IiSD_NS8_16tagged_referenceIiSD_EESE_EEEESG_SI_NS1_21upper_bound_search_opENS9_16wrapped_functionINS8_7greaterIiEEbEEEE10hipError_tPvRmT1_T2_T3_mmT4_T5_P12ihipStream_tbEUlRKiE_EEST_SX_SY_mSZ_S12_bEUlT_E_NS1_11comp_targetILNS1_3genE5ELNS1_11target_archE942ELNS1_3gpuE9ELNS1_3repE0EEENS1_30default_config_static_selectorELNS0_4arch9wavefront6targetE0EEEvSW_,@function
_ZN7rocprim17ROCPRIM_400000_NS6detail17trampoline_kernelINS0_14default_configENS1_27upper_bound_config_selectorIilEEZNS1_14transform_implILb0ES3_S5_N6thrust23THRUST_200600_302600_NS6detail15normal_iteratorINS8_7pointerIiNS8_11hip_rocprim3tagENS8_11use_defaultESE_EEEENSA_INSB_IlSD_SE_SE_EEEEZNS1_13binary_searchIS3_S5_NSA_INSB_IiSD_NS8_16tagged_referenceIiSD_EESE_EEEESG_SI_NS1_21upper_bound_search_opENS9_16wrapped_functionINS8_7greaterIiEEbEEEE10hipError_tPvRmT1_T2_T3_mmT4_T5_P12ihipStream_tbEUlRKiE_EEST_SX_SY_mSZ_S12_bEUlT_E_NS1_11comp_targetILNS1_3genE5ELNS1_11target_archE942ELNS1_3gpuE9ELNS1_3repE0EEENS1_30default_config_static_selectorELNS0_4arch9wavefront6targetE0EEEvSW_: ; @_ZN7rocprim17ROCPRIM_400000_NS6detail17trampoline_kernelINS0_14default_configENS1_27upper_bound_config_selectorIilEEZNS1_14transform_implILb0ES3_S5_N6thrust23THRUST_200600_302600_NS6detail15normal_iteratorINS8_7pointerIiNS8_11hip_rocprim3tagENS8_11use_defaultESE_EEEENSA_INSB_IlSD_SE_SE_EEEEZNS1_13binary_searchIS3_S5_NSA_INSB_IiSD_NS8_16tagged_referenceIiSD_EESE_EEEESG_SI_NS1_21upper_bound_search_opENS9_16wrapped_functionINS8_7greaterIiEEbEEEE10hipError_tPvRmT1_T2_T3_mmT4_T5_P12ihipStream_tbEUlRKiE_EEST_SX_SY_mSZ_S12_bEUlT_E_NS1_11comp_targetILNS1_3genE5ELNS1_11target_archE942ELNS1_3gpuE9ELNS1_3repE0EEENS1_30default_config_static_selectorELNS0_4arch9wavefront6targetE0EEEvSW_
; %bb.0:
	.section	.rodata,"a",@progbits
	.p2align	6, 0x0
	.amdhsa_kernel _ZN7rocprim17ROCPRIM_400000_NS6detail17trampoline_kernelINS0_14default_configENS1_27upper_bound_config_selectorIilEEZNS1_14transform_implILb0ES3_S5_N6thrust23THRUST_200600_302600_NS6detail15normal_iteratorINS8_7pointerIiNS8_11hip_rocprim3tagENS8_11use_defaultESE_EEEENSA_INSB_IlSD_SE_SE_EEEEZNS1_13binary_searchIS3_S5_NSA_INSB_IiSD_NS8_16tagged_referenceIiSD_EESE_EEEESG_SI_NS1_21upper_bound_search_opENS9_16wrapped_functionINS8_7greaterIiEEbEEEE10hipError_tPvRmT1_T2_T3_mmT4_T5_P12ihipStream_tbEUlRKiE_EEST_SX_SY_mSZ_S12_bEUlT_E_NS1_11comp_targetILNS1_3genE5ELNS1_11target_archE942ELNS1_3gpuE9ELNS1_3repE0EEENS1_30default_config_static_selectorELNS0_4arch9wavefront6targetE0EEEvSW_
		.amdhsa_group_segment_fixed_size 0
		.amdhsa_private_segment_fixed_size 0
		.amdhsa_kernarg_size 56
		.amdhsa_user_sgpr_count 2
		.amdhsa_user_sgpr_dispatch_ptr 0
		.amdhsa_user_sgpr_queue_ptr 0
		.amdhsa_user_sgpr_kernarg_segment_ptr 1
		.amdhsa_user_sgpr_dispatch_id 0
		.amdhsa_user_sgpr_kernarg_preload_length 0
		.amdhsa_user_sgpr_kernarg_preload_offset 0
		.amdhsa_user_sgpr_private_segment_size 0
		.amdhsa_wavefront_size32 1
		.amdhsa_uses_dynamic_stack 0
		.amdhsa_enable_private_segment 0
		.amdhsa_system_sgpr_workgroup_id_x 1
		.amdhsa_system_sgpr_workgroup_id_y 0
		.amdhsa_system_sgpr_workgroup_id_z 0
		.amdhsa_system_sgpr_workgroup_info 0
		.amdhsa_system_vgpr_workitem_id 0
		.amdhsa_next_free_vgpr 1
		.amdhsa_next_free_sgpr 1
		.amdhsa_named_barrier_count 0
		.amdhsa_reserve_vcc 0
		.amdhsa_float_round_mode_32 0
		.amdhsa_float_round_mode_16_64 0
		.amdhsa_float_denorm_mode_32 3
		.amdhsa_float_denorm_mode_16_64 3
		.amdhsa_fp16_overflow 0
		.amdhsa_memory_ordered 1
		.amdhsa_forward_progress 1
		.amdhsa_inst_pref_size 0
		.amdhsa_round_robin_scheduling 0
		.amdhsa_exception_fp_ieee_invalid_op 0
		.amdhsa_exception_fp_denorm_src 0
		.amdhsa_exception_fp_ieee_div_zero 0
		.amdhsa_exception_fp_ieee_overflow 0
		.amdhsa_exception_fp_ieee_underflow 0
		.amdhsa_exception_fp_ieee_inexact 0
		.amdhsa_exception_int_div_zero 0
	.end_amdhsa_kernel
	.section	.text._ZN7rocprim17ROCPRIM_400000_NS6detail17trampoline_kernelINS0_14default_configENS1_27upper_bound_config_selectorIilEEZNS1_14transform_implILb0ES3_S5_N6thrust23THRUST_200600_302600_NS6detail15normal_iteratorINS8_7pointerIiNS8_11hip_rocprim3tagENS8_11use_defaultESE_EEEENSA_INSB_IlSD_SE_SE_EEEEZNS1_13binary_searchIS3_S5_NSA_INSB_IiSD_NS8_16tagged_referenceIiSD_EESE_EEEESG_SI_NS1_21upper_bound_search_opENS9_16wrapped_functionINS8_7greaterIiEEbEEEE10hipError_tPvRmT1_T2_T3_mmT4_T5_P12ihipStream_tbEUlRKiE_EEST_SX_SY_mSZ_S12_bEUlT_E_NS1_11comp_targetILNS1_3genE5ELNS1_11target_archE942ELNS1_3gpuE9ELNS1_3repE0EEENS1_30default_config_static_selectorELNS0_4arch9wavefront6targetE0EEEvSW_,"axG",@progbits,_ZN7rocprim17ROCPRIM_400000_NS6detail17trampoline_kernelINS0_14default_configENS1_27upper_bound_config_selectorIilEEZNS1_14transform_implILb0ES3_S5_N6thrust23THRUST_200600_302600_NS6detail15normal_iteratorINS8_7pointerIiNS8_11hip_rocprim3tagENS8_11use_defaultESE_EEEENSA_INSB_IlSD_SE_SE_EEEEZNS1_13binary_searchIS3_S5_NSA_INSB_IiSD_NS8_16tagged_referenceIiSD_EESE_EEEESG_SI_NS1_21upper_bound_search_opENS9_16wrapped_functionINS8_7greaterIiEEbEEEE10hipError_tPvRmT1_T2_T3_mmT4_T5_P12ihipStream_tbEUlRKiE_EEST_SX_SY_mSZ_S12_bEUlT_E_NS1_11comp_targetILNS1_3genE5ELNS1_11target_archE942ELNS1_3gpuE9ELNS1_3repE0EEENS1_30default_config_static_selectorELNS0_4arch9wavefront6targetE0EEEvSW_,comdat
.Lfunc_end123:
	.size	_ZN7rocprim17ROCPRIM_400000_NS6detail17trampoline_kernelINS0_14default_configENS1_27upper_bound_config_selectorIilEEZNS1_14transform_implILb0ES3_S5_N6thrust23THRUST_200600_302600_NS6detail15normal_iteratorINS8_7pointerIiNS8_11hip_rocprim3tagENS8_11use_defaultESE_EEEENSA_INSB_IlSD_SE_SE_EEEEZNS1_13binary_searchIS3_S5_NSA_INSB_IiSD_NS8_16tagged_referenceIiSD_EESE_EEEESG_SI_NS1_21upper_bound_search_opENS9_16wrapped_functionINS8_7greaterIiEEbEEEE10hipError_tPvRmT1_T2_T3_mmT4_T5_P12ihipStream_tbEUlRKiE_EEST_SX_SY_mSZ_S12_bEUlT_E_NS1_11comp_targetILNS1_3genE5ELNS1_11target_archE942ELNS1_3gpuE9ELNS1_3repE0EEENS1_30default_config_static_selectorELNS0_4arch9wavefront6targetE0EEEvSW_, .Lfunc_end123-_ZN7rocprim17ROCPRIM_400000_NS6detail17trampoline_kernelINS0_14default_configENS1_27upper_bound_config_selectorIilEEZNS1_14transform_implILb0ES3_S5_N6thrust23THRUST_200600_302600_NS6detail15normal_iteratorINS8_7pointerIiNS8_11hip_rocprim3tagENS8_11use_defaultESE_EEEENSA_INSB_IlSD_SE_SE_EEEEZNS1_13binary_searchIS3_S5_NSA_INSB_IiSD_NS8_16tagged_referenceIiSD_EESE_EEEESG_SI_NS1_21upper_bound_search_opENS9_16wrapped_functionINS8_7greaterIiEEbEEEE10hipError_tPvRmT1_T2_T3_mmT4_T5_P12ihipStream_tbEUlRKiE_EEST_SX_SY_mSZ_S12_bEUlT_E_NS1_11comp_targetILNS1_3genE5ELNS1_11target_archE942ELNS1_3gpuE9ELNS1_3repE0EEENS1_30default_config_static_selectorELNS0_4arch9wavefront6targetE0EEEvSW_
                                        ; -- End function
	.set _ZN7rocprim17ROCPRIM_400000_NS6detail17trampoline_kernelINS0_14default_configENS1_27upper_bound_config_selectorIilEEZNS1_14transform_implILb0ES3_S5_N6thrust23THRUST_200600_302600_NS6detail15normal_iteratorINS8_7pointerIiNS8_11hip_rocprim3tagENS8_11use_defaultESE_EEEENSA_INSB_IlSD_SE_SE_EEEEZNS1_13binary_searchIS3_S5_NSA_INSB_IiSD_NS8_16tagged_referenceIiSD_EESE_EEEESG_SI_NS1_21upper_bound_search_opENS9_16wrapped_functionINS8_7greaterIiEEbEEEE10hipError_tPvRmT1_T2_T3_mmT4_T5_P12ihipStream_tbEUlRKiE_EEST_SX_SY_mSZ_S12_bEUlT_E_NS1_11comp_targetILNS1_3genE5ELNS1_11target_archE942ELNS1_3gpuE9ELNS1_3repE0EEENS1_30default_config_static_selectorELNS0_4arch9wavefront6targetE0EEEvSW_.num_vgpr, 0
	.set _ZN7rocprim17ROCPRIM_400000_NS6detail17trampoline_kernelINS0_14default_configENS1_27upper_bound_config_selectorIilEEZNS1_14transform_implILb0ES3_S5_N6thrust23THRUST_200600_302600_NS6detail15normal_iteratorINS8_7pointerIiNS8_11hip_rocprim3tagENS8_11use_defaultESE_EEEENSA_INSB_IlSD_SE_SE_EEEEZNS1_13binary_searchIS3_S5_NSA_INSB_IiSD_NS8_16tagged_referenceIiSD_EESE_EEEESG_SI_NS1_21upper_bound_search_opENS9_16wrapped_functionINS8_7greaterIiEEbEEEE10hipError_tPvRmT1_T2_T3_mmT4_T5_P12ihipStream_tbEUlRKiE_EEST_SX_SY_mSZ_S12_bEUlT_E_NS1_11comp_targetILNS1_3genE5ELNS1_11target_archE942ELNS1_3gpuE9ELNS1_3repE0EEENS1_30default_config_static_selectorELNS0_4arch9wavefront6targetE0EEEvSW_.num_agpr, 0
	.set _ZN7rocprim17ROCPRIM_400000_NS6detail17trampoline_kernelINS0_14default_configENS1_27upper_bound_config_selectorIilEEZNS1_14transform_implILb0ES3_S5_N6thrust23THRUST_200600_302600_NS6detail15normal_iteratorINS8_7pointerIiNS8_11hip_rocprim3tagENS8_11use_defaultESE_EEEENSA_INSB_IlSD_SE_SE_EEEEZNS1_13binary_searchIS3_S5_NSA_INSB_IiSD_NS8_16tagged_referenceIiSD_EESE_EEEESG_SI_NS1_21upper_bound_search_opENS9_16wrapped_functionINS8_7greaterIiEEbEEEE10hipError_tPvRmT1_T2_T3_mmT4_T5_P12ihipStream_tbEUlRKiE_EEST_SX_SY_mSZ_S12_bEUlT_E_NS1_11comp_targetILNS1_3genE5ELNS1_11target_archE942ELNS1_3gpuE9ELNS1_3repE0EEENS1_30default_config_static_selectorELNS0_4arch9wavefront6targetE0EEEvSW_.numbered_sgpr, 0
	.set _ZN7rocprim17ROCPRIM_400000_NS6detail17trampoline_kernelINS0_14default_configENS1_27upper_bound_config_selectorIilEEZNS1_14transform_implILb0ES3_S5_N6thrust23THRUST_200600_302600_NS6detail15normal_iteratorINS8_7pointerIiNS8_11hip_rocprim3tagENS8_11use_defaultESE_EEEENSA_INSB_IlSD_SE_SE_EEEEZNS1_13binary_searchIS3_S5_NSA_INSB_IiSD_NS8_16tagged_referenceIiSD_EESE_EEEESG_SI_NS1_21upper_bound_search_opENS9_16wrapped_functionINS8_7greaterIiEEbEEEE10hipError_tPvRmT1_T2_T3_mmT4_T5_P12ihipStream_tbEUlRKiE_EEST_SX_SY_mSZ_S12_bEUlT_E_NS1_11comp_targetILNS1_3genE5ELNS1_11target_archE942ELNS1_3gpuE9ELNS1_3repE0EEENS1_30default_config_static_selectorELNS0_4arch9wavefront6targetE0EEEvSW_.num_named_barrier, 0
	.set _ZN7rocprim17ROCPRIM_400000_NS6detail17trampoline_kernelINS0_14default_configENS1_27upper_bound_config_selectorIilEEZNS1_14transform_implILb0ES3_S5_N6thrust23THRUST_200600_302600_NS6detail15normal_iteratorINS8_7pointerIiNS8_11hip_rocprim3tagENS8_11use_defaultESE_EEEENSA_INSB_IlSD_SE_SE_EEEEZNS1_13binary_searchIS3_S5_NSA_INSB_IiSD_NS8_16tagged_referenceIiSD_EESE_EEEESG_SI_NS1_21upper_bound_search_opENS9_16wrapped_functionINS8_7greaterIiEEbEEEE10hipError_tPvRmT1_T2_T3_mmT4_T5_P12ihipStream_tbEUlRKiE_EEST_SX_SY_mSZ_S12_bEUlT_E_NS1_11comp_targetILNS1_3genE5ELNS1_11target_archE942ELNS1_3gpuE9ELNS1_3repE0EEENS1_30default_config_static_selectorELNS0_4arch9wavefront6targetE0EEEvSW_.private_seg_size, 0
	.set _ZN7rocprim17ROCPRIM_400000_NS6detail17trampoline_kernelINS0_14default_configENS1_27upper_bound_config_selectorIilEEZNS1_14transform_implILb0ES3_S5_N6thrust23THRUST_200600_302600_NS6detail15normal_iteratorINS8_7pointerIiNS8_11hip_rocprim3tagENS8_11use_defaultESE_EEEENSA_INSB_IlSD_SE_SE_EEEEZNS1_13binary_searchIS3_S5_NSA_INSB_IiSD_NS8_16tagged_referenceIiSD_EESE_EEEESG_SI_NS1_21upper_bound_search_opENS9_16wrapped_functionINS8_7greaterIiEEbEEEE10hipError_tPvRmT1_T2_T3_mmT4_T5_P12ihipStream_tbEUlRKiE_EEST_SX_SY_mSZ_S12_bEUlT_E_NS1_11comp_targetILNS1_3genE5ELNS1_11target_archE942ELNS1_3gpuE9ELNS1_3repE0EEENS1_30default_config_static_selectorELNS0_4arch9wavefront6targetE0EEEvSW_.uses_vcc, 0
	.set _ZN7rocprim17ROCPRIM_400000_NS6detail17trampoline_kernelINS0_14default_configENS1_27upper_bound_config_selectorIilEEZNS1_14transform_implILb0ES3_S5_N6thrust23THRUST_200600_302600_NS6detail15normal_iteratorINS8_7pointerIiNS8_11hip_rocprim3tagENS8_11use_defaultESE_EEEENSA_INSB_IlSD_SE_SE_EEEEZNS1_13binary_searchIS3_S5_NSA_INSB_IiSD_NS8_16tagged_referenceIiSD_EESE_EEEESG_SI_NS1_21upper_bound_search_opENS9_16wrapped_functionINS8_7greaterIiEEbEEEE10hipError_tPvRmT1_T2_T3_mmT4_T5_P12ihipStream_tbEUlRKiE_EEST_SX_SY_mSZ_S12_bEUlT_E_NS1_11comp_targetILNS1_3genE5ELNS1_11target_archE942ELNS1_3gpuE9ELNS1_3repE0EEENS1_30default_config_static_selectorELNS0_4arch9wavefront6targetE0EEEvSW_.uses_flat_scratch, 0
	.set _ZN7rocprim17ROCPRIM_400000_NS6detail17trampoline_kernelINS0_14default_configENS1_27upper_bound_config_selectorIilEEZNS1_14transform_implILb0ES3_S5_N6thrust23THRUST_200600_302600_NS6detail15normal_iteratorINS8_7pointerIiNS8_11hip_rocprim3tagENS8_11use_defaultESE_EEEENSA_INSB_IlSD_SE_SE_EEEEZNS1_13binary_searchIS3_S5_NSA_INSB_IiSD_NS8_16tagged_referenceIiSD_EESE_EEEESG_SI_NS1_21upper_bound_search_opENS9_16wrapped_functionINS8_7greaterIiEEbEEEE10hipError_tPvRmT1_T2_T3_mmT4_T5_P12ihipStream_tbEUlRKiE_EEST_SX_SY_mSZ_S12_bEUlT_E_NS1_11comp_targetILNS1_3genE5ELNS1_11target_archE942ELNS1_3gpuE9ELNS1_3repE0EEENS1_30default_config_static_selectorELNS0_4arch9wavefront6targetE0EEEvSW_.has_dyn_sized_stack, 0
	.set _ZN7rocprim17ROCPRIM_400000_NS6detail17trampoline_kernelINS0_14default_configENS1_27upper_bound_config_selectorIilEEZNS1_14transform_implILb0ES3_S5_N6thrust23THRUST_200600_302600_NS6detail15normal_iteratorINS8_7pointerIiNS8_11hip_rocprim3tagENS8_11use_defaultESE_EEEENSA_INSB_IlSD_SE_SE_EEEEZNS1_13binary_searchIS3_S5_NSA_INSB_IiSD_NS8_16tagged_referenceIiSD_EESE_EEEESG_SI_NS1_21upper_bound_search_opENS9_16wrapped_functionINS8_7greaterIiEEbEEEE10hipError_tPvRmT1_T2_T3_mmT4_T5_P12ihipStream_tbEUlRKiE_EEST_SX_SY_mSZ_S12_bEUlT_E_NS1_11comp_targetILNS1_3genE5ELNS1_11target_archE942ELNS1_3gpuE9ELNS1_3repE0EEENS1_30default_config_static_selectorELNS0_4arch9wavefront6targetE0EEEvSW_.has_recursion, 0
	.set _ZN7rocprim17ROCPRIM_400000_NS6detail17trampoline_kernelINS0_14default_configENS1_27upper_bound_config_selectorIilEEZNS1_14transform_implILb0ES3_S5_N6thrust23THRUST_200600_302600_NS6detail15normal_iteratorINS8_7pointerIiNS8_11hip_rocprim3tagENS8_11use_defaultESE_EEEENSA_INSB_IlSD_SE_SE_EEEEZNS1_13binary_searchIS3_S5_NSA_INSB_IiSD_NS8_16tagged_referenceIiSD_EESE_EEEESG_SI_NS1_21upper_bound_search_opENS9_16wrapped_functionINS8_7greaterIiEEbEEEE10hipError_tPvRmT1_T2_T3_mmT4_T5_P12ihipStream_tbEUlRKiE_EEST_SX_SY_mSZ_S12_bEUlT_E_NS1_11comp_targetILNS1_3genE5ELNS1_11target_archE942ELNS1_3gpuE9ELNS1_3repE0EEENS1_30default_config_static_selectorELNS0_4arch9wavefront6targetE0EEEvSW_.has_indirect_call, 0
	.section	.AMDGPU.csdata,"",@progbits
; Kernel info:
; codeLenInByte = 0
; TotalNumSgprs: 0
; NumVgprs: 0
; ScratchSize: 0
; MemoryBound: 0
; FloatMode: 240
; IeeeMode: 1
; LDSByteSize: 0 bytes/workgroup (compile time only)
; SGPRBlocks: 0
; VGPRBlocks: 0
; NumSGPRsForWavesPerEU: 1
; NumVGPRsForWavesPerEU: 1
; NamedBarCnt: 0
; Occupancy: 16
; WaveLimiterHint : 0
; COMPUTE_PGM_RSRC2:SCRATCH_EN: 0
; COMPUTE_PGM_RSRC2:USER_SGPR: 2
; COMPUTE_PGM_RSRC2:TRAP_HANDLER: 0
; COMPUTE_PGM_RSRC2:TGID_X_EN: 1
; COMPUTE_PGM_RSRC2:TGID_Y_EN: 0
; COMPUTE_PGM_RSRC2:TGID_Z_EN: 0
; COMPUTE_PGM_RSRC2:TIDIG_COMP_CNT: 0
	.section	.text._ZN7rocprim17ROCPRIM_400000_NS6detail17trampoline_kernelINS0_14default_configENS1_27upper_bound_config_selectorIilEEZNS1_14transform_implILb0ES3_S5_N6thrust23THRUST_200600_302600_NS6detail15normal_iteratorINS8_7pointerIiNS8_11hip_rocprim3tagENS8_11use_defaultESE_EEEENSA_INSB_IlSD_SE_SE_EEEEZNS1_13binary_searchIS3_S5_NSA_INSB_IiSD_NS8_16tagged_referenceIiSD_EESE_EEEESG_SI_NS1_21upper_bound_search_opENS9_16wrapped_functionINS8_7greaterIiEEbEEEE10hipError_tPvRmT1_T2_T3_mmT4_T5_P12ihipStream_tbEUlRKiE_EEST_SX_SY_mSZ_S12_bEUlT_E_NS1_11comp_targetILNS1_3genE4ELNS1_11target_archE910ELNS1_3gpuE8ELNS1_3repE0EEENS1_30default_config_static_selectorELNS0_4arch9wavefront6targetE0EEEvSW_,"axG",@progbits,_ZN7rocprim17ROCPRIM_400000_NS6detail17trampoline_kernelINS0_14default_configENS1_27upper_bound_config_selectorIilEEZNS1_14transform_implILb0ES3_S5_N6thrust23THRUST_200600_302600_NS6detail15normal_iteratorINS8_7pointerIiNS8_11hip_rocprim3tagENS8_11use_defaultESE_EEEENSA_INSB_IlSD_SE_SE_EEEEZNS1_13binary_searchIS3_S5_NSA_INSB_IiSD_NS8_16tagged_referenceIiSD_EESE_EEEESG_SI_NS1_21upper_bound_search_opENS9_16wrapped_functionINS8_7greaterIiEEbEEEE10hipError_tPvRmT1_T2_T3_mmT4_T5_P12ihipStream_tbEUlRKiE_EEST_SX_SY_mSZ_S12_bEUlT_E_NS1_11comp_targetILNS1_3genE4ELNS1_11target_archE910ELNS1_3gpuE8ELNS1_3repE0EEENS1_30default_config_static_selectorELNS0_4arch9wavefront6targetE0EEEvSW_,comdat
	.protected	_ZN7rocprim17ROCPRIM_400000_NS6detail17trampoline_kernelINS0_14default_configENS1_27upper_bound_config_selectorIilEEZNS1_14transform_implILb0ES3_S5_N6thrust23THRUST_200600_302600_NS6detail15normal_iteratorINS8_7pointerIiNS8_11hip_rocprim3tagENS8_11use_defaultESE_EEEENSA_INSB_IlSD_SE_SE_EEEEZNS1_13binary_searchIS3_S5_NSA_INSB_IiSD_NS8_16tagged_referenceIiSD_EESE_EEEESG_SI_NS1_21upper_bound_search_opENS9_16wrapped_functionINS8_7greaterIiEEbEEEE10hipError_tPvRmT1_T2_T3_mmT4_T5_P12ihipStream_tbEUlRKiE_EEST_SX_SY_mSZ_S12_bEUlT_E_NS1_11comp_targetILNS1_3genE4ELNS1_11target_archE910ELNS1_3gpuE8ELNS1_3repE0EEENS1_30default_config_static_selectorELNS0_4arch9wavefront6targetE0EEEvSW_ ; -- Begin function _ZN7rocprim17ROCPRIM_400000_NS6detail17trampoline_kernelINS0_14default_configENS1_27upper_bound_config_selectorIilEEZNS1_14transform_implILb0ES3_S5_N6thrust23THRUST_200600_302600_NS6detail15normal_iteratorINS8_7pointerIiNS8_11hip_rocprim3tagENS8_11use_defaultESE_EEEENSA_INSB_IlSD_SE_SE_EEEEZNS1_13binary_searchIS3_S5_NSA_INSB_IiSD_NS8_16tagged_referenceIiSD_EESE_EEEESG_SI_NS1_21upper_bound_search_opENS9_16wrapped_functionINS8_7greaterIiEEbEEEE10hipError_tPvRmT1_T2_T3_mmT4_T5_P12ihipStream_tbEUlRKiE_EEST_SX_SY_mSZ_S12_bEUlT_E_NS1_11comp_targetILNS1_3genE4ELNS1_11target_archE910ELNS1_3gpuE8ELNS1_3repE0EEENS1_30default_config_static_selectorELNS0_4arch9wavefront6targetE0EEEvSW_
	.globl	_ZN7rocprim17ROCPRIM_400000_NS6detail17trampoline_kernelINS0_14default_configENS1_27upper_bound_config_selectorIilEEZNS1_14transform_implILb0ES3_S5_N6thrust23THRUST_200600_302600_NS6detail15normal_iteratorINS8_7pointerIiNS8_11hip_rocprim3tagENS8_11use_defaultESE_EEEENSA_INSB_IlSD_SE_SE_EEEEZNS1_13binary_searchIS3_S5_NSA_INSB_IiSD_NS8_16tagged_referenceIiSD_EESE_EEEESG_SI_NS1_21upper_bound_search_opENS9_16wrapped_functionINS8_7greaterIiEEbEEEE10hipError_tPvRmT1_T2_T3_mmT4_T5_P12ihipStream_tbEUlRKiE_EEST_SX_SY_mSZ_S12_bEUlT_E_NS1_11comp_targetILNS1_3genE4ELNS1_11target_archE910ELNS1_3gpuE8ELNS1_3repE0EEENS1_30default_config_static_selectorELNS0_4arch9wavefront6targetE0EEEvSW_
	.p2align	8
	.type	_ZN7rocprim17ROCPRIM_400000_NS6detail17trampoline_kernelINS0_14default_configENS1_27upper_bound_config_selectorIilEEZNS1_14transform_implILb0ES3_S5_N6thrust23THRUST_200600_302600_NS6detail15normal_iteratorINS8_7pointerIiNS8_11hip_rocprim3tagENS8_11use_defaultESE_EEEENSA_INSB_IlSD_SE_SE_EEEEZNS1_13binary_searchIS3_S5_NSA_INSB_IiSD_NS8_16tagged_referenceIiSD_EESE_EEEESG_SI_NS1_21upper_bound_search_opENS9_16wrapped_functionINS8_7greaterIiEEbEEEE10hipError_tPvRmT1_T2_T3_mmT4_T5_P12ihipStream_tbEUlRKiE_EEST_SX_SY_mSZ_S12_bEUlT_E_NS1_11comp_targetILNS1_3genE4ELNS1_11target_archE910ELNS1_3gpuE8ELNS1_3repE0EEENS1_30default_config_static_selectorELNS0_4arch9wavefront6targetE0EEEvSW_,@function
_ZN7rocprim17ROCPRIM_400000_NS6detail17trampoline_kernelINS0_14default_configENS1_27upper_bound_config_selectorIilEEZNS1_14transform_implILb0ES3_S5_N6thrust23THRUST_200600_302600_NS6detail15normal_iteratorINS8_7pointerIiNS8_11hip_rocprim3tagENS8_11use_defaultESE_EEEENSA_INSB_IlSD_SE_SE_EEEEZNS1_13binary_searchIS3_S5_NSA_INSB_IiSD_NS8_16tagged_referenceIiSD_EESE_EEEESG_SI_NS1_21upper_bound_search_opENS9_16wrapped_functionINS8_7greaterIiEEbEEEE10hipError_tPvRmT1_T2_T3_mmT4_T5_P12ihipStream_tbEUlRKiE_EEST_SX_SY_mSZ_S12_bEUlT_E_NS1_11comp_targetILNS1_3genE4ELNS1_11target_archE910ELNS1_3gpuE8ELNS1_3repE0EEENS1_30default_config_static_selectorELNS0_4arch9wavefront6targetE0EEEvSW_: ; @_ZN7rocprim17ROCPRIM_400000_NS6detail17trampoline_kernelINS0_14default_configENS1_27upper_bound_config_selectorIilEEZNS1_14transform_implILb0ES3_S5_N6thrust23THRUST_200600_302600_NS6detail15normal_iteratorINS8_7pointerIiNS8_11hip_rocprim3tagENS8_11use_defaultESE_EEEENSA_INSB_IlSD_SE_SE_EEEEZNS1_13binary_searchIS3_S5_NSA_INSB_IiSD_NS8_16tagged_referenceIiSD_EESE_EEEESG_SI_NS1_21upper_bound_search_opENS9_16wrapped_functionINS8_7greaterIiEEbEEEE10hipError_tPvRmT1_T2_T3_mmT4_T5_P12ihipStream_tbEUlRKiE_EEST_SX_SY_mSZ_S12_bEUlT_E_NS1_11comp_targetILNS1_3genE4ELNS1_11target_archE910ELNS1_3gpuE8ELNS1_3repE0EEENS1_30default_config_static_selectorELNS0_4arch9wavefront6targetE0EEEvSW_
; %bb.0:
	.section	.rodata,"a",@progbits
	.p2align	6, 0x0
	.amdhsa_kernel _ZN7rocprim17ROCPRIM_400000_NS6detail17trampoline_kernelINS0_14default_configENS1_27upper_bound_config_selectorIilEEZNS1_14transform_implILb0ES3_S5_N6thrust23THRUST_200600_302600_NS6detail15normal_iteratorINS8_7pointerIiNS8_11hip_rocprim3tagENS8_11use_defaultESE_EEEENSA_INSB_IlSD_SE_SE_EEEEZNS1_13binary_searchIS3_S5_NSA_INSB_IiSD_NS8_16tagged_referenceIiSD_EESE_EEEESG_SI_NS1_21upper_bound_search_opENS9_16wrapped_functionINS8_7greaterIiEEbEEEE10hipError_tPvRmT1_T2_T3_mmT4_T5_P12ihipStream_tbEUlRKiE_EEST_SX_SY_mSZ_S12_bEUlT_E_NS1_11comp_targetILNS1_3genE4ELNS1_11target_archE910ELNS1_3gpuE8ELNS1_3repE0EEENS1_30default_config_static_selectorELNS0_4arch9wavefront6targetE0EEEvSW_
		.amdhsa_group_segment_fixed_size 0
		.amdhsa_private_segment_fixed_size 0
		.amdhsa_kernarg_size 56
		.amdhsa_user_sgpr_count 2
		.amdhsa_user_sgpr_dispatch_ptr 0
		.amdhsa_user_sgpr_queue_ptr 0
		.amdhsa_user_sgpr_kernarg_segment_ptr 1
		.amdhsa_user_sgpr_dispatch_id 0
		.amdhsa_user_sgpr_kernarg_preload_length 0
		.amdhsa_user_sgpr_kernarg_preload_offset 0
		.amdhsa_user_sgpr_private_segment_size 0
		.amdhsa_wavefront_size32 1
		.amdhsa_uses_dynamic_stack 0
		.amdhsa_enable_private_segment 0
		.amdhsa_system_sgpr_workgroup_id_x 1
		.amdhsa_system_sgpr_workgroup_id_y 0
		.amdhsa_system_sgpr_workgroup_id_z 0
		.amdhsa_system_sgpr_workgroup_info 0
		.amdhsa_system_vgpr_workitem_id 0
		.amdhsa_next_free_vgpr 1
		.amdhsa_next_free_sgpr 1
		.amdhsa_named_barrier_count 0
		.amdhsa_reserve_vcc 0
		.amdhsa_float_round_mode_32 0
		.amdhsa_float_round_mode_16_64 0
		.amdhsa_float_denorm_mode_32 3
		.amdhsa_float_denorm_mode_16_64 3
		.amdhsa_fp16_overflow 0
		.amdhsa_memory_ordered 1
		.amdhsa_forward_progress 1
		.amdhsa_inst_pref_size 0
		.amdhsa_round_robin_scheduling 0
		.amdhsa_exception_fp_ieee_invalid_op 0
		.amdhsa_exception_fp_denorm_src 0
		.amdhsa_exception_fp_ieee_div_zero 0
		.amdhsa_exception_fp_ieee_overflow 0
		.amdhsa_exception_fp_ieee_underflow 0
		.amdhsa_exception_fp_ieee_inexact 0
		.amdhsa_exception_int_div_zero 0
	.end_amdhsa_kernel
	.section	.text._ZN7rocprim17ROCPRIM_400000_NS6detail17trampoline_kernelINS0_14default_configENS1_27upper_bound_config_selectorIilEEZNS1_14transform_implILb0ES3_S5_N6thrust23THRUST_200600_302600_NS6detail15normal_iteratorINS8_7pointerIiNS8_11hip_rocprim3tagENS8_11use_defaultESE_EEEENSA_INSB_IlSD_SE_SE_EEEEZNS1_13binary_searchIS3_S5_NSA_INSB_IiSD_NS8_16tagged_referenceIiSD_EESE_EEEESG_SI_NS1_21upper_bound_search_opENS9_16wrapped_functionINS8_7greaterIiEEbEEEE10hipError_tPvRmT1_T2_T3_mmT4_T5_P12ihipStream_tbEUlRKiE_EEST_SX_SY_mSZ_S12_bEUlT_E_NS1_11comp_targetILNS1_3genE4ELNS1_11target_archE910ELNS1_3gpuE8ELNS1_3repE0EEENS1_30default_config_static_selectorELNS0_4arch9wavefront6targetE0EEEvSW_,"axG",@progbits,_ZN7rocprim17ROCPRIM_400000_NS6detail17trampoline_kernelINS0_14default_configENS1_27upper_bound_config_selectorIilEEZNS1_14transform_implILb0ES3_S5_N6thrust23THRUST_200600_302600_NS6detail15normal_iteratorINS8_7pointerIiNS8_11hip_rocprim3tagENS8_11use_defaultESE_EEEENSA_INSB_IlSD_SE_SE_EEEEZNS1_13binary_searchIS3_S5_NSA_INSB_IiSD_NS8_16tagged_referenceIiSD_EESE_EEEESG_SI_NS1_21upper_bound_search_opENS9_16wrapped_functionINS8_7greaterIiEEbEEEE10hipError_tPvRmT1_T2_T3_mmT4_T5_P12ihipStream_tbEUlRKiE_EEST_SX_SY_mSZ_S12_bEUlT_E_NS1_11comp_targetILNS1_3genE4ELNS1_11target_archE910ELNS1_3gpuE8ELNS1_3repE0EEENS1_30default_config_static_selectorELNS0_4arch9wavefront6targetE0EEEvSW_,comdat
.Lfunc_end124:
	.size	_ZN7rocprim17ROCPRIM_400000_NS6detail17trampoline_kernelINS0_14default_configENS1_27upper_bound_config_selectorIilEEZNS1_14transform_implILb0ES3_S5_N6thrust23THRUST_200600_302600_NS6detail15normal_iteratorINS8_7pointerIiNS8_11hip_rocprim3tagENS8_11use_defaultESE_EEEENSA_INSB_IlSD_SE_SE_EEEEZNS1_13binary_searchIS3_S5_NSA_INSB_IiSD_NS8_16tagged_referenceIiSD_EESE_EEEESG_SI_NS1_21upper_bound_search_opENS9_16wrapped_functionINS8_7greaterIiEEbEEEE10hipError_tPvRmT1_T2_T3_mmT4_T5_P12ihipStream_tbEUlRKiE_EEST_SX_SY_mSZ_S12_bEUlT_E_NS1_11comp_targetILNS1_3genE4ELNS1_11target_archE910ELNS1_3gpuE8ELNS1_3repE0EEENS1_30default_config_static_selectorELNS0_4arch9wavefront6targetE0EEEvSW_, .Lfunc_end124-_ZN7rocprim17ROCPRIM_400000_NS6detail17trampoline_kernelINS0_14default_configENS1_27upper_bound_config_selectorIilEEZNS1_14transform_implILb0ES3_S5_N6thrust23THRUST_200600_302600_NS6detail15normal_iteratorINS8_7pointerIiNS8_11hip_rocprim3tagENS8_11use_defaultESE_EEEENSA_INSB_IlSD_SE_SE_EEEEZNS1_13binary_searchIS3_S5_NSA_INSB_IiSD_NS8_16tagged_referenceIiSD_EESE_EEEESG_SI_NS1_21upper_bound_search_opENS9_16wrapped_functionINS8_7greaterIiEEbEEEE10hipError_tPvRmT1_T2_T3_mmT4_T5_P12ihipStream_tbEUlRKiE_EEST_SX_SY_mSZ_S12_bEUlT_E_NS1_11comp_targetILNS1_3genE4ELNS1_11target_archE910ELNS1_3gpuE8ELNS1_3repE0EEENS1_30default_config_static_selectorELNS0_4arch9wavefront6targetE0EEEvSW_
                                        ; -- End function
	.set _ZN7rocprim17ROCPRIM_400000_NS6detail17trampoline_kernelINS0_14default_configENS1_27upper_bound_config_selectorIilEEZNS1_14transform_implILb0ES3_S5_N6thrust23THRUST_200600_302600_NS6detail15normal_iteratorINS8_7pointerIiNS8_11hip_rocprim3tagENS8_11use_defaultESE_EEEENSA_INSB_IlSD_SE_SE_EEEEZNS1_13binary_searchIS3_S5_NSA_INSB_IiSD_NS8_16tagged_referenceIiSD_EESE_EEEESG_SI_NS1_21upper_bound_search_opENS9_16wrapped_functionINS8_7greaterIiEEbEEEE10hipError_tPvRmT1_T2_T3_mmT4_T5_P12ihipStream_tbEUlRKiE_EEST_SX_SY_mSZ_S12_bEUlT_E_NS1_11comp_targetILNS1_3genE4ELNS1_11target_archE910ELNS1_3gpuE8ELNS1_3repE0EEENS1_30default_config_static_selectorELNS0_4arch9wavefront6targetE0EEEvSW_.num_vgpr, 0
	.set _ZN7rocprim17ROCPRIM_400000_NS6detail17trampoline_kernelINS0_14default_configENS1_27upper_bound_config_selectorIilEEZNS1_14transform_implILb0ES3_S5_N6thrust23THRUST_200600_302600_NS6detail15normal_iteratorINS8_7pointerIiNS8_11hip_rocprim3tagENS8_11use_defaultESE_EEEENSA_INSB_IlSD_SE_SE_EEEEZNS1_13binary_searchIS3_S5_NSA_INSB_IiSD_NS8_16tagged_referenceIiSD_EESE_EEEESG_SI_NS1_21upper_bound_search_opENS9_16wrapped_functionINS8_7greaterIiEEbEEEE10hipError_tPvRmT1_T2_T3_mmT4_T5_P12ihipStream_tbEUlRKiE_EEST_SX_SY_mSZ_S12_bEUlT_E_NS1_11comp_targetILNS1_3genE4ELNS1_11target_archE910ELNS1_3gpuE8ELNS1_3repE0EEENS1_30default_config_static_selectorELNS0_4arch9wavefront6targetE0EEEvSW_.num_agpr, 0
	.set _ZN7rocprim17ROCPRIM_400000_NS6detail17trampoline_kernelINS0_14default_configENS1_27upper_bound_config_selectorIilEEZNS1_14transform_implILb0ES3_S5_N6thrust23THRUST_200600_302600_NS6detail15normal_iteratorINS8_7pointerIiNS8_11hip_rocprim3tagENS8_11use_defaultESE_EEEENSA_INSB_IlSD_SE_SE_EEEEZNS1_13binary_searchIS3_S5_NSA_INSB_IiSD_NS8_16tagged_referenceIiSD_EESE_EEEESG_SI_NS1_21upper_bound_search_opENS9_16wrapped_functionINS8_7greaterIiEEbEEEE10hipError_tPvRmT1_T2_T3_mmT4_T5_P12ihipStream_tbEUlRKiE_EEST_SX_SY_mSZ_S12_bEUlT_E_NS1_11comp_targetILNS1_3genE4ELNS1_11target_archE910ELNS1_3gpuE8ELNS1_3repE0EEENS1_30default_config_static_selectorELNS0_4arch9wavefront6targetE0EEEvSW_.numbered_sgpr, 0
	.set _ZN7rocprim17ROCPRIM_400000_NS6detail17trampoline_kernelINS0_14default_configENS1_27upper_bound_config_selectorIilEEZNS1_14transform_implILb0ES3_S5_N6thrust23THRUST_200600_302600_NS6detail15normal_iteratorINS8_7pointerIiNS8_11hip_rocprim3tagENS8_11use_defaultESE_EEEENSA_INSB_IlSD_SE_SE_EEEEZNS1_13binary_searchIS3_S5_NSA_INSB_IiSD_NS8_16tagged_referenceIiSD_EESE_EEEESG_SI_NS1_21upper_bound_search_opENS9_16wrapped_functionINS8_7greaterIiEEbEEEE10hipError_tPvRmT1_T2_T3_mmT4_T5_P12ihipStream_tbEUlRKiE_EEST_SX_SY_mSZ_S12_bEUlT_E_NS1_11comp_targetILNS1_3genE4ELNS1_11target_archE910ELNS1_3gpuE8ELNS1_3repE0EEENS1_30default_config_static_selectorELNS0_4arch9wavefront6targetE0EEEvSW_.num_named_barrier, 0
	.set _ZN7rocprim17ROCPRIM_400000_NS6detail17trampoline_kernelINS0_14default_configENS1_27upper_bound_config_selectorIilEEZNS1_14transform_implILb0ES3_S5_N6thrust23THRUST_200600_302600_NS6detail15normal_iteratorINS8_7pointerIiNS8_11hip_rocprim3tagENS8_11use_defaultESE_EEEENSA_INSB_IlSD_SE_SE_EEEEZNS1_13binary_searchIS3_S5_NSA_INSB_IiSD_NS8_16tagged_referenceIiSD_EESE_EEEESG_SI_NS1_21upper_bound_search_opENS9_16wrapped_functionINS8_7greaterIiEEbEEEE10hipError_tPvRmT1_T2_T3_mmT4_T5_P12ihipStream_tbEUlRKiE_EEST_SX_SY_mSZ_S12_bEUlT_E_NS1_11comp_targetILNS1_3genE4ELNS1_11target_archE910ELNS1_3gpuE8ELNS1_3repE0EEENS1_30default_config_static_selectorELNS0_4arch9wavefront6targetE0EEEvSW_.private_seg_size, 0
	.set _ZN7rocprim17ROCPRIM_400000_NS6detail17trampoline_kernelINS0_14default_configENS1_27upper_bound_config_selectorIilEEZNS1_14transform_implILb0ES3_S5_N6thrust23THRUST_200600_302600_NS6detail15normal_iteratorINS8_7pointerIiNS8_11hip_rocprim3tagENS8_11use_defaultESE_EEEENSA_INSB_IlSD_SE_SE_EEEEZNS1_13binary_searchIS3_S5_NSA_INSB_IiSD_NS8_16tagged_referenceIiSD_EESE_EEEESG_SI_NS1_21upper_bound_search_opENS9_16wrapped_functionINS8_7greaterIiEEbEEEE10hipError_tPvRmT1_T2_T3_mmT4_T5_P12ihipStream_tbEUlRKiE_EEST_SX_SY_mSZ_S12_bEUlT_E_NS1_11comp_targetILNS1_3genE4ELNS1_11target_archE910ELNS1_3gpuE8ELNS1_3repE0EEENS1_30default_config_static_selectorELNS0_4arch9wavefront6targetE0EEEvSW_.uses_vcc, 0
	.set _ZN7rocprim17ROCPRIM_400000_NS6detail17trampoline_kernelINS0_14default_configENS1_27upper_bound_config_selectorIilEEZNS1_14transform_implILb0ES3_S5_N6thrust23THRUST_200600_302600_NS6detail15normal_iteratorINS8_7pointerIiNS8_11hip_rocprim3tagENS8_11use_defaultESE_EEEENSA_INSB_IlSD_SE_SE_EEEEZNS1_13binary_searchIS3_S5_NSA_INSB_IiSD_NS8_16tagged_referenceIiSD_EESE_EEEESG_SI_NS1_21upper_bound_search_opENS9_16wrapped_functionINS8_7greaterIiEEbEEEE10hipError_tPvRmT1_T2_T3_mmT4_T5_P12ihipStream_tbEUlRKiE_EEST_SX_SY_mSZ_S12_bEUlT_E_NS1_11comp_targetILNS1_3genE4ELNS1_11target_archE910ELNS1_3gpuE8ELNS1_3repE0EEENS1_30default_config_static_selectorELNS0_4arch9wavefront6targetE0EEEvSW_.uses_flat_scratch, 0
	.set _ZN7rocprim17ROCPRIM_400000_NS6detail17trampoline_kernelINS0_14default_configENS1_27upper_bound_config_selectorIilEEZNS1_14transform_implILb0ES3_S5_N6thrust23THRUST_200600_302600_NS6detail15normal_iteratorINS8_7pointerIiNS8_11hip_rocprim3tagENS8_11use_defaultESE_EEEENSA_INSB_IlSD_SE_SE_EEEEZNS1_13binary_searchIS3_S5_NSA_INSB_IiSD_NS8_16tagged_referenceIiSD_EESE_EEEESG_SI_NS1_21upper_bound_search_opENS9_16wrapped_functionINS8_7greaterIiEEbEEEE10hipError_tPvRmT1_T2_T3_mmT4_T5_P12ihipStream_tbEUlRKiE_EEST_SX_SY_mSZ_S12_bEUlT_E_NS1_11comp_targetILNS1_3genE4ELNS1_11target_archE910ELNS1_3gpuE8ELNS1_3repE0EEENS1_30default_config_static_selectorELNS0_4arch9wavefront6targetE0EEEvSW_.has_dyn_sized_stack, 0
	.set _ZN7rocprim17ROCPRIM_400000_NS6detail17trampoline_kernelINS0_14default_configENS1_27upper_bound_config_selectorIilEEZNS1_14transform_implILb0ES3_S5_N6thrust23THRUST_200600_302600_NS6detail15normal_iteratorINS8_7pointerIiNS8_11hip_rocprim3tagENS8_11use_defaultESE_EEEENSA_INSB_IlSD_SE_SE_EEEEZNS1_13binary_searchIS3_S5_NSA_INSB_IiSD_NS8_16tagged_referenceIiSD_EESE_EEEESG_SI_NS1_21upper_bound_search_opENS9_16wrapped_functionINS8_7greaterIiEEbEEEE10hipError_tPvRmT1_T2_T3_mmT4_T5_P12ihipStream_tbEUlRKiE_EEST_SX_SY_mSZ_S12_bEUlT_E_NS1_11comp_targetILNS1_3genE4ELNS1_11target_archE910ELNS1_3gpuE8ELNS1_3repE0EEENS1_30default_config_static_selectorELNS0_4arch9wavefront6targetE0EEEvSW_.has_recursion, 0
	.set _ZN7rocprim17ROCPRIM_400000_NS6detail17trampoline_kernelINS0_14default_configENS1_27upper_bound_config_selectorIilEEZNS1_14transform_implILb0ES3_S5_N6thrust23THRUST_200600_302600_NS6detail15normal_iteratorINS8_7pointerIiNS8_11hip_rocprim3tagENS8_11use_defaultESE_EEEENSA_INSB_IlSD_SE_SE_EEEEZNS1_13binary_searchIS3_S5_NSA_INSB_IiSD_NS8_16tagged_referenceIiSD_EESE_EEEESG_SI_NS1_21upper_bound_search_opENS9_16wrapped_functionINS8_7greaterIiEEbEEEE10hipError_tPvRmT1_T2_T3_mmT4_T5_P12ihipStream_tbEUlRKiE_EEST_SX_SY_mSZ_S12_bEUlT_E_NS1_11comp_targetILNS1_3genE4ELNS1_11target_archE910ELNS1_3gpuE8ELNS1_3repE0EEENS1_30default_config_static_selectorELNS0_4arch9wavefront6targetE0EEEvSW_.has_indirect_call, 0
	.section	.AMDGPU.csdata,"",@progbits
; Kernel info:
; codeLenInByte = 0
; TotalNumSgprs: 0
; NumVgprs: 0
; ScratchSize: 0
; MemoryBound: 0
; FloatMode: 240
; IeeeMode: 1
; LDSByteSize: 0 bytes/workgroup (compile time only)
; SGPRBlocks: 0
; VGPRBlocks: 0
; NumSGPRsForWavesPerEU: 1
; NumVGPRsForWavesPerEU: 1
; NamedBarCnt: 0
; Occupancy: 16
; WaveLimiterHint : 0
; COMPUTE_PGM_RSRC2:SCRATCH_EN: 0
; COMPUTE_PGM_RSRC2:USER_SGPR: 2
; COMPUTE_PGM_RSRC2:TRAP_HANDLER: 0
; COMPUTE_PGM_RSRC2:TGID_X_EN: 1
; COMPUTE_PGM_RSRC2:TGID_Y_EN: 0
; COMPUTE_PGM_RSRC2:TGID_Z_EN: 0
; COMPUTE_PGM_RSRC2:TIDIG_COMP_CNT: 0
	.section	.text._ZN7rocprim17ROCPRIM_400000_NS6detail17trampoline_kernelINS0_14default_configENS1_27upper_bound_config_selectorIilEEZNS1_14transform_implILb0ES3_S5_N6thrust23THRUST_200600_302600_NS6detail15normal_iteratorINS8_7pointerIiNS8_11hip_rocprim3tagENS8_11use_defaultESE_EEEENSA_INSB_IlSD_SE_SE_EEEEZNS1_13binary_searchIS3_S5_NSA_INSB_IiSD_NS8_16tagged_referenceIiSD_EESE_EEEESG_SI_NS1_21upper_bound_search_opENS9_16wrapped_functionINS8_7greaterIiEEbEEEE10hipError_tPvRmT1_T2_T3_mmT4_T5_P12ihipStream_tbEUlRKiE_EEST_SX_SY_mSZ_S12_bEUlT_E_NS1_11comp_targetILNS1_3genE3ELNS1_11target_archE908ELNS1_3gpuE7ELNS1_3repE0EEENS1_30default_config_static_selectorELNS0_4arch9wavefront6targetE0EEEvSW_,"axG",@progbits,_ZN7rocprim17ROCPRIM_400000_NS6detail17trampoline_kernelINS0_14default_configENS1_27upper_bound_config_selectorIilEEZNS1_14transform_implILb0ES3_S5_N6thrust23THRUST_200600_302600_NS6detail15normal_iteratorINS8_7pointerIiNS8_11hip_rocprim3tagENS8_11use_defaultESE_EEEENSA_INSB_IlSD_SE_SE_EEEEZNS1_13binary_searchIS3_S5_NSA_INSB_IiSD_NS8_16tagged_referenceIiSD_EESE_EEEESG_SI_NS1_21upper_bound_search_opENS9_16wrapped_functionINS8_7greaterIiEEbEEEE10hipError_tPvRmT1_T2_T3_mmT4_T5_P12ihipStream_tbEUlRKiE_EEST_SX_SY_mSZ_S12_bEUlT_E_NS1_11comp_targetILNS1_3genE3ELNS1_11target_archE908ELNS1_3gpuE7ELNS1_3repE0EEENS1_30default_config_static_selectorELNS0_4arch9wavefront6targetE0EEEvSW_,comdat
	.protected	_ZN7rocprim17ROCPRIM_400000_NS6detail17trampoline_kernelINS0_14default_configENS1_27upper_bound_config_selectorIilEEZNS1_14transform_implILb0ES3_S5_N6thrust23THRUST_200600_302600_NS6detail15normal_iteratorINS8_7pointerIiNS8_11hip_rocprim3tagENS8_11use_defaultESE_EEEENSA_INSB_IlSD_SE_SE_EEEEZNS1_13binary_searchIS3_S5_NSA_INSB_IiSD_NS8_16tagged_referenceIiSD_EESE_EEEESG_SI_NS1_21upper_bound_search_opENS9_16wrapped_functionINS8_7greaterIiEEbEEEE10hipError_tPvRmT1_T2_T3_mmT4_T5_P12ihipStream_tbEUlRKiE_EEST_SX_SY_mSZ_S12_bEUlT_E_NS1_11comp_targetILNS1_3genE3ELNS1_11target_archE908ELNS1_3gpuE7ELNS1_3repE0EEENS1_30default_config_static_selectorELNS0_4arch9wavefront6targetE0EEEvSW_ ; -- Begin function _ZN7rocprim17ROCPRIM_400000_NS6detail17trampoline_kernelINS0_14default_configENS1_27upper_bound_config_selectorIilEEZNS1_14transform_implILb0ES3_S5_N6thrust23THRUST_200600_302600_NS6detail15normal_iteratorINS8_7pointerIiNS8_11hip_rocprim3tagENS8_11use_defaultESE_EEEENSA_INSB_IlSD_SE_SE_EEEEZNS1_13binary_searchIS3_S5_NSA_INSB_IiSD_NS8_16tagged_referenceIiSD_EESE_EEEESG_SI_NS1_21upper_bound_search_opENS9_16wrapped_functionINS8_7greaterIiEEbEEEE10hipError_tPvRmT1_T2_T3_mmT4_T5_P12ihipStream_tbEUlRKiE_EEST_SX_SY_mSZ_S12_bEUlT_E_NS1_11comp_targetILNS1_3genE3ELNS1_11target_archE908ELNS1_3gpuE7ELNS1_3repE0EEENS1_30default_config_static_selectorELNS0_4arch9wavefront6targetE0EEEvSW_
	.globl	_ZN7rocprim17ROCPRIM_400000_NS6detail17trampoline_kernelINS0_14default_configENS1_27upper_bound_config_selectorIilEEZNS1_14transform_implILb0ES3_S5_N6thrust23THRUST_200600_302600_NS6detail15normal_iteratorINS8_7pointerIiNS8_11hip_rocprim3tagENS8_11use_defaultESE_EEEENSA_INSB_IlSD_SE_SE_EEEEZNS1_13binary_searchIS3_S5_NSA_INSB_IiSD_NS8_16tagged_referenceIiSD_EESE_EEEESG_SI_NS1_21upper_bound_search_opENS9_16wrapped_functionINS8_7greaterIiEEbEEEE10hipError_tPvRmT1_T2_T3_mmT4_T5_P12ihipStream_tbEUlRKiE_EEST_SX_SY_mSZ_S12_bEUlT_E_NS1_11comp_targetILNS1_3genE3ELNS1_11target_archE908ELNS1_3gpuE7ELNS1_3repE0EEENS1_30default_config_static_selectorELNS0_4arch9wavefront6targetE0EEEvSW_
	.p2align	8
	.type	_ZN7rocprim17ROCPRIM_400000_NS6detail17trampoline_kernelINS0_14default_configENS1_27upper_bound_config_selectorIilEEZNS1_14transform_implILb0ES3_S5_N6thrust23THRUST_200600_302600_NS6detail15normal_iteratorINS8_7pointerIiNS8_11hip_rocprim3tagENS8_11use_defaultESE_EEEENSA_INSB_IlSD_SE_SE_EEEEZNS1_13binary_searchIS3_S5_NSA_INSB_IiSD_NS8_16tagged_referenceIiSD_EESE_EEEESG_SI_NS1_21upper_bound_search_opENS9_16wrapped_functionINS8_7greaterIiEEbEEEE10hipError_tPvRmT1_T2_T3_mmT4_T5_P12ihipStream_tbEUlRKiE_EEST_SX_SY_mSZ_S12_bEUlT_E_NS1_11comp_targetILNS1_3genE3ELNS1_11target_archE908ELNS1_3gpuE7ELNS1_3repE0EEENS1_30default_config_static_selectorELNS0_4arch9wavefront6targetE0EEEvSW_,@function
_ZN7rocprim17ROCPRIM_400000_NS6detail17trampoline_kernelINS0_14default_configENS1_27upper_bound_config_selectorIilEEZNS1_14transform_implILb0ES3_S5_N6thrust23THRUST_200600_302600_NS6detail15normal_iteratorINS8_7pointerIiNS8_11hip_rocprim3tagENS8_11use_defaultESE_EEEENSA_INSB_IlSD_SE_SE_EEEEZNS1_13binary_searchIS3_S5_NSA_INSB_IiSD_NS8_16tagged_referenceIiSD_EESE_EEEESG_SI_NS1_21upper_bound_search_opENS9_16wrapped_functionINS8_7greaterIiEEbEEEE10hipError_tPvRmT1_T2_T3_mmT4_T5_P12ihipStream_tbEUlRKiE_EEST_SX_SY_mSZ_S12_bEUlT_E_NS1_11comp_targetILNS1_3genE3ELNS1_11target_archE908ELNS1_3gpuE7ELNS1_3repE0EEENS1_30default_config_static_selectorELNS0_4arch9wavefront6targetE0EEEvSW_: ; @_ZN7rocprim17ROCPRIM_400000_NS6detail17trampoline_kernelINS0_14default_configENS1_27upper_bound_config_selectorIilEEZNS1_14transform_implILb0ES3_S5_N6thrust23THRUST_200600_302600_NS6detail15normal_iteratorINS8_7pointerIiNS8_11hip_rocprim3tagENS8_11use_defaultESE_EEEENSA_INSB_IlSD_SE_SE_EEEEZNS1_13binary_searchIS3_S5_NSA_INSB_IiSD_NS8_16tagged_referenceIiSD_EESE_EEEESG_SI_NS1_21upper_bound_search_opENS9_16wrapped_functionINS8_7greaterIiEEbEEEE10hipError_tPvRmT1_T2_T3_mmT4_T5_P12ihipStream_tbEUlRKiE_EEST_SX_SY_mSZ_S12_bEUlT_E_NS1_11comp_targetILNS1_3genE3ELNS1_11target_archE908ELNS1_3gpuE7ELNS1_3repE0EEENS1_30default_config_static_selectorELNS0_4arch9wavefront6targetE0EEEvSW_
; %bb.0:
	.section	.rodata,"a",@progbits
	.p2align	6, 0x0
	.amdhsa_kernel _ZN7rocprim17ROCPRIM_400000_NS6detail17trampoline_kernelINS0_14default_configENS1_27upper_bound_config_selectorIilEEZNS1_14transform_implILb0ES3_S5_N6thrust23THRUST_200600_302600_NS6detail15normal_iteratorINS8_7pointerIiNS8_11hip_rocprim3tagENS8_11use_defaultESE_EEEENSA_INSB_IlSD_SE_SE_EEEEZNS1_13binary_searchIS3_S5_NSA_INSB_IiSD_NS8_16tagged_referenceIiSD_EESE_EEEESG_SI_NS1_21upper_bound_search_opENS9_16wrapped_functionINS8_7greaterIiEEbEEEE10hipError_tPvRmT1_T2_T3_mmT4_T5_P12ihipStream_tbEUlRKiE_EEST_SX_SY_mSZ_S12_bEUlT_E_NS1_11comp_targetILNS1_3genE3ELNS1_11target_archE908ELNS1_3gpuE7ELNS1_3repE0EEENS1_30default_config_static_selectorELNS0_4arch9wavefront6targetE0EEEvSW_
		.amdhsa_group_segment_fixed_size 0
		.amdhsa_private_segment_fixed_size 0
		.amdhsa_kernarg_size 56
		.amdhsa_user_sgpr_count 2
		.amdhsa_user_sgpr_dispatch_ptr 0
		.amdhsa_user_sgpr_queue_ptr 0
		.amdhsa_user_sgpr_kernarg_segment_ptr 1
		.amdhsa_user_sgpr_dispatch_id 0
		.amdhsa_user_sgpr_kernarg_preload_length 0
		.amdhsa_user_sgpr_kernarg_preload_offset 0
		.amdhsa_user_sgpr_private_segment_size 0
		.amdhsa_wavefront_size32 1
		.amdhsa_uses_dynamic_stack 0
		.amdhsa_enable_private_segment 0
		.amdhsa_system_sgpr_workgroup_id_x 1
		.amdhsa_system_sgpr_workgroup_id_y 0
		.amdhsa_system_sgpr_workgroup_id_z 0
		.amdhsa_system_sgpr_workgroup_info 0
		.amdhsa_system_vgpr_workitem_id 0
		.amdhsa_next_free_vgpr 1
		.amdhsa_next_free_sgpr 1
		.amdhsa_named_barrier_count 0
		.amdhsa_reserve_vcc 0
		.amdhsa_float_round_mode_32 0
		.amdhsa_float_round_mode_16_64 0
		.amdhsa_float_denorm_mode_32 3
		.amdhsa_float_denorm_mode_16_64 3
		.amdhsa_fp16_overflow 0
		.amdhsa_memory_ordered 1
		.amdhsa_forward_progress 1
		.amdhsa_inst_pref_size 0
		.amdhsa_round_robin_scheduling 0
		.amdhsa_exception_fp_ieee_invalid_op 0
		.amdhsa_exception_fp_denorm_src 0
		.amdhsa_exception_fp_ieee_div_zero 0
		.amdhsa_exception_fp_ieee_overflow 0
		.amdhsa_exception_fp_ieee_underflow 0
		.amdhsa_exception_fp_ieee_inexact 0
		.amdhsa_exception_int_div_zero 0
	.end_amdhsa_kernel
	.section	.text._ZN7rocprim17ROCPRIM_400000_NS6detail17trampoline_kernelINS0_14default_configENS1_27upper_bound_config_selectorIilEEZNS1_14transform_implILb0ES3_S5_N6thrust23THRUST_200600_302600_NS6detail15normal_iteratorINS8_7pointerIiNS8_11hip_rocprim3tagENS8_11use_defaultESE_EEEENSA_INSB_IlSD_SE_SE_EEEEZNS1_13binary_searchIS3_S5_NSA_INSB_IiSD_NS8_16tagged_referenceIiSD_EESE_EEEESG_SI_NS1_21upper_bound_search_opENS9_16wrapped_functionINS8_7greaterIiEEbEEEE10hipError_tPvRmT1_T2_T3_mmT4_T5_P12ihipStream_tbEUlRKiE_EEST_SX_SY_mSZ_S12_bEUlT_E_NS1_11comp_targetILNS1_3genE3ELNS1_11target_archE908ELNS1_3gpuE7ELNS1_3repE0EEENS1_30default_config_static_selectorELNS0_4arch9wavefront6targetE0EEEvSW_,"axG",@progbits,_ZN7rocprim17ROCPRIM_400000_NS6detail17trampoline_kernelINS0_14default_configENS1_27upper_bound_config_selectorIilEEZNS1_14transform_implILb0ES3_S5_N6thrust23THRUST_200600_302600_NS6detail15normal_iteratorINS8_7pointerIiNS8_11hip_rocprim3tagENS8_11use_defaultESE_EEEENSA_INSB_IlSD_SE_SE_EEEEZNS1_13binary_searchIS3_S5_NSA_INSB_IiSD_NS8_16tagged_referenceIiSD_EESE_EEEESG_SI_NS1_21upper_bound_search_opENS9_16wrapped_functionINS8_7greaterIiEEbEEEE10hipError_tPvRmT1_T2_T3_mmT4_T5_P12ihipStream_tbEUlRKiE_EEST_SX_SY_mSZ_S12_bEUlT_E_NS1_11comp_targetILNS1_3genE3ELNS1_11target_archE908ELNS1_3gpuE7ELNS1_3repE0EEENS1_30default_config_static_selectorELNS0_4arch9wavefront6targetE0EEEvSW_,comdat
.Lfunc_end125:
	.size	_ZN7rocprim17ROCPRIM_400000_NS6detail17trampoline_kernelINS0_14default_configENS1_27upper_bound_config_selectorIilEEZNS1_14transform_implILb0ES3_S5_N6thrust23THRUST_200600_302600_NS6detail15normal_iteratorINS8_7pointerIiNS8_11hip_rocprim3tagENS8_11use_defaultESE_EEEENSA_INSB_IlSD_SE_SE_EEEEZNS1_13binary_searchIS3_S5_NSA_INSB_IiSD_NS8_16tagged_referenceIiSD_EESE_EEEESG_SI_NS1_21upper_bound_search_opENS9_16wrapped_functionINS8_7greaterIiEEbEEEE10hipError_tPvRmT1_T2_T3_mmT4_T5_P12ihipStream_tbEUlRKiE_EEST_SX_SY_mSZ_S12_bEUlT_E_NS1_11comp_targetILNS1_3genE3ELNS1_11target_archE908ELNS1_3gpuE7ELNS1_3repE0EEENS1_30default_config_static_selectorELNS0_4arch9wavefront6targetE0EEEvSW_, .Lfunc_end125-_ZN7rocprim17ROCPRIM_400000_NS6detail17trampoline_kernelINS0_14default_configENS1_27upper_bound_config_selectorIilEEZNS1_14transform_implILb0ES3_S5_N6thrust23THRUST_200600_302600_NS6detail15normal_iteratorINS8_7pointerIiNS8_11hip_rocprim3tagENS8_11use_defaultESE_EEEENSA_INSB_IlSD_SE_SE_EEEEZNS1_13binary_searchIS3_S5_NSA_INSB_IiSD_NS8_16tagged_referenceIiSD_EESE_EEEESG_SI_NS1_21upper_bound_search_opENS9_16wrapped_functionINS8_7greaterIiEEbEEEE10hipError_tPvRmT1_T2_T3_mmT4_T5_P12ihipStream_tbEUlRKiE_EEST_SX_SY_mSZ_S12_bEUlT_E_NS1_11comp_targetILNS1_3genE3ELNS1_11target_archE908ELNS1_3gpuE7ELNS1_3repE0EEENS1_30default_config_static_selectorELNS0_4arch9wavefront6targetE0EEEvSW_
                                        ; -- End function
	.set _ZN7rocprim17ROCPRIM_400000_NS6detail17trampoline_kernelINS0_14default_configENS1_27upper_bound_config_selectorIilEEZNS1_14transform_implILb0ES3_S5_N6thrust23THRUST_200600_302600_NS6detail15normal_iteratorINS8_7pointerIiNS8_11hip_rocprim3tagENS8_11use_defaultESE_EEEENSA_INSB_IlSD_SE_SE_EEEEZNS1_13binary_searchIS3_S5_NSA_INSB_IiSD_NS8_16tagged_referenceIiSD_EESE_EEEESG_SI_NS1_21upper_bound_search_opENS9_16wrapped_functionINS8_7greaterIiEEbEEEE10hipError_tPvRmT1_T2_T3_mmT4_T5_P12ihipStream_tbEUlRKiE_EEST_SX_SY_mSZ_S12_bEUlT_E_NS1_11comp_targetILNS1_3genE3ELNS1_11target_archE908ELNS1_3gpuE7ELNS1_3repE0EEENS1_30default_config_static_selectorELNS0_4arch9wavefront6targetE0EEEvSW_.num_vgpr, 0
	.set _ZN7rocprim17ROCPRIM_400000_NS6detail17trampoline_kernelINS0_14default_configENS1_27upper_bound_config_selectorIilEEZNS1_14transform_implILb0ES3_S5_N6thrust23THRUST_200600_302600_NS6detail15normal_iteratorINS8_7pointerIiNS8_11hip_rocprim3tagENS8_11use_defaultESE_EEEENSA_INSB_IlSD_SE_SE_EEEEZNS1_13binary_searchIS3_S5_NSA_INSB_IiSD_NS8_16tagged_referenceIiSD_EESE_EEEESG_SI_NS1_21upper_bound_search_opENS9_16wrapped_functionINS8_7greaterIiEEbEEEE10hipError_tPvRmT1_T2_T3_mmT4_T5_P12ihipStream_tbEUlRKiE_EEST_SX_SY_mSZ_S12_bEUlT_E_NS1_11comp_targetILNS1_3genE3ELNS1_11target_archE908ELNS1_3gpuE7ELNS1_3repE0EEENS1_30default_config_static_selectorELNS0_4arch9wavefront6targetE0EEEvSW_.num_agpr, 0
	.set _ZN7rocprim17ROCPRIM_400000_NS6detail17trampoline_kernelINS0_14default_configENS1_27upper_bound_config_selectorIilEEZNS1_14transform_implILb0ES3_S5_N6thrust23THRUST_200600_302600_NS6detail15normal_iteratorINS8_7pointerIiNS8_11hip_rocprim3tagENS8_11use_defaultESE_EEEENSA_INSB_IlSD_SE_SE_EEEEZNS1_13binary_searchIS3_S5_NSA_INSB_IiSD_NS8_16tagged_referenceIiSD_EESE_EEEESG_SI_NS1_21upper_bound_search_opENS9_16wrapped_functionINS8_7greaterIiEEbEEEE10hipError_tPvRmT1_T2_T3_mmT4_T5_P12ihipStream_tbEUlRKiE_EEST_SX_SY_mSZ_S12_bEUlT_E_NS1_11comp_targetILNS1_3genE3ELNS1_11target_archE908ELNS1_3gpuE7ELNS1_3repE0EEENS1_30default_config_static_selectorELNS0_4arch9wavefront6targetE0EEEvSW_.numbered_sgpr, 0
	.set _ZN7rocprim17ROCPRIM_400000_NS6detail17trampoline_kernelINS0_14default_configENS1_27upper_bound_config_selectorIilEEZNS1_14transform_implILb0ES3_S5_N6thrust23THRUST_200600_302600_NS6detail15normal_iteratorINS8_7pointerIiNS8_11hip_rocprim3tagENS8_11use_defaultESE_EEEENSA_INSB_IlSD_SE_SE_EEEEZNS1_13binary_searchIS3_S5_NSA_INSB_IiSD_NS8_16tagged_referenceIiSD_EESE_EEEESG_SI_NS1_21upper_bound_search_opENS9_16wrapped_functionINS8_7greaterIiEEbEEEE10hipError_tPvRmT1_T2_T3_mmT4_T5_P12ihipStream_tbEUlRKiE_EEST_SX_SY_mSZ_S12_bEUlT_E_NS1_11comp_targetILNS1_3genE3ELNS1_11target_archE908ELNS1_3gpuE7ELNS1_3repE0EEENS1_30default_config_static_selectorELNS0_4arch9wavefront6targetE0EEEvSW_.num_named_barrier, 0
	.set _ZN7rocprim17ROCPRIM_400000_NS6detail17trampoline_kernelINS0_14default_configENS1_27upper_bound_config_selectorIilEEZNS1_14transform_implILb0ES3_S5_N6thrust23THRUST_200600_302600_NS6detail15normal_iteratorINS8_7pointerIiNS8_11hip_rocprim3tagENS8_11use_defaultESE_EEEENSA_INSB_IlSD_SE_SE_EEEEZNS1_13binary_searchIS3_S5_NSA_INSB_IiSD_NS8_16tagged_referenceIiSD_EESE_EEEESG_SI_NS1_21upper_bound_search_opENS9_16wrapped_functionINS8_7greaterIiEEbEEEE10hipError_tPvRmT1_T2_T3_mmT4_T5_P12ihipStream_tbEUlRKiE_EEST_SX_SY_mSZ_S12_bEUlT_E_NS1_11comp_targetILNS1_3genE3ELNS1_11target_archE908ELNS1_3gpuE7ELNS1_3repE0EEENS1_30default_config_static_selectorELNS0_4arch9wavefront6targetE0EEEvSW_.private_seg_size, 0
	.set _ZN7rocprim17ROCPRIM_400000_NS6detail17trampoline_kernelINS0_14default_configENS1_27upper_bound_config_selectorIilEEZNS1_14transform_implILb0ES3_S5_N6thrust23THRUST_200600_302600_NS6detail15normal_iteratorINS8_7pointerIiNS8_11hip_rocprim3tagENS8_11use_defaultESE_EEEENSA_INSB_IlSD_SE_SE_EEEEZNS1_13binary_searchIS3_S5_NSA_INSB_IiSD_NS8_16tagged_referenceIiSD_EESE_EEEESG_SI_NS1_21upper_bound_search_opENS9_16wrapped_functionINS8_7greaterIiEEbEEEE10hipError_tPvRmT1_T2_T3_mmT4_T5_P12ihipStream_tbEUlRKiE_EEST_SX_SY_mSZ_S12_bEUlT_E_NS1_11comp_targetILNS1_3genE3ELNS1_11target_archE908ELNS1_3gpuE7ELNS1_3repE0EEENS1_30default_config_static_selectorELNS0_4arch9wavefront6targetE0EEEvSW_.uses_vcc, 0
	.set _ZN7rocprim17ROCPRIM_400000_NS6detail17trampoline_kernelINS0_14default_configENS1_27upper_bound_config_selectorIilEEZNS1_14transform_implILb0ES3_S5_N6thrust23THRUST_200600_302600_NS6detail15normal_iteratorINS8_7pointerIiNS8_11hip_rocprim3tagENS8_11use_defaultESE_EEEENSA_INSB_IlSD_SE_SE_EEEEZNS1_13binary_searchIS3_S5_NSA_INSB_IiSD_NS8_16tagged_referenceIiSD_EESE_EEEESG_SI_NS1_21upper_bound_search_opENS9_16wrapped_functionINS8_7greaterIiEEbEEEE10hipError_tPvRmT1_T2_T3_mmT4_T5_P12ihipStream_tbEUlRKiE_EEST_SX_SY_mSZ_S12_bEUlT_E_NS1_11comp_targetILNS1_3genE3ELNS1_11target_archE908ELNS1_3gpuE7ELNS1_3repE0EEENS1_30default_config_static_selectorELNS0_4arch9wavefront6targetE0EEEvSW_.uses_flat_scratch, 0
	.set _ZN7rocprim17ROCPRIM_400000_NS6detail17trampoline_kernelINS0_14default_configENS1_27upper_bound_config_selectorIilEEZNS1_14transform_implILb0ES3_S5_N6thrust23THRUST_200600_302600_NS6detail15normal_iteratorINS8_7pointerIiNS8_11hip_rocprim3tagENS8_11use_defaultESE_EEEENSA_INSB_IlSD_SE_SE_EEEEZNS1_13binary_searchIS3_S5_NSA_INSB_IiSD_NS8_16tagged_referenceIiSD_EESE_EEEESG_SI_NS1_21upper_bound_search_opENS9_16wrapped_functionINS8_7greaterIiEEbEEEE10hipError_tPvRmT1_T2_T3_mmT4_T5_P12ihipStream_tbEUlRKiE_EEST_SX_SY_mSZ_S12_bEUlT_E_NS1_11comp_targetILNS1_3genE3ELNS1_11target_archE908ELNS1_3gpuE7ELNS1_3repE0EEENS1_30default_config_static_selectorELNS0_4arch9wavefront6targetE0EEEvSW_.has_dyn_sized_stack, 0
	.set _ZN7rocprim17ROCPRIM_400000_NS6detail17trampoline_kernelINS0_14default_configENS1_27upper_bound_config_selectorIilEEZNS1_14transform_implILb0ES3_S5_N6thrust23THRUST_200600_302600_NS6detail15normal_iteratorINS8_7pointerIiNS8_11hip_rocprim3tagENS8_11use_defaultESE_EEEENSA_INSB_IlSD_SE_SE_EEEEZNS1_13binary_searchIS3_S5_NSA_INSB_IiSD_NS8_16tagged_referenceIiSD_EESE_EEEESG_SI_NS1_21upper_bound_search_opENS9_16wrapped_functionINS8_7greaterIiEEbEEEE10hipError_tPvRmT1_T2_T3_mmT4_T5_P12ihipStream_tbEUlRKiE_EEST_SX_SY_mSZ_S12_bEUlT_E_NS1_11comp_targetILNS1_3genE3ELNS1_11target_archE908ELNS1_3gpuE7ELNS1_3repE0EEENS1_30default_config_static_selectorELNS0_4arch9wavefront6targetE0EEEvSW_.has_recursion, 0
	.set _ZN7rocprim17ROCPRIM_400000_NS6detail17trampoline_kernelINS0_14default_configENS1_27upper_bound_config_selectorIilEEZNS1_14transform_implILb0ES3_S5_N6thrust23THRUST_200600_302600_NS6detail15normal_iteratorINS8_7pointerIiNS8_11hip_rocprim3tagENS8_11use_defaultESE_EEEENSA_INSB_IlSD_SE_SE_EEEEZNS1_13binary_searchIS3_S5_NSA_INSB_IiSD_NS8_16tagged_referenceIiSD_EESE_EEEESG_SI_NS1_21upper_bound_search_opENS9_16wrapped_functionINS8_7greaterIiEEbEEEE10hipError_tPvRmT1_T2_T3_mmT4_T5_P12ihipStream_tbEUlRKiE_EEST_SX_SY_mSZ_S12_bEUlT_E_NS1_11comp_targetILNS1_3genE3ELNS1_11target_archE908ELNS1_3gpuE7ELNS1_3repE0EEENS1_30default_config_static_selectorELNS0_4arch9wavefront6targetE0EEEvSW_.has_indirect_call, 0
	.section	.AMDGPU.csdata,"",@progbits
; Kernel info:
; codeLenInByte = 0
; TotalNumSgprs: 0
; NumVgprs: 0
; ScratchSize: 0
; MemoryBound: 0
; FloatMode: 240
; IeeeMode: 1
; LDSByteSize: 0 bytes/workgroup (compile time only)
; SGPRBlocks: 0
; VGPRBlocks: 0
; NumSGPRsForWavesPerEU: 1
; NumVGPRsForWavesPerEU: 1
; NamedBarCnt: 0
; Occupancy: 16
; WaveLimiterHint : 0
; COMPUTE_PGM_RSRC2:SCRATCH_EN: 0
; COMPUTE_PGM_RSRC2:USER_SGPR: 2
; COMPUTE_PGM_RSRC2:TRAP_HANDLER: 0
; COMPUTE_PGM_RSRC2:TGID_X_EN: 1
; COMPUTE_PGM_RSRC2:TGID_Y_EN: 0
; COMPUTE_PGM_RSRC2:TGID_Z_EN: 0
; COMPUTE_PGM_RSRC2:TIDIG_COMP_CNT: 0
	.section	.text._ZN7rocprim17ROCPRIM_400000_NS6detail17trampoline_kernelINS0_14default_configENS1_27upper_bound_config_selectorIilEEZNS1_14transform_implILb0ES3_S5_N6thrust23THRUST_200600_302600_NS6detail15normal_iteratorINS8_7pointerIiNS8_11hip_rocprim3tagENS8_11use_defaultESE_EEEENSA_INSB_IlSD_SE_SE_EEEEZNS1_13binary_searchIS3_S5_NSA_INSB_IiSD_NS8_16tagged_referenceIiSD_EESE_EEEESG_SI_NS1_21upper_bound_search_opENS9_16wrapped_functionINS8_7greaterIiEEbEEEE10hipError_tPvRmT1_T2_T3_mmT4_T5_P12ihipStream_tbEUlRKiE_EEST_SX_SY_mSZ_S12_bEUlT_E_NS1_11comp_targetILNS1_3genE2ELNS1_11target_archE906ELNS1_3gpuE6ELNS1_3repE0EEENS1_30default_config_static_selectorELNS0_4arch9wavefront6targetE0EEEvSW_,"axG",@progbits,_ZN7rocprim17ROCPRIM_400000_NS6detail17trampoline_kernelINS0_14default_configENS1_27upper_bound_config_selectorIilEEZNS1_14transform_implILb0ES3_S5_N6thrust23THRUST_200600_302600_NS6detail15normal_iteratorINS8_7pointerIiNS8_11hip_rocprim3tagENS8_11use_defaultESE_EEEENSA_INSB_IlSD_SE_SE_EEEEZNS1_13binary_searchIS3_S5_NSA_INSB_IiSD_NS8_16tagged_referenceIiSD_EESE_EEEESG_SI_NS1_21upper_bound_search_opENS9_16wrapped_functionINS8_7greaterIiEEbEEEE10hipError_tPvRmT1_T2_T3_mmT4_T5_P12ihipStream_tbEUlRKiE_EEST_SX_SY_mSZ_S12_bEUlT_E_NS1_11comp_targetILNS1_3genE2ELNS1_11target_archE906ELNS1_3gpuE6ELNS1_3repE0EEENS1_30default_config_static_selectorELNS0_4arch9wavefront6targetE0EEEvSW_,comdat
	.protected	_ZN7rocprim17ROCPRIM_400000_NS6detail17trampoline_kernelINS0_14default_configENS1_27upper_bound_config_selectorIilEEZNS1_14transform_implILb0ES3_S5_N6thrust23THRUST_200600_302600_NS6detail15normal_iteratorINS8_7pointerIiNS8_11hip_rocprim3tagENS8_11use_defaultESE_EEEENSA_INSB_IlSD_SE_SE_EEEEZNS1_13binary_searchIS3_S5_NSA_INSB_IiSD_NS8_16tagged_referenceIiSD_EESE_EEEESG_SI_NS1_21upper_bound_search_opENS9_16wrapped_functionINS8_7greaterIiEEbEEEE10hipError_tPvRmT1_T2_T3_mmT4_T5_P12ihipStream_tbEUlRKiE_EEST_SX_SY_mSZ_S12_bEUlT_E_NS1_11comp_targetILNS1_3genE2ELNS1_11target_archE906ELNS1_3gpuE6ELNS1_3repE0EEENS1_30default_config_static_selectorELNS0_4arch9wavefront6targetE0EEEvSW_ ; -- Begin function _ZN7rocprim17ROCPRIM_400000_NS6detail17trampoline_kernelINS0_14default_configENS1_27upper_bound_config_selectorIilEEZNS1_14transform_implILb0ES3_S5_N6thrust23THRUST_200600_302600_NS6detail15normal_iteratorINS8_7pointerIiNS8_11hip_rocprim3tagENS8_11use_defaultESE_EEEENSA_INSB_IlSD_SE_SE_EEEEZNS1_13binary_searchIS3_S5_NSA_INSB_IiSD_NS8_16tagged_referenceIiSD_EESE_EEEESG_SI_NS1_21upper_bound_search_opENS9_16wrapped_functionINS8_7greaterIiEEbEEEE10hipError_tPvRmT1_T2_T3_mmT4_T5_P12ihipStream_tbEUlRKiE_EEST_SX_SY_mSZ_S12_bEUlT_E_NS1_11comp_targetILNS1_3genE2ELNS1_11target_archE906ELNS1_3gpuE6ELNS1_3repE0EEENS1_30default_config_static_selectorELNS0_4arch9wavefront6targetE0EEEvSW_
	.globl	_ZN7rocprim17ROCPRIM_400000_NS6detail17trampoline_kernelINS0_14default_configENS1_27upper_bound_config_selectorIilEEZNS1_14transform_implILb0ES3_S5_N6thrust23THRUST_200600_302600_NS6detail15normal_iteratorINS8_7pointerIiNS8_11hip_rocprim3tagENS8_11use_defaultESE_EEEENSA_INSB_IlSD_SE_SE_EEEEZNS1_13binary_searchIS3_S5_NSA_INSB_IiSD_NS8_16tagged_referenceIiSD_EESE_EEEESG_SI_NS1_21upper_bound_search_opENS9_16wrapped_functionINS8_7greaterIiEEbEEEE10hipError_tPvRmT1_T2_T3_mmT4_T5_P12ihipStream_tbEUlRKiE_EEST_SX_SY_mSZ_S12_bEUlT_E_NS1_11comp_targetILNS1_3genE2ELNS1_11target_archE906ELNS1_3gpuE6ELNS1_3repE0EEENS1_30default_config_static_selectorELNS0_4arch9wavefront6targetE0EEEvSW_
	.p2align	8
	.type	_ZN7rocprim17ROCPRIM_400000_NS6detail17trampoline_kernelINS0_14default_configENS1_27upper_bound_config_selectorIilEEZNS1_14transform_implILb0ES3_S5_N6thrust23THRUST_200600_302600_NS6detail15normal_iteratorINS8_7pointerIiNS8_11hip_rocprim3tagENS8_11use_defaultESE_EEEENSA_INSB_IlSD_SE_SE_EEEEZNS1_13binary_searchIS3_S5_NSA_INSB_IiSD_NS8_16tagged_referenceIiSD_EESE_EEEESG_SI_NS1_21upper_bound_search_opENS9_16wrapped_functionINS8_7greaterIiEEbEEEE10hipError_tPvRmT1_T2_T3_mmT4_T5_P12ihipStream_tbEUlRKiE_EEST_SX_SY_mSZ_S12_bEUlT_E_NS1_11comp_targetILNS1_3genE2ELNS1_11target_archE906ELNS1_3gpuE6ELNS1_3repE0EEENS1_30default_config_static_selectorELNS0_4arch9wavefront6targetE0EEEvSW_,@function
_ZN7rocprim17ROCPRIM_400000_NS6detail17trampoline_kernelINS0_14default_configENS1_27upper_bound_config_selectorIilEEZNS1_14transform_implILb0ES3_S5_N6thrust23THRUST_200600_302600_NS6detail15normal_iteratorINS8_7pointerIiNS8_11hip_rocprim3tagENS8_11use_defaultESE_EEEENSA_INSB_IlSD_SE_SE_EEEEZNS1_13binary_searchIS3_S5_NSA_INSB_IiSD_NS8_16tagged_referenceIiSD_EESE_EEEESG_SI_NS1_21upper_bound_search_opENS9_16wrapped_functionINS8_7greaterIiEEbEEEE10hipError_tPvRmT1_T2_T3_mmT4_T5_P12ihipStream_tbEUlRKiE_EEST_SX_SY_mSZ_S12_bEUlT_E_NS1_11comp_targetILNS1_3genE2ELNS1_11target_archE906ELNS1_3gpuE6ELNS1_3repE0EEENS1_30default_config_static_selectorELNS0_4arch9wavefront6targetE0EEEvSW_: ; @_ZN7rocprim17ROCPRIM_400000_NS6detail17trampoline_kernelINS0_14default_configENS1_27upper_bound_config_selectorIilEEZNS1_14transform_implILb0ES3_S5_N6thrust23THRUST_200600_302600_NS6detail15normal_iteratorINS8_7pointerIiNS8_11hip_rocprim3tagENS8_11use_defaultESE_EEEENSA_INSB_IlSD_SE_SE_EEEEZNS1_13binary_searchIS3_S5_NSA_INSB_IiSD_NS8_16tagged_referenceIiSD_EESE_EEEESG_SI_NS1_21upper_bound_search_opENS9_16wrapped_functionINS8_7greaterIiEEbEEEE10hipError_tPvRmT1_T2_T3_mmT4_T5_P12ihipStream_tbEUlRKiE_EEST_SX_SY_mSZ_S12_bEUlT_E_NS1_11comp_targetILNS1_3genE2ELNS1_11target_archE906ELNS1_3gpuE6ELNS1_3repE0EEENS1_30default_config_static_selectorELNS0_4arch9wavefront6targetE0EEEvSW_
; %bb.0:
	.section	.rodata,"a",@progbits
	.p2align	6, 0x0
	.amdhsa_kernel _ZN7rocprim17ROCPRIM_400000_NS6detail17trampoline_kernelINS0_14default_configENS1_27upper_bound_config_selectorIilEEZNS1_14transform_implILb0ES3_S5_N6thrust23THRUST_200600_302600_NS6detail15normal_iteratorINS8_7pointerIiNS8_11hip_rocprim3tagENS8_11use_defaultESE_EEEENSA_INSB_IlSD_SE_SE_EEEEZNS1_13binary_searchIS3_S5_NSA_INSB_IiSD_NS8_16tagged_referenceIiSD_EESE_EEEESG_SI_NS1_21upper_bound_search_opENS9_16wrapped_functionINS8_7greaterIiEEbEEEE10hipError_tPvRmT1_T2_T3_mmT4_T5_P12ihipStream_tbEUlRKiE_EEST_SX_SY_mSZ_S12_bEUlT_E_NS1_11comp_targetILNS1_3genE2ELNS1_11target_archE906ELNS1_3gpuE6ELNS1_3repE0EEENS1_30default_config_static_selectorELNS0_4arch9wavefront6targetE0EEEvSW_
		.amdhsa_group_segment_fixed_size 0
		.amdhsa_private_segment_fixed_size 0
		.amdhsa_kernarg_size 56
		.amdhsa_user_sgpr_count 2
		.amdhsa_user_sgpr_dispatch_ptr 0
		.amdhsa_user_sgpr_queue_ptr 0
		.amdhsa_user_sgpr_kernarg_segment_ptr 1
		.amdhsa_user_sgpr_dispatch_id 0
		.amdhsa_user_sgpr_kernarg_preload_length 0
		.amdhsa_user_sgpr_kernarg_preload_offset 0
		.amdhsa_user_sgpr_private_segment_size 0
		.amdhsa_wavefront_size32 1
		.amdhsa_uses_dynamic_stack 0
		.amdhsa_enable_private_segment 0
		.amdhsa_system_sgpr_workgroup_id_x 1
		.amdhsa_system_sgpr_workgroup_id_y 0
		.amdhsa_system_sgpr_workgroup_id_z 0
		.amdhsa_system_sgpr_workgroup_info 0
		.amdhsa_system_vgpr_workitem_id 0
		.amdhsa_next_free_vgpr 1
		.amdhsa_next_free_sgpr 1
		.amdhsa_named_barrier_count 0
		.amdhsa_reserve_vcc 0
		.amdhsa_float_round_mode_32 0
		.amdhsa_float_round_mode_16_64 0
		.amdhsa_float_denorm_mode_32 3
		.amdhsa_float_denorm_mode_16_64 3
		.amdhsa_fp16_overflow 0
		.amdhsa_memory_ordered 1
		.amdhsa_forward_progress 1
		.amdhsa_inst_pref_size 0
		.amdhsa_round_robin_scheduling 0
		.amdhsa_exception_fp_ieee_invalid_op 0
		.amdhsa_exception_fp_denorm_src 0
		.amdhsa_exception_fp_ieee_div_zero 0
		.amdhsa_exception_fp_ieee_overflow 0
		.amdhsa_exception_fp_ieee_underflow 0
		.amdhsa_exception_fp_ieee_inexact 0
		.amdhsa_exception_int_div_zero 0
	.end_amdhsa_kernel
	.section	.text._ZN7rocprim17ROCPRIM_400000_NS6detail17trampoline_kernelINS0_14default_configENS1_27upper_bound_config_selectorIilEEZNS1_14transform_implILb0ES3_S5_N6thrust23THRUST_200600_302600_NS6detail15normal_iteratorINS8_7pointerIiNS8_11hip_rocprim3tagENS8_11use_defaultESE_EEEENSA_INSB_IlSD_SE_SE_EEEEZNS1_13binary_searchIS3_S5_NSA_INSB_IiSD_NS8_16tagged_referenceIiSD_EESE_EEEESG_SI_NS1_21upper_bound_search_opENS9_16wrapped_functionINS8_7greaterIiEEbEEEE10hipError_tPvRmT1_T2_T3_mmT4_T5_P12ihipStream_tbEUlRKiE_EEST_SX_SY_mSZ_S12_bEUlT_E_NS1_11comp_targetILNS1_3genE2ELNS1_11target_archE906ELNS1_3gpuE6ELNS1_3repE0EEENS1_30default_config_static_selectorELNS0_4arch9wavefront6targetE0EEEvSW_,"axG",@progbits,_ZN7rocprim17ROCPRIM_400000_NS6detail17trampoline_kernelINS0_14default_configENS1_27upper_bound_config_selectorIilEEZNS1_14transform_implILb0ES3_S5_N6thrust23THRUST_200600_302600_NS6detail15normal_iteratorINS8_7pointerIiNS8_11hip_rocprim3tagENS8_11use_defaultESE_EEEENSA_INSB_IlSD_SE_SE_EEEEZNS1_13binary_searchIS3_S5_NSA_INSB_IiSD_NS8_16tagged_referenceIiSD_EESE_EEEESG_SI_NS1_21upper_bound_search_opENS9_16wrapped_functionINS8_7greaterIiEEbEEEE10hipError_tPvRmT1_T2_T3_mmT4_T5_P12ihipStream_tbEUlRKiE_EEST_SX_SY_mSZ_S12_bEUlT_E_NS1_11comp_targetILNS1_3genE2ELNS1_11target_archE906ELNS1_3gpuE6ELNS1_3repE0EEENS1_30default_config_static_selectorELNS0_4arch9wavefront6targetE0EEEvSW_,comdat
.Lfunc_end126:
	.size	_ZN7rocprim17ROCPRIM_400000_NS6detail17trampoline_kernelINS0_14default_configENS1_27upper_bound_config_selectorIilEEZNS1_14transform_implILb0ES3_S5_N6thrust23THRUST_200600_302600_NS6detail15normal_iteratorINS8_7pointerIiNS8_11hip_rocprim3tagENS8_11use_defaultESE_EEEENSA_INSB_IlSD_SE_SE_EEEEZNS1_13binary_searchIS3_S5_NSA_INSB_IiSD_NS8_16tagged_referenceIiSD_EESE_EEEESG_SI_NS1_21upper_bound_search_opENS9_16wrapped_functionINS8_7greaterIiEEbEEEE10hipError_tPvRmT1_T2_T3_mmT4_T5_P12ihipStream_tbEUlRKiE_EEST_SX_SY_mSZ_S12_bEUlT_E_NS1_11comp_targetILNS1_3genE2ELNS1_11target_archE906ELNS1_3gpuE6ELNS1_3repE0EEENS1_30default_config_static_selectorELNS0_4arch9wavefront6targetE0EEEvSW_, .Lfunc_end126-_ZN7rocprim17ROCPRIM_400000_NS6detail17trampoline_kernelINS0_14default_configENS1_27upper_bound_config_selectorIilEEZNS1_14transform_implILb0ES3_S5_N6thrust23THRUST_200600_302600_NS6detail15normal_iteratorINS8_7pointerIiNS8_11hip_rocprim3tagENS8_11use_defaultESE_EEEENSA_INSB_IlSD_SE_SE_EEEEZNS1_13binary_searchIS3_S5_NSA_INSB_IiSD_NS8_16tagged_referenceIiSD_EESE_EEEESG_SI_NS1_21upper_bound_search_opENS9_16wrapped_functionINS8_7greaterIiEEbEEEE10hipError_tPvRmT1_T2_T3_mmT4_T5_P12ihipStream_tbEUlRKiE_EEST_SX_SY_mSZ_S12_bEUlT_E_NS1_11comp_targetILNS1_3genE2ELNS1_11target_archE906ELNS1_3gpuE6ELNS1_3repE0EEENS1_30default_config_static_selectorELNS0_4arch9wavefront6targetE0EEEvSW_
                                        ; -- End function
	.set _ZN7rocprim17ROCPRIM_400000_NS6detail17trampoline_kernelINS0_14default_configENS1_27upper_bound_config_selectorIilEEZNS1_14transform_implILb0ES3_S5_N6thrust23THRUST_200600_302600_NS6detail15normal_iteratorINS8_7pointerIiNS8_11hip_rocprim3tagENS8_11use_defaultESE_EEEENSA_INSB_IlSD_SE_SE_EEEEZNS1_13binary_searchIS3_S5_NSA_INSB_IiSD_NS8_16tagged_referenceIiSD_EESE_EEEESG_SI_NS1_21upper_bound_search_opENS9_16wrapped_functionINS8_7greaterIiEEbEEEE10hipError_tPvRmT1_T2_T3_mmT4_T5_P12ihipStream_tbEUlRKiE_EEST_SX_SY_mSZ_S12_bEUlT_E_NS1_11comp_targetILNS1_3genE2ELNS1_11target_archE906ELNS1_3gpuE6ELNS1_3repE0EEENS1_30default_config_static_selectorELNS0_4arch9wavefront6targetE0EEEvSW_.num_vgpr, 0
	.set _ZN7rocprim17ROCPRIM_400000_NS6detail17trampoline_kernelINS0_14default_configENS1_27upper_bound_config_selectorIilEEZNS1_14transform_implILb0ES3_S5_N6thrust23THRUST_200600_302600_NS6detail15normal_iteratorINS8_7pointerIiNS8_11hip_rocprim3tagENS8_11use_defaultESE_EEEENSA_INSB_IlSD_SE_SE_EEEEZNS1_13binary_searchIS3_S5_NSA_INSB_IiSD_NS8_16tagged_referenceIiSD_EESE_EEEESG_SI_NS1_21upper_bound_search_opENS9_16wrapped_functionINS8_7greaterIiEEbEEEE10hipError_tPvRmT1_T2_T3_mmT4_T5_P12ihipStream_tbEUlRKiE_EEST_SX_SY_mSZ_S12_bEUlT_E_NS1_11comp_targetILNS1_3genE2ELNS1_11target_archE906ELNS1_3gpuE6ELNS1_3repE0EEENS1_30default_config_static_selectorELNS0_4arch9wavefront6targetE0EEEvSW_.num_agpr, 0
	.set _ZN7rocprim17ROCPRIM_400000_NS6detail17trampoline_kernelINS0_14default_configENS1_27upper_bound_config_selectorIilEEZNS1_14transform_implILb0ES3_S5_N6thrust23THRUST_200600_302600_NS6detail15normal_iteratorINS8_7pointerIiNS8_11hip_rocprim3tagENS8_11use_defaultESE_EEEENSA_INSB_IlSD_SE_SE_EEEEZNS1_13binary_searchIS3_S5_NSA_INSB_IiSD_NS8_16tagged_referenceIiSD_EESE_EEEESG_SI_NS1_21upper_bound_search_opENS9_16wrapped_functionINS8_7greaterIiEEbEEEE10hipError_tPvRmT1_T2_T3_mmT4_T5_P12ihipStream_tbEUlRKiE_EEST_SX_SY_mSZ_S12_bEUlT_E_NS1_11comp_targetILNS1_3genE2ELNS1_11target_archE906ELNS1_3gpuE6ELNS1_3repE0EEENS1_30default_config_static_selectorELNS0_4arch9wavefront6targetE0EEEvSW_.numbered_sgpr, 0
	.set _ZN7rocprim17ROCPRIM_400000_NS6detail17trampoline_kernelINS0_14default_configENS1_27upper_bound_config_selectorIilEEZNS1_14transform_implILb0ES3_S5_N6thrust23THRUST_200600_302600_NS6detail15normal_iteratorINS8_7pointerIiNS8_11hip_rocprim3tagENS8_11use_defaultESE_EEEENSA_INSB_IlSD_SE_SE_EEEEZNS1_13binary_searchIS3_S5_NSA_INSB_IiSD_NS8_16tagged_referenceIiSD_EESE_EEEESG_SI_NS1_21upper_bound_search_opENS9_16wrapped_functionINS8_7greaterIiEEbEEEE10hipError_tPvRmT1_T2_T3_mmT4_T5_P12ihipStream_tbEUlRKiE_EEST_SX_SY_mSZ_S12_bEUlT_E_NS1_11comp_targetILNS1_3genE2ELNS1_11target_archE906ELNS1_3gpuE6ELNS1_3repE0EEENS1_30default_config_static_selectorELNS0_4arch9wavefront6targetE0EEEvSW_.num_named_barrier, 0
	.set _ZN7rocprim17ROCPRIM_400000_NS6detail17trampoline_kernelINS0_14default_configENS1_27upper_bound_config_selectorIilEEZNS1_14transform_implILb0ES3_S5_N6thrust23THRUST_200600_302600_NS6detail15normal_iteratorINS8_7pointerIiNS8_11hip_rocprim3tagENS8_11use_defaultESE_EEEENSA_INSB_IlSD_SE_SE_EEEEZNS1_13binary_searchIS3_S5_NSA_INSB_IiSD_NS8_16tagged_referenceIiSD_EESE_EEEESG_SI_NS1_21upper_bound_search_opENS9_16wrapped_functionINS8_7greaterIiEEbEEEE10hipError_tPvRmT1_T2_T3_mmT4_T5_P12ihipStream_tbEUlRKiE_EEST_SX_SY_mSZ_S12_bEUlT_E_NS1_11comp_targetILNS1_3genE2ELNS1_11target_archE906ELNS1_3gpuE6ELNS1_3repE0EEENS1_30default_config_static_selectorELNS0_4arch9wavefront6targetE0EEEvSW_.private_seg_size, 0
	.set _ZN7rocprim17ROCPRIM_400000_NS6detail17trampoline_kernelINS0_14default_configENS1_27upper_bound_config_selectorIilEEZNS1_14transform_implILb0ES3_S5_N6thrust23THRUST_200600_302600_NS6detail15normal_iteratorINS8_7pointerIiNS8_11hip_rocprim3tagENS8_11use_defaultESE_EEEENSA_INSB_IlSD_SE_SE_EEEEZNS1_13binary_searchIS3_S5_NSA_INSB_IiSD_NS8_16tagged_referenceIiSD_EESE_EEEESG_SI_NS1_21upper_bound_search_opENS9_16wrapped_functionINS8_7greaterIiEEbEEEE10hipError_tPvRmT1_T2_T3_mmT4_T5_P12ihipStream_tbEUlRKiE_EEST_SX_SY_mSZ_S12_bEUlT_E_NS1_11comp_targetILNS1_3genE2ELNS1_11target_archE906ELNS1_3gpuE6ELNS1_3repE0EEENS1_30default_config_static_selectorELNS0_4arch9wavefront6targetE0EEEvSW_.uses_vcc, 0
	.set _ZN7rocprim17ROCPRIM_400000_NS6detail17trampoline_kernelINS0_14default_configENS1_27upper_bound_config_selectorIilEEZNS1_14transform_implILb0ES3_S5_N6thrust23THRUST_200600_302600_NS6detail15normal_iteratorINS8_7pointerIiNS8_11hip_rocprim3tagENS8_11use_defaultESE_EEEENSA_INSB_IlSD_SE_SE_EEEEZNS1_13binary_searchIS3_S5_NSA_INSB_IiSD_NS8_16tagged_referenceIiSD_EESE_EEEESG_SI_NS1_21upper_bound_search_opENS9_16wrapped_functionINS8_7greaterIiEEbEEEE10hipError_tPvRmT1_T2_T3_mmT4_T5_P12ihipStream_tbEUlRKiE_EEST_SX_SY_mSZ_S12_bEUlT_E_NS1_11comp_targetILNS1_3genE2ELNS1_11target_archE906ELNS1_3gpuE6ELNS1_3repE0EEENS1_30default_config_static_selectorELNS0_4arch9wavefront6targetE0EEEvSW_.uses_flat_scratch, 0
	.set _ZN7rocprim17ROCPRIM_400000_NS6detail17trampoline_kernelINS0_14default_configENS1_27upper_bound_config_selectorIilEEZNS1_14transform_implILb0ES3_S5_N6thrust23THRUST_200600_302600_NS6detail15normal_iteratorINS8_7pointerIiNS8_11hip_rocprim3tagENS8_11use_defaultESE_EEEENSA_INSB_IlSD_SE_SE_EEEEZNS1_13binary_searchIS3_S5_NSA_INSB_IiSD_NS8_16tagged_referenceIiSD_EESE_EEEESG_SI_NS1_21upper_bound_search_opENS9_16wrapped_functionINS8_7greaterIiEEbEEEE10hipError_tPvRmT1_T2_T3_mmT4_T5_P12ihipStream_tbEUlRKiE_EEST_SX_SY_mSZ_S12_bEUlT_E_NS1_11comp_targetILNS1_3genE2ELNS1_11target_archE906ELNS1_3gpuE6ELNS1_3repE0EEENS1_30default_config_static_selectorELNS0_4arch9wavefront6targetE0EEEvSW_.has_dyn_sized_stack, 0
	.set _ZN7rocprim17ROCPRIM_400000_NS6detail17trampoline_kernelINS0_14default_configENS1_27upper_bound_config_selectorIilEEZNS1_14transform_implILb0ES3_S5_N6thrust23THRUST_200600_302600_NS6detail15normal_iteratorINS8_7pointerIiNS8_11hip_rocprim3tagENS8_11use_defaultESE_EEEENSA_INSB_IlSD_SE_SE_EEEEZNS1_13binary_searchIS3_S5_NSA_INSB_IiSD_NS8_16tagged_referenceIiSD_EESE_EEEESG_SI_NS1_21upper_bound_search_opENS9_16wrapped_functionINS8_7greaterIiEEbEEEE10hipError_tPvRmT1_T2_T3_mmT4_T5_P12ihipStream_tbEUlRKiE_EEST_SX_SY_mSZ_S12_bEUlT_E_NS1_11comp_targetILNS1_3genE2ELNS1_11target_archE906ELNS1_3gpuE6ELNS1_3repE0EEENS1_30default_config_static_selectorELNS0_4arch9wavefront6targetE0EEEvSW_.has_recursion, 0
	.set _ZN7rocprim17ROCPRIM_400000_NS6detail17trampoline_kernelINS0_14default_configENS1_27upper_bound_config_selectorIilEEZNS1_14transform_implILb0ES3_S5_N6thrust23THRUST_200600_302600_NS6detail15normal_iteratorINS8_7pointerIiNS8_11hip_rocprim3tagENS8_11use_defaultESE_EEEENSA_INSB_IlSD_SE_SE_EEEEZNS1_13binary_searchIS3_S5_NSA_INSB_IiSD_NS8_16tagged_referenceIiSD_EESE_EEEESG_SI_NS1_21upper_bound_search_opENS9_16wrapped_functionINS8_7greaterIiEEbEEEE10hipError_tPvRmT1_T2_T3_mmT4_T5_P12ihipStream_tbEUlRKiE_EEST_SX_SY_mSZ_S12_bEUlT_E_NS1_11comp_targetILNS1_3genE2ELNS1_11target_archE906ELNS1_3gpuE6ELNS1_3repE0EEENS1_30default_config_static_selectorELNS0_4arch9wavefront6targetE0EEEvSW_.has_indirect_call, 0
	.section	.AMDGPU.csdata,"",@progbits
; Kernel info:
; codeLenInByte = 0
; TotalNumSgprs: 0
; NumVgprs: 0
; ScratchSize: 0
; MemoryBound: 0
; FloatMode: 240
; IeeeMode: 1
; LDSByteSize: 0 bytes/workgroup (compile time only)
; SGPRBlocks: 0
; VGPRBlocks: 0
; NumSGPRsForWavesPerEU: 1
; NumVGPRsForWavesPerEU: 1
; NamedBarCnt: 0
; Occupancy: 16
; WaveLimiterHint : 0
; COMPUTE_PGM_RSRC2:SCRATCH_EN: 0
; COMPUTE_PGM_RSRC2:USER_SGPR: 2
; COMPUTE_PGM_RSRC2:TRAP_HANDLER: 0
; COMPUTE_PGM_RSRC2:TGID_X_EN: 1
; COMPUTE_PGM_RSRC2:TGID_Y_EN: 0
; COMPUTE_PGM_RSRC2:TGID_Z_EN: 0
; COMPUTE_PGM_RSRC2:TIDIG_COMP_CNT: 0
	.section	.text._ZN7rocprim17ROCPRIM_400000_NS6detail17trampoline_kernelINS0_14default_configENS1_27upper_bound_config_selectorIilEEZNS1_14transform_implILb0ES3_S5_N6thrust23THRUST_200600_302600_NS6detail15normal_iteratorINS8_7pointerIiNS8_11hip_rocprim3tagENS8_11use_defaultESE_EEEENSA_INSB_IlSD_SE_SE_EEEEZNS1_13binary_searchIS3_S5_NSA_INSB_IiSD_NS8_16tagged_referenceIiSD_EESE_EEEESG_SI_NS1_21upper_bound_search_opENS9_16wrapped_functionINS8_7greaterIiEEbEEEE10hipError_tPvRmT1_T2_T3_mmT4_T5_P12ihipStream_tbEUlRKiE_EEST_SX_SY_mSZ_S12_bEUlT_E_NS1_11comp_targetILNS1_3genE10ELNS1_11target_archE1201ELNS1_3gpuE5ELNS1_3repE0EEENS1_30default_config_static_selectorELNS0_4arch9wavefront6targetE0EEEvSW_,"axG",@progbits,_ZN7rocprim17ROCPRIM_400000_NS6detail17trampoline_kernelINS0_14default_configENS1_27upper_bound_config_selectorIilEEZNS1_14transform_implILb0ES3_S5_N6thrust23THRUST_200600_302600_NS6detail15normal_iteratorINS8_7pointerIiNS8_11hip_rocprim3tagENS8_11use_defaultESE_EEEENSA_INSB_IlSD_SE_SE_EEEEZNS1_13binary_searchIS3_S5_NSA_INSB_IiSD_NS8_16tagged_referenceIiSD_EESE_EEEESG_SI_NS1_21upper_bound_search_opENS9_16wrapped_functionINS8_7greaterIiEEbEEEE10hipError_tPvRmT1_T2_T3_mmT4_T5_P12ihipStream_tbEUlRKiE_EEST_SX_SY_mSZ_S12_bEUlT_E_NS1_11comp_targetILNS1_3genE10ELNS1_11target_archE1201ELNS1_3gpuE5ELNS1_3repE0EEENS1_30default_config_static_selectorELNS0_4arch9wavefront6targetE0EEEvSW_,comdat
	.protected	_ZN7rocprim17ROCPRIM_400000_NS6detail17trampoline_kernelINS0_14default_configENS1_27upper_bound_config_selectorIilEEZNS1_14transform_implILb0ES3_S5_N6thrust23THRUST_200600_302600_NS6detail15normal_iteratorINS8_7pointerIiNS8_11hip_rocprim3tagENS8_11use_defaultESE_EEEENSA_INSB_IlSD_SE_SE_EEEEZNS1_13binary_searchIS3_S5_NSA_INSB_IiSD_NS8_16tagged_referenceIiSD_EESE_EEEESG_SI_NS1_21upper_bound_search_opENS9_16wrapped_functionINS8_7greaterIiEEbEEEE10hipError_tPvRmT1_T2_T3_mmT4_T5_P12ihipStream_tbEUlRKiE_EEST_SX_SY_mSZ_S12_bEUlT_E_NS1_11comp_targetILNS1_3genE10ELNS1_11target_archE1201ELNS1_3gpuE5ELNS1_3repE0EEENS1_30default_config_static_selectorELNS0_4arch9wavefront6targetE0EEEvSW_ ; -- Begin function _ZN7rocprim17ROCPRIM_400000_NS6detail17trampoline_kernelINS0_14default_configENS1_27upper_bound_config_selectorIilEEZNS1_14transform_implILb0ES3_S5_N6thrust23THRUST_200600_302600_NS6detail15normal_iteratorINS8_7pointerIiNS8_11hip_rocprim3tagENS8_11use_defaultESE_EEEENSA_INSB_IlSD_SE_SE_EEEEZNS1_13binary_searchIS3_S5_NSA_INSB_IiSD_NS8_16tagged_referenceIiSD_EESE_EEEESG_SI_NS1_21upper_bound_search_opENS9_16wrapped_functionINS8_7greaterIiEEbEEEE10hipError_tPvRmT1_T2_T3_mmT4_T5_P12ihipStream_tbEUlRKiE_EEST_SX_SY_mSZ_S12_bEUlT_E_NS1_11comp_targetILNS1_3genE10ELNS1_11target_archE1201ELNS1_3gpuE5ELNS1_3repE0EEENS1_30default_config_static_selectorELNS0_4arch9wavefront6targetE0EEEvSW_
	.globl	_ZN7rocprim17ROCPRIM_400000_NS6detail17trampoline_kernelINS0_14default_configENS1_27upper_bound_config_selectorIilEEZNS1_14transform_implILb0ES3_S5_N6thrust23THRUST_200600_302600_NS6detail15normal_iteratorINS8_7pointerIiNS8_11hip_rocprim3tagENS8_11use_defaultESE_EEEENSA_INSB_IlSD_SE_SE_EEEEZNS1_13binary_searchIS3_S5_NSA_INSB_IiSD_NS8_16tagged_referenceIiSD_EESE_EEEESG_SI_NS1_21upper_bound_search_opENS9_16wrapped_functionINS8_7greaterIiEEbEEEE10hipError_tPvRmT1_T2_T3_mmT4_T5_P12ihipStream_tbEUlRKiE_EEST_SX_SY_mSZ_S12_bEUlT_E_NS1_11comp_targetILNS1_3genE10ELNS1_11target_archE1201ELNS1_3gpuE5ELNS1_3repE0EEENS1_30default_config_static_selectorELNS0_4arch9wavefront6targetE0EEEvSW_
	.p2align	8
	.type	_ZN7rocprim17ROCPRIM_400000_NS6detail17trampoline_kernelINS0_14default_configENS1_27upper_bound_config_selectorIilEEZNS1_14transform_implILb0ES3_S5_N6thrust23THRUST_200600_302600_NS6detail15normal_iteratorINS8_7pointerIiNS8_11hip_rocprim3tagENS8_11use_defaultESE_EEEENSA_INSB_IlSD_SE_SE_EEEEZNS1_13binary_searchIS3_S5_NSA_INSB_IiSD_NS8_16tagged_referenceIiSD_EESE_EEEESG_SI_NS1_21upper_bound_search_opENS9_16wrapped_functionINS8_7greaterIiEEbEEEE10hipError_tPvRmT1_T2_T3_mmT4_T5_P12ihipStream_tbEUlRKiE_EEST_SX_SY_mSZ_S12_bEUlT_E_NS1_11comp_targetILNS1_3genE10ELNS1_11target_archE1201ELNS1_3gpuE5ELNS1_3repE0EEENS1_30default_config_static_selectorELNS0_4arch9wavefront6targetE0EEEvSW_,@function
_ZN7rocprim17ROCPRIM_400000_NS6detail17trampoline_kernelINS0_14default_configENS1_27upper_bound_config_selectorIilEEZNS1_14transform_implILb0ES3_S5_N6thrust23THRUST_200600_302600_NS6detail15normal_iteratorINS8_7pointerIiNS8_11hip_rocprim3tagENS8_11use_defaultESE_EEEENSA_INSB_IlSD_SE_SE_EEEEZNS1_13binary_searchIS3_S5_NSA_INSB_IiSD_NS8_16tagged_referenceIiSD_EESE_EEEESG_SI_NS1_21upper_bound_search_opENS9_16wrapped_functionINS8_7greaterIiEEbEEEE10hipError_tPvRmT1_T2_T3_mmT4_T5_P12ihipStream_tbEUlRKiE_EEST_SX_SY_mSZ_S12_bEUlT_E_NS1_11comp_targetILNS1_3genE10ELNS1_11target_archE1201ELNS1_3gpuE5ELNS1_3repE0EEENS1_30default_config_static_selectorELNS0_4arch9wavefront6targetE0EEEvSW_: ; @_ZN7rocprim17ROCPRIM_400000_NS6detail17trampoline_kernelINS0_14default_configENS1_27upper_bound_config_selectorIilEEZNS1_14transform_implILb0ES3_S5_N6thrust23THRUST_200600_302600_NS6detail15normal_iteratorINS8_7pointerIiNS8_11hip_rocprim3tagENS8_11use_defaultESE_EEEENSA_INSB_IlSD_SE_SE_EEEEZNS1_13binary_searchIS3_S5_NSA_INSB_IiSD_NS8_16tagged_referenceIiSD_EESE_EEEESG_SI_NS1_21upper_bound_search_opENS9_16wrapped_functionINS8_7greaterIiEEbEEEE10hipError_tPvRmT1_T2_T3_mmT4_T5_P12ihipStream_tbEUlRKiE_EEST_SX_SY_mSZ_S12_bEUlT_E_NS1_11comp_targetILNS1_3genE10ELNS1_11target_archE1201ELNS1_3gpuE5ELNS1_3repE0EEENS1_30default_config_static_selectorELNS0_4arch9wavefront6targetE0EEEvSW_
; %bb.0:
	.section	.rodata,"a",@progbits
	.p2align	6, 0x0
	.amdhsa_kernel _ZN7rocprim17ROCPRIM_400000_NS6detail17trampoline_kernelINS0_14default_configENS1_27upper_bound_config_selectorIilEEZNS1_14transform_implILb0ES3_S5_N6thrust23THRUST_200600_302600_NS6detail15normal_iteratorINS8_7pointerIiNS8_11hip_rocprim3tagENS8_11use_defaultESE_EEEENSA_INSB_IlSD_SE_SE_EEEEZNS1_13binary_searchIS3_S5_NSA_INSB_IiSD_NS8_16tagged_referenceIiSD_EESE_EEEESG_SI_NS1_21upper_bound_search_opENS9_16wrapped_functionINS8_7greaterIiEEbEEEE10hipError_tPvRmT1_T2_T3_mmT4_T5_P12ihipStream_tbEUlRKiE_EEST_SX_SY_mSZ_S12_bEUlT_E_NS1_11comp_targetILNS1_3genE10ELNS1_11target_archE1201ELNS1_3gpuE5ELNS1_3repE0EEENS1_30default_config_static_selectorELNS0_4arch9wavefront6targetE0EEEvSW_
		.amdhsa_group_segment_fixed_size 0
		.amdhsa_private_segment_fixed_size 0
		.amdhsa_kernarg_size 56
		.amdhsa_user_sgpr_count 2
		.amdhsa_user_sgpr_dispatch_ptr 0
		.amdhsa_user_sgpr_queue_ptr 0
		.amdhsa_user_sgpr_kernarg_segment_ptr 1
		.amdhsa_user_sgpr_dispatch_id 0
		.amdhsa_user_sgpr_kernarg_preload_length 0
		.amdhsa_user_sgpr_kernarg_preload_offset 0
		.amdhsa_user_sgpr_private_segment_size 0
		.amdhsa_wavefront_size32 1
		.amdhsa_uses_dynamic_stack 0
		.amdhsa_enable_private_segment 0
		.amdhsa_system_sgpr_workgroup_id_x 1
		.amdhsa_system_sgpr_workgroup_id_y 0
		.amdhsa_system_sgpr_workgroup_id_z 0
		.amdhsa_system_sgpr_workgroup_info 0
		.amdhsa_system_vgpr_workitem_id 0
		.amdhsa_next_free_vgpr 1
		.amdhsa_next_free_sgpr 1
		.amdhsa_named_barrier_count 0
		.amdhsa_reserve_vcc 0
		.amdhsa_float_round_mode_32 0
		.amdhsa_float_round_mode_16_64 0
		.amdhsa_float_denorm_mode_32 3
		.amdhsa_float_denorm_mode_16_64 3
		.amdhsa_fp16_overflow 0
		.amdhsa_memory_ordered 1
		.amdhsa_forward_progress 1
		.amdhsa_inst_pref_size 0
		.amdhsa_round_robin_scheduling 0
		.amdhsa_exception_fp_ieee_invalid_op 0
		.amdhsa_exception_fp_denorm_src 0
		.amdhsa_exception_fp_ieee_div_zero 0
		.amdhsa_exception_fp_ieee_overflow 0
		.amdhsa_exception_fp_ieee_underflow 0
		.amdhsa_exception_fp_ieee_inexact 0
		.amdhsa_exception_int_div_zero 0
	.end_amdhsa_kernel
	.section	.text._ZN7rocprim17ROCPRIM_400000_NS6detail17trampoline_kernelINS0_14default_configENS1_27upper_bound_config_selectorIilEEZNS1_14transform_implILb0ES3_S5_N6thrust23THRUST_200600_302600_NS6detail15normal_iteratorINS8_7pointerIiNS8_11hip_rocprim3tagENS8_11use_defaultESE_EEEENSA_INSB_IlSD_SE_SE_EEEEZNS1_13binary_searchIS3_S5_NSA_INSB_IiSD_NS8_16tagged_referenceIiSD_EESE_EEEESG_SI_NS1_21upper_bound_search_opENS9_16wrapped_functionINS8_7greaterIiEEbEEEE10hipError_tPvRmT1_T2_T3_mmT4_T5_P12ihipStream_tbEUlRKiE_EEST_SX_SY_mSZ_S12_bEUlT_E_NS1_11comp_targetILNS1_3genE10ELNS1_11target_archE1201ELNS1_3gpuE5ELNS1_3repE0EEENS1_30default_config_static_selectorELNS0_4arch9wavefront6targetE0EEEvSW_,"axG",@progbits,_ZN7rocprim17ROCPRIM_400000_NS6detail17trampoline_kernelINS0_14default_configENS1_27upper_bound_config_selectorIilEEZNS1_14transform_implILb0ES3_S5_N6thrust23THRUST_200600_302600_NS6detail15normal_iteratorINS8_7pointerIiNS8_11hip_rocprim3tagENS8_11use_defaultESE_EEEENSA_INSB_IlSD_SE_SE_EEEEZNS1_13binary_searchIS3_S5_NSA_INSB_IiSD_NS8_16tagged_referenceIiSD_EESE_EEEESG_SI_NS1_21upper_bound_search_opENS9_16wrapped_functionINS8_7greaterIiEEbEEEE10hipError_tPvRmT1_T2_T3_mmT4_T5_P12ihipStream_tbEUlRKiE_EEST_SX_SY_mSZ_S12_bEUlT_E_NS1_11comp_targetILNS1_3genE10ELNS1_11target_archE1201ELNS1_3gpuE5ELNS1_3repE0EEENS1_30default_config_static_selectorELNS0_4arch9wavefront6targetE0EEEvSW_,comdat
.Lfunc_end127:
	.size	_ZN7rocprim17ROCPRIM_400000_NS6detail17trampoline_kernelINS0_14default_configENS1_27upper_bound_config_selectorIilEEZNS1_14transform_implILb0ES3_S5_N6thrust23THRUST_200600_302600_NS6detail15normal_iteratorINS8_7pointerIiNS8_11hip_rocprim3tagENS8_11use_defaultESE_EEEENSA_INSB_IlSD_SE_SE_EEEEZNS1_13binary_searchIS3_S5_NSA_INSB_IiSD_NS8_16tagged_referenceIiSD_EESE_EEEESG_SI_NS1_21upper_bound_search_opENS9_16wrapped_functionINS8_7greaterIiEEbEEEE10hipError_tPvRmT1_T2_T3_mmT4_T5_P12ihipStream_tbEUlRKiE_EEST_SX_SY_mSZ_S12_bEUlT_E_NS1_11comp_targetILNS1_3genE10ELNS1_11target_archE1201ELNS1_3gpuE5ELNS1_3repE0EEENS1_30default_config_static_selectorELNS0_4arch9wavefront6targetE0EEEvSW_, .Lfunc_end127-_ZN7rocprim17ROCPRIM_400000_NS6detail17trampoline_kernelINS0_14default_configENS1_27upper_bound_config_selectorIilEEZNS1_14transform_implILb0ES3_S5_N6thrust23THRUST_200600_302600_NS6detail15normal_iteratorINS8_7pointerIiNS8_11hip_rocprim3tagENS8_11use_defaultESE_EEEENSA_INSB_IlSD_SE_SE_EEEEZNS1_13binary_searchIS3_S5_NSA_INSB_IiSD_NS8_16tagged_referenceIiSD_EESE_EEEESG_SI_NS1_21upper_bound_search_opENS9_16wrapped_functionINS8_7greaterIiEEbEEEE10hipError_tPvRmT1_T2_T3_mmT4_T5_P12ihipStream_tbEUlRKiE_EEST_SX_SY_mSZ_S12_bEUlT_E_NS1_11comp_targetILNS1_3genE10ELNS1_11target_archE1201ELNS1_3gpuE5ELNS1_3repE0EEENS1_30default_config_static_selectorELNS0_4arch9wavefront6targetE0EEEvSW_
                                        ; -- End function
	.set _ZN7rocprim17ROCPRIM_400000_NS6detail17trampoline_kernelINS0_14default_configENS1_27upper_bound_config_selectorIilEEZNS1_14transform_implILb0ES3_S5_N6thrust23THRUST_200600_302600_NS6detail15normal_iteratorINS8_7pointerIiNS8_11hip_rocprim3tagENS8_11use_defaultESE_EEEENSA_INSB_IlSD_SE_SE_EEEEZNS1_13binary_searchIS3_S5_NSA_INSB_IiSD_NS8_16tagged_referenceIiSD_EESE_EEEESG_SI_NS1_21upper_bound_search_opENS9_16wrapped_functionINS8_7greaterIiEEbEEEE10hipError_tPvRmT1_T2_T3_mmT4_T5_P12ihipStream_tbEUlRKiE_EEST_SX_SY_mSZ_S12_bEUlT_E_NS1_11comp_targetILNS1_3genE10ELNS1_11target_archE1201ELNS1_3gpuE5ELNS1_3repE0EEENS1_30default_config_static_selectorELNS0_4arch9wavefront6targetE0EEEvSW_.num_vgpr, 0
	.set _ZN7rocprim17ROCPRIM_400000_NS6detail17trampoline_kernelINS0_14default_configENS1_27upper_bound_config_selectorIilEEZNS1_14transform_implILb0ES3_S5_N6thrust23THRUST_200600_302600_NS6detail15normal_iteratorINS8_7pointerIiNS8_11hip_rocprim3tagENS8_11use_defaultESE_EEEENSA_INSB_IlSD_SE_SE_EEEEZNS1_13binary_searchIS3_S5_NSA_INSB_IiSD_NS8_16tagged_referenceIiSD_EESE_EEEESG_SI_NS1_21upper_bound_search_opENS9_16wrapped_functionINS8_7greaterIiEEbEEEE10hipError_tPvRmT1_T2_T3_mmT4_T5_P12ihipStream_tbEUlRKiE_EEST_SX_SY_mSZ_S12_bEUlT_E_NS1_11comp_targetILNS1_3genE10ELNS1_11target_archE1201ELNS1_3gpuE5ELNS1_3repE0EEENS1_30default_config_static_selectorELNS0_4arch9wavefront6targetE0EEEvSW_.num_agpr, 0
	.set _ZN7rocprim17ROCPRIM_400000_NS6detail17trampoline_kernelINS0_14default_configENS1_27upper_bound_config_selectorIilEEZNS1_14transform_implILb0ES3_S5_N6thrust23THRUST_200600_302600_NS6detail15normal_iteratorINS8_7pointerIiNS8_11hip_rocprim3tagENS8_11use_defaultESE_EEEENSA_INSB_IlSD_SE_SE_EEEEZNS1_13binary_searchIS3_S5_NSA_INSB_IiSD_NS8_16tagged_referenceIiSD_EESE_EEEESG_SI_NS1_21upper_bound_search_opENS9_16wrapped_functionINS8_7greaterIiEEbEEEE10hipError_tPvRmT1_T2_T3_mmT4_T5_P12ihipStream_tbEUlRKiE_EEST_SX_SY_mSZ_S12_bEUlT_E_NS1_11comp_targetILNS1_3genE10ELNS1_11target_archE1201ELNS1_3gpuE5ELNS1_3repE0EEENS1_30default_config_static_selectorELNS0_4arch9wavefront6targetE0EEEvSW_.numbered_sgpr, 0
	.set _ZN7rocprim17ROCPRIM_400000_NS6detail17trampoline_kernelINS0_14default_configENS1_27upper_bound_config_selectorIilEEZNS1_14transform_implILb0ES3_S5_N6thrust23THRUST_200600_302600_NS6detail15normal_iteratorINS8_7pointerIiNS8_11hip_rocprim3tagENS8_11use_defaultESE_EEEENSA_INSB_IlSD_SE_SE_EEEEZNS1_13binary_searchIS3_S5_NSA_INSB_IiSD_NS8_16tagged_referenceIiSD_EESE_EEEESG_SI_NS1_21upper_bound_search_opENS9_16wrapped_functionINS8_7greaterIiEEbEEEE10hipError_tPvRmT1_T2_T3_mmT4_T5_P12ihipStream_tbEUlRKiE_EEST_SX_SY_mSZ_S12_bEUlT_E_NS1_11comp_targetILNS1_3genE10ELNS1_11target_archE1201ELNS1_3gpuE5ELNS1_3repE0EEENS1_30default_config_static_selectorELNS0_4arch9wavefront6targetE0EEEvSW_.num_named_barrier, 0
	.set _ZN7rocprim17ROCPRIM_400000_NS6detail17trampoline_kernelINS0_14default_configENS1_27upper_bound_config_selectorIilEEZNS1_14transform_implILb0ES3_S5_N6thrust23THRUST_200600_302600_NS6detail15normal_iteratorINS8_7pointerIiNS8_11hip_rocprim3tagENS8_11use_defaultESE_EEEENSA_INSB_IlSD_SE_SE_EEEEZNS1_13binary_searchIS3_S5_NSA_INSB_IiSD_NS8_16tagged_referenceIiSD_EESE_EEEESG_SI_NS1_21upper_bound_search_opENS9_16wrapped_functionINS8_7greaterIiEEbEEEE10hipError_tPvRmT1_T2_T3_mmT4_T5_P12ihipStream_tbEUlRKiE_EEST_SX_SY_mSZ_S12_bEUlT_E_NS1_11comp_targetILNS1_3genE10ELNS1_11target_archE1201ELNS1_3gpuE5ELNS1_3repE0EEENS1_30default_config_static_selectorELNS0_4arch9wavefront6targetE0EEEvSW_.private_seg_size, 0
	.set _ZN7rocprim17ROCPRIM_400000_NS6detail17trampoline_kernelINS0_14default_configENS1_27upper_bound_config_selectorIilEEZNS1_14transform_implILb0ES3_S5_N6thrust23THRUST_200600_302600_NS6detail15normal_iteratorINS8_7pointerIiNS8_11hip_rocprim3tagENS8_11use_defaultESE_EEEENSA_INSB_IlSD_SE_SE_EEEEZNS1_13binary_searchIS3_S5_NSA_INSB_IiSD_NS8_16tagged_referenceIiSD_EESE_EEEESG_SI_NS1_21upper_bound_search_opENS9_16wrapped_functionINS8_7greaterIiEEbEEEE10hipError_tPvRmT1_T2_T3_mmT4_T5_P12ihipStream_tbEUlRKiE_EEST_SX_SY_mSZ_S12_bEUlT_E_NS1_11comp_targetILNS1_3genE10ELNS1_11target_archE1201ELNS1_3gpuE5ELNS1_3repE0EEENS1_30default_config_static_selectorELNS0_4arch9wavefront6targetE0EEEvSW_.uses_vcc, 0
	.set _ZN7rocprim17ROCPRIM_400000_NS6detail17trampoline_kernelINS0_14default_configENS1_27upper_bound_config_selectorIilEEZNS1_14transform_implILb0ES3_S5_N6thrust23THRUST_200600_302600_NS6detail15normal_iteratorINS8_7pointerIiNS8_11hip_rocprim3tagENS8_11use_defaultESE_EEEENSA_INSB_IlSD_SE_SE_EEEEZNS1_13binary_searchIS3_S5_NSA_INSB_IiSD_NS8_16tagged_referenceIiSD_EESE_EEEESG_SI_NS1_21upper_bound_search_opENS9_16wrapped_functionINS8_7greaterIiEEbEEEE10hipError_tPvRmT1_T2_T3_mmT4_T5_P12ihipStream_tbEUlRKiE_EEST_SX_SY_mSZ_S12_bEUlT_E_NS1_11comp_targetILNS1_3genE10ELNS1_11target_archE1201ELNS1_3gpuE5ELNS1_3repE0EEENS1_30default_config_static_selectorELNS0_4arch9wavefront6targetE0EEEvSW_.uses_flat_scratch, 0
	.set _ZN7rocprim17ROCPRIM_400000_NS6detail17trampoline_kernelINS0_14default_configENS1_27upper_bound_config_selectorIilEEZNS1_14transform_implILb0ES3_S5_N6thrust23THRUST_200600_302600_NS6detail15normal_iteratorINS8_7pointerIiNS8_11hip_rocprim3tagENS8_11use_defaultESE_EEEENSA_INSB_IlSD_SE_SE_EEEEZNS1_13binary_searchIS3_S5_NSA_INSB_IiSD_NS8_16tagged_referenceIiSD_EESE_EEEESG_SI_NS1_21upper_bound_search_opENS9_16wrapped_functionINS8_7greaterIiEEbEEEE10hipError_tPvRmT1_T2_T3_mmT4_T5_P12ihipStream_tbEUlRKiE_EEST_SX_SY_mSZ_S12_bEUlT_E_NS1_11comp_targetILNS1_3genE10ELNS1_11target_archE1201ELNS1_3gpuE5ELNS1_3repE0EEENS1_30default_config_static_selectorELNS0_4arch9wavefront6targetE0EEEvSW_.has_dyn_sized_stack, 0
	.set _ZN7rocprim17ROCPRIM_400000_NS6detail17trampoline_kernelINS0_14default_configENS1_27upper_bound_config_selectorIilEEZNS1_14transform_implILb0ES3_S5_N6thrust23THRUST_200600_302600_NS6detail15normal_iteratorINS8_7pointerIiNS8_11hip_rocprim3tagENS8_11use_defaultESE_EEEENSA_INSB_IlSD_SE_SE_EEEEZNS1_13binary_searchIS3_S5_NSA_INSB_IiSD_NS8_16tagged_referenceIiSD_EESE_EEEESG_SI_NS1_21upper_bound_search_opENS9_16wrapped_functionINS8_7greaterIiEEbEEEE10hipError_tPvRmT1_T2_T3_mmT4_T5_P12ihipStream_tbEUlRKiE_EEST_SX_SY_mSZ_S12_bEUlT_E_NS1_11comp_targetILNS1_3genE10ELNS1_11target_archE1201ELNS1_3gpuE5ELNS1_3repE0EEENS1_30default_config_static_selectorELNS0_4arch9wavefront6targetE0EEEvSW_.has_recursion, 0
	.set _ZN7rocprim17ROCPRIM_400000_NS6detail17trampoline_kernelINS0_14default_configENS1_27upper_bound_config_selectorIilEEZNS1_14transform_implILb0ES3_S5_N6thrust23THRUST_200600_302600_NS6detail15normal_iteratorINS8_7pointerIiNS8_11hip_rocprim3tagENS8_11use_defaultESE_EEEENSA_INSB_IlSD_SE_SE_EEEEZNS1_13binary_searchIS3_S5_NSA_INSB_IiSD_NS8_16tagged_referenceIiSD_EESE_EEEESG_SI_NS1_21upper_bound_search_opENS9_16wrapped_functionINS8_7greaterIiEEbEEEE10hipError_tPvRmT1_T2_T3_mmT4_T5_P12ihipStream_tbEUlRKiE_EEST_SX_SY_mSZ_S12_bEUlT_E_NS1_11comp_targetILNS1_3genE10ELNS1_11target_archE1201ELNS1_3gpuE5ELNS1_3repE0EEENS1_30default_config_static_selectorELNS0_4arch9wavefront6targetE0EEEvSW_.has_indirect_call, 0
	.section	.AMDGPU.csdata,"",@progbits
; Kernel info:
; codeLenInByte = 0
; TotalNumSgprs: 0
; NumVgprs: 0
; ScratchSize: 0
; MemoryBound: 0
; FloatMode: 240
; IeeeMode: 1
; LDSByteSize: 0 bytes/workgroup (compile time only)
; SGPRBlocks: 0
; VGPRBlocks: 0
; NumSGPRsForWavesPerEU: 1
; NumVGPRsForWavesPerEU: 1
; NamedBarCnt: 0
; Occupancy: 16
; WaveLimiterHint : 0
; COMPUTE_PGM_RSRC2:SCRATCH_EN: 0
; COMPUTE_PGM_RSRC2:USER_SGPR: 2
; COMPUTE_PGM_RSRC2:TRAP_HANDLER: 0
; COMPUTE_PGM_RSRC2:TGID_X_EN: 1
; COMPUTE_PGM_RSRC2:TGID_Y_EN: 0
; COMPUTE_PGM_RSRC2:TGID_Z_EN: 0
; COMPUTE_PGM_RSRC2:TIDIG_COMP_CNT: 0
	.section	.text._ZN7rocprim17ROCPRIM_400000_NS6detail17trampoline_kernelINS0_14default_configENS1_27upper_bound_config_selectorIilEEZNS1_14transform_implILb0ES3_S5_N6thrust23THRUST_200600_302600_NS6detail15normal_iteratorINS8_7pointerIiNS8_11hip_rocprim3tagENS8_11use_defaultESE_EEEENSA_INSB_IlSD_SE_SE_EEEEZNS1_13binary_searchIS3_S5_NSA_INSB_IiSD_NS8_16tagged_referenceIiSD_EESE_EEEESG_SI_NS1_21upper_bound_search_opENS9_16wrapped_functionINS8_7greaterIiEEbEEEE10hipError_tPvRmT1_T2_T3_mmT4_T5_P12ihipStream_tbEUlRKiE_EEST_SX_SY_mSZ_S12_bEUlT_E_NS1_11comp_targetILNS1_3genE10ELNS1_11target_archE1200ELNS1_3gpuE4ELNS1_3repE0EEENS1_30default_config_static_selectorELNS0_4arch9wavefront6targetE0EEEvSW_,"axG",@progbits,_ZN7rocprim17ROCPRIM_400000_NS6detail17trampoline_kernelINS0_14default_configENS1_27upper_bound_config_selectorIilEEZNS1_14transform_implILb0ES3_S5_N6thrust23THRUST_200600_302600_NS6detail15normal_iteratorINS8_7pointerIiNS8_11hip_rocprim3tagENS8_11use_defaultESE_EEEENSA_INSB_IlSD_SE_SE_EEEEZNS1_13binary_searchIS3_S5_NSA_INSB_IiSD_NS8_16tagged_referenceIiSD_EESE_EEEESG_SI_NS1_21upper_bound_search_opENS9_16wrapped_functionINS8_7greaterIiEEbEEEE10hipError_tPvRmT1_T2_T3_mmT4_T5_P12ihipStream_tbEUlRKiE_EEST_SX_SY_mSZ_S12_bEUlT_E_NS1_11comp_targetILNS1_3genE10ELNS1_11target_archE1200ELNS1_3gpuE4ELNS1_3repE0EEENS1_30default_config_static_selectorELNS0_4arch9wavefront6targetE0EEEvSW_,comdat
	.protected	_ZN7rocprim17ROCPRIM_400000_NS6detail17trampoline_kernelINS0_14default_configENS1_27upper_bound_config_selectorIilEEZNS1_14transform_implILb0ES3_S5_N6thrust23THRUST_200600_302600_NS6detail15normal_iteratorINS8_7pointerIiNS8_11hip_rocprim3tagENS8_11use_defaultESE_EEEENSA_INSB_IlSD_SE_SE_EEEEZNS1_13binary_searchIS3_S5_NSA_INSB_IiSD_NS8_16tagged_referenceIiSD_EESE_EEEESG_SI_NS1_21upper_bound_search_opENS9_16wrapped_functionINS8_7greaterIiEEbEEEE10hipError_tPvRmT1_T2_T3_mmT4_T5_P12ihipStream_tbEUlRKiE_EEST_SX_SY_mSZ_S12_bEUlT_E_NS1_11comp_targetILNS1_3genE10ELNS1_11target_archE1200ELNS1_3gpuE4ELNS1_3repE0EEENS1_30default_config_static_selectorELNS0_4arch9wavefront6targetE0EEEvSW_ ; -- Begin function _ZN7rocprim17ROCPRIM_400000_NS6detail17trampoline_kernelINS0_14default_configENS1_27upper_bound_config_selectorIilEEZNS1_14transform_implILb0ES3_S5_N6thrust23THRUST_200600_302600_NS6detail15normal_iteratorINS8_7pointerIiNS8_11hip_rocprim3tagENS8_11use_defaultESE_EEEENSA_INSB_IlSD_SE_SE_EEEEZNS1_13binary_searchIS3_S5_NSA_INSB_IiSD_NS8_16tagged_referenceIiSD_EESE_EEEESG_SI_NS1_21upper_bound_search_opENS9_16wrapped_functionINS8_7greaterIiEEbEEEE10hipError_tPvRmT1_T2_T3_mmT4_T5_P12ihipStream_tbEUlRKiE_EEST_SX_SY_mSZ_S12_bEUlT_E_NS1_11comp_targetILNS1_3genE10ELNS1_11target_archE1200ELNS1_3gpuE4ELNS1_3repE0EEENS1_30default_config_static_selectorELNS0_4arch9wavefront6targetE0EEEvSW_
	.globl	_ZN7rocprim17ROCPRIM_400000_NS6detail17trampoline_kernelINS0_14default_configENS1_27upper_bound_config_selectorIilEEZNS1_14transform_implILb0ES3_S5_N6thrust23THRUST_200600_302600_NS6detail15normal_iteratorINS8_7pointerIiNS8_11hip_rocprim3tagENS8_11use_defaultESE_EEEENSA_INSB_IlSD_SE_SE_EEEEZNS1_13binary_searchIS3_S5_NSA_INSB_IiSD_NS8_16tagged_referenceIiSD_EESE_EEEESG_SI_NS1_21upper_bound_search_opENS9_16wrapped_functionINS8_7greaterIiEEbEEEE10hipError_tPvRmT1_T2_T3_mmT4_T5_P12ihipStream_tbEUlRKiE_EEST_SX_SY_mSZ_S12_bEUlT_E_NS1_11comp_targetILNS1_3genE10ELNS1_11target_archE1200ELNS1_3gpuE4ELNS1_3repE0EEENS1_30default_config_static_selectorELNS0_4arch9wavefront6targetE0EEEvSW_
	.p2align	8
	.type	_ZN7rocprim17ROCPRIM_400000_NS6detail17trampoline_kernelINS0_14default_configENS1_27upper_bound_config_selectorIilEEZNS1_14transform_implILb0ES3_S5_N6thrust23THRUST_200600_302600_NS6detail15normal_iteratorINS8_7pointerIiNS8_11hip_rocprim3tagENS8_11use_defaultESE_EEEENSA_INSB_IlSD_SE_SE_EEEEZNS1_13binary_searchIS3_S5_NSA_INSB_IiSD_NS8_16tagged_referenceIiSD_EESE_EEEESG_SI_NS1_21upper_bound_search_opENS9_16wrapped_functionINS8_7greaterIiEEbEEEE10hipError_tPvRmT1_T2_T3_mmT4_T5_P12ihipStream_tbEUlRKiE_EEST_SX_SY_mSZ_S12_bEUlT_E_NS1_11comp_targetILNS1_3genE10ELNS1_11target_archE1200ELNS1_3gpuE4ELNS1_3repE0EEENS1_30default_config_static_selectorELNS0_4arch9wavefront6targetE0EEEvSW_,@function
_ZN7rocprim17ROCPRIM_400000_NS6detail17trampoline_kernelINS0_14default_configENS1_27upper_bound_config_selectorIilEEZNS1_14transform_implILb0ES3_S5_N6thrust23THRUST_200600_302600_NS6detail15normal_iteratorINS8_7pointerIiNS8_11hip_rocprim3tagENS8_11use_defaultESE_EEEENSA_INSB_IlSD_SE_SE_EEEEZNS1_13binary_searchIS3_S5_NSA_INSB_IiSD_NS8_16tagged_referenceIiSD_EESE_EEEESG_SI_NS1_21upper_bound_search_opENS9_16wrapped_functionINS8_7greaterIiEEbEEEE10hipError_tPvRmT1_T2_T3_mmT4_T5_P12ihipStream_tbEUlRKiE_EEST_SX_SY_mSZ_S12_bEUlT_E_NS1_11comp_targetILNS1_3genE10ELNS1_11target_archE1200ELNS1_3gpuE4ELNS1_3repE0EEENS1_30default_config_static_selectorELNS0_4arch9wavefront6targetE0EEEvSW_: ; @_ZN7rocprim17ROCPRIM_400000_NS6detail17trampoline_kernelINS0_14default_configENS1_27upper_bound_config_selectorIilEEZNS1_14transform_implILb0ES3_S5_N6thrust23THRUST_200600_302600_NS6detail15normal_iteratorINS8_7pointerIiNS8_11hip_rocprim3tagENS8_11use_defaultESE_EEEENSA_INSB_IlSD_SE_SE_EEEEZNS1_13binary_searchIS3_S5_NSA_INSB_IiSD_NS8_16tagged_referenceIiSD_EESE_EEEESG_SI_NS1_21upper_bound_search_opENS9_16wrapped_functionINS8_7greaterIiEEbEEEE10hipError_tPvRmT1_T2_T3_mmT4_T5_P12ihipStream_tbEUlRKiE_EEST_SX_SY_mSZ_S12_bEUlT_E_NS1_11comp_targetILNS1_3genE10ELNS1_11target_archE1200ELNS1_3gpuE4ELNS1_3repE0EEENS1_30default_config_static_selectorELNS0_4arch9wavefront6targetE0EEEvSW_
; %bb.0:
	.section	.rodata,"a",@progbits
	.p2align	6, 0x0
	.amdhsa_kernel _ZN7rocprim17ROCPRIM_400000_NS6detail17trampoline_kernelINS0_14default_configENS1_27upper_bound_config_selectorIilEEZNS1_14transform_implILb0ES3_S5_N6thrust23THRUST_200600_302600_NS6detail15normal_iteratorINS8_7pointerIiNS8_11hip_rocprim3tagENS8_11use_defaultESE_EEEENSA_INSB_IlSD_SE_SE_EEEEZNS1_13binary_searchIS3_S5_NSA_INSB_IiSD_NS8_16tagged_referenceIiSD_EESE_EEEESG_SI_NS1_21upper_bound_search_opENS9_16wrapped_functionINS8_7greaterIiEEbEEEE10hipError_tPvRmT1_T2_T3_mmT4_T5_P12ihipStream_tbEUlRKiE_EEST_SX_SY_mSZ_S12_bEUlT_E_NS1_11comp_targetILNS1_3genE10ELNS1_11target_archE1200ELNS1_3gpuE4ELNS1_3repE0EEENS1_30default_config_static_selectorELNS0_4arch9wavefront6targetE0EEEvSW_
		.amdhsa_group_segment_fixed_size 0
		.amdhsa_private_segment_fixed_size 0
		.amdhsa_kernarg_size 56
		.amdhsa_user_sgpr_count 2
		.amdhsa_user_sgpr_dispatch_ptr 0
		.amdhsa_user_sgpr_queue_ptr 0
		.amdhsa_user_sgpr_kernarg_segment_ptr 1
		.amdhsa_user_sgpr_dispatch_id 0
		.amdhsa_user_sgpr_kernarg_preload_length 0
		.amdhsa_user_sgpr_kernarg_preload_offset 0
		.amdhsa_user_sgpr_private_segment_size 0
		.amdhsa_wavefront_size32 1
		.amdhsa_uses_dynamic_stack 0
		.amdhsa_enable_private_segment 0
		.amdhsa_system_sgpr_workgroup_id_x 1
		.amdhsa_system_sgpr_workgroup_id_y 0
		.amdhsa_system_sgpr_workgroup_id_z 0
		.amdhsa_system_sgpr_workgroup_info 0
		.amdhsa_system_vgpr_workitem_id 0
		.amdhsa_next_free_vgpr 1
		.amdhsa_next_free_sgpr 1
		.amdhsa_named_barrier_count 0
		.amdhsa_reserve_vcc 0
		.amdhsa_float_round_mode_32 0
		.amdhsa_float_round_mode_16_64 0
		.amdhsa_float_denorm_mode_32 3
		.amdhsa_float_denorm_mode_16_64 3
		.amdhsa_fp16_overflow 0
		.amdhsa_memory_ordered 1
		.amdhsa_forward_progress 1
		.amdhsa_inst_pref_size 0
		.amdhsa_round_robin_scheduling 0
		.amdhsa_exception_fp_ieee_invalid_op 0
		.amdhsa_exception_fp_denorm_src 0
		.amdhsa_exception_fp_ieee_div_zero 0
		.amdhsa_exception_fp_ieee_overflow 0
		.amdhsa_exception_fp_ieee_underflow 0
		.amdhsa_exception_fp_ieee_inexact 0
		.amdhsa_exception_int_div_zero 0
	.end_amdhsa_kernel
	.section	.text._ZN7rocprim17ROCPRIM_400000_NS6detail17trampoline_kernelINS0_14default_configENS1_27upper_bound_config_selectorIilEEZNS1_14transform_implILb0ES3_S5_N6thrust23THRUST_200600_302600_NS6detail15normal_iteratorINS8_7pointerIiNS8_11hip_rocprim3tagENS8_11use_defaultESE_EEEENSA_INSB_IlSD_SE_SE_EEEEZNS1_13binary_searchIS3_S5_NSA_INSB_IiSD_NS8_16tagged_referenceIiSD_EESE_EEEESG_SI_NS1_21upper_bound_search_opENS9_16wrapped_functionINS8_7greaterIiEEbEEEE10hipError_tPvRmT1_T2_T3_mmT4_T5_P12ihipStream_tbEUlRKiE_EEST_SX_SY_mSZ_S12_bEUlT_E_NS1_11comp_targetILNS1_3genE10ELNS1_11target_archE1200ELNS1_3gpuE4ELNS1_3repE0EEENS1_30default_config_static_selectorELNS0_4arch9wavefront6targetE0EEEvSW_,"axG",@progbits,_ZN7rocprim17ROCPRIM_400000_NS6detail17trampoline_kernelINS0_14default_configENS1_27upper_bound_config_selectorIilEEZNS1_14transform_implILb0ES3_S5_N6thrust23THRUST_200600_302600_NS6detail15normal_iteratorINS8_7pointerIiNS8_11hip_rocprim3tagENS8_11use_defaultESE_EEEENSA_INSB_IlSD_SE_SE_EEEEZNS1_13binary_searchIS3_S5_NSA_INSB_IiSD_NS8_16tagged_referenceIiSD_EESE_EEEESG_SI_NS1_21upper_bound_search_opENS9_16wrapped_functionINS8_7greaterIiEEbEEEE10hipError_tPvRmT1_T2_T3_mmT4_T5_P12ihipStream_tbEUlRKiE_EEST_SX_SY_mSZ_S12_bEUlT_E_NS1_11comp_targetILNS1_3genE10ELNS1_11target_archE1200ELNS1_3gpuE4ELNS1_3repE0EEENS1_30default_config_static_selectorELNS0_4arch9wavefront6targetE0EEEvSW_,comdat
.Lfunc_end128:
	.size	_ZN7rocprim17ROCPRIM_400000_NS6detail17trampoline_kernelINS0_14default_configENS1_27upper_bound_config_selectorIilEEZNS1_14transform_implILb0ES3_S5_N6thrust23THRUST_200600_302600_NS6detail15normal_iteratorINS8_7pointerIiNS8_11hip_rocprim3tagENS8_11use_defaultESE_EEEENSA_INSB_IlSD_SE_SE_EEEEZNS1_13binary_searchIS3_S5_NSA_INSB_IiSD_NS8_16tagged_referenceIiSD_EESE_EEEESG_SI_NS1_21upper_bound_search_opENS9_16wrapped_functionINS8_7greaterIiEEbEEEE10hipError_tPvRmT1_T2_T3_mmT4_T5_P12ihipStream_tbEUlRKiE_EEST_SX_SY_mSZ_S12_bEUlT_E_NS1_11comp_targetILNS1_3genE10ELNS1_11target_archE1200ELNS1_3gpuE4ELNS1_3repE0EEENS1_30default_config_static_selectorELNS0_4arch9wavefront6targetE0EEEvSW_, .Lfunc_end128-_ZN7rocprim17ROCPRIM_400000_NS6detail17trampoline_kernelINS0_14default_configENS1_27upper_bound_config_selectorIilEEZNS1_14transform_implILb0ES3_S5_N6thrust23THRUST_200600_302600_NS6detail15normal_iteratorINS8_7pointerIiNS8_11hip_rocprim3tagENS8_11use_defaultESE_EEEENSA_INSB_IlSD_SE_SE_EEEEZNS1_13binary_searchIS3_S5_NSA_INSB_IiSD_NS8_16tagged_referenceIiSD_EESE_EEEESG_SI_NS1_21upper_bound_search_opENS9_16wrapped_functionINS8_7greaterIiEEbEEEE10hipError_tPvRmT1_T2_T3_mmT4_T5_P12ihipStream_tbEUlRKiE_EEST_SX_SY_mSZ_S12_bEUlT_E_NS1_11comp_targetILNS1_3genE10ELNS1_11target_archE1200ELNS1_3gpuE4ELNS1_3repE0EEENS1_30default_config_static_selectorELNS0_4arch9wavefront6targetE0EEEvSW_
                                        ; -- End function
	.set _ZN7rocprim17ROCPRIM_400000_NS6detail17trampoline_kernelINS0_14default_configENS1_27upper_bound_config_selectorIilEEZNS1_14transform_implILb0ES3_S5_N6thrust23THRUST_200600_302600_NS6detail15normal_iteratorINS8_7pointerIiNS8_11hip_rocprim3tagENS8_11use_defaultESE_EEEENSA_INSB_IlSD_SE_SE_EEEEZNS1_13binary_searchIS3_S5_NSA_INSB_IiSD_NS8_16tagged_referenceIiSD_EESE_EEEESG_SI_NS1_21upper_bound_search_opENS9_16wrapped_functionINS8_7greaterIiEEbEEEE10hipError_tPvRmT1_T2_T3_mmT4_T5_P12ihipStream_tbEUlRKiE_EEST_SX_SY_mSZ_S12_bEUlT_E_NS1_11comp_targetILNS1_3genE10ELNS1_11target_archE1200ELNS1_3gpuE4ELNS1_3repE0EEENS1_30default_config_static_selectorELNS0_4arch9wavefront6targetE0EEEvSW_.num_vgpr, 0
	.set _ZN7rocprim17ROCPRIM_400000_NS6detail17trampoline_kernelINS0_14default_configENS1_27upper_bound_config_selectorIilEEZNS1_14transform_implILb0ES3_S5_N6thrust23THRUST_200600_302600_NS6detail15normal_iteratorINS8_7pointerIiNS8_11hip_rocprim3tagENS8_11use_defaultESE_EEEENSA_INSB_IlSD_SE_SE_EEEEZNS1_13binary_searchIS3_S5_NSA_INSB_IiSD_NS8_16tagged_referenceIiSD_EESE_EEEESG_SI_NS1_21upper_bound_search_opENS9_16wrapped_functionINS8_7greaterIiEEbEEEE10hipError_tPvRmT1_T2_T3_mmT4_T5_P12ihipStream_tbEUlRKiE_EEST_SX_SY_mSZ_S12_bEUlT_E_NS1_11comp_targetILNS1_3genE10ELNS1_11target_archE1200ELNS1_3gpuE4ELNS1_3repE0EEENS1_30default_config_static_selectorELNS0_4arch9wavefront6targetE0EEEvSW_.num_agpr, 0
	.set _ZN7rocprim17ROCPRIM_400000_NS6detail17trampoline_kernelINS0_14default_configENS1_27upper_bound_config_selectorIilEEZNS1_14transform_implILb0ES3_S5_N6thrust23THRUST_200600_302600_NS6detail15normal_iteratorINS8_7pointerIiNS8_11hip_rocprim3tagENS8_11use_defaultESE_EEEENSA_INSB_IlSD_SE_SE_EEEEZNS1_13binary_searchIS3_S5_NSA_INSB_IiSD_NS8_16tagged_referenceIiSD_EESE_EEEESG_SI_NS1_21upper_bound_search_opENS9_16wrapped_functionINS8_7greaterIiEEbEEEE10hipError_tPvRmT1_T2_T3_mmT4_T5_P12ihipStream_tbEUlRKiE_EEST_SX_SY_mSZ_S12_bEUlT_E_NS1_11comp_targetILNS1_3genE10ELNS1_11target_archE1200ELNS1_3gpuE4ELNS1_3repE0EEENS1_30default_config_static_selectorELNS0_4arch9wavefront6targetE0EEEvSW_.numbered_sgpr, 0
	.set _ZN7rocprim17ROCPRIM_400000_NS6detail17trampoline_kernelINS0_14default_configENS1_27upper_bound_config_selectorIilEEZNS1_14transform_implILb0ES3_S5_N6thrust23THRUST_200600_302600_NS6detail15normal_iteratorINS8_7pointerIiNS8_11hip_rocprim3tagENS8_11use_defaultESE_EEEENSA_INSB_IlSD_SE_SE_EEEEZNS1_13binary_searchIS3_S5_NSA_INSB_IiSD_NS8_16tagged_referenceIiSD_EESE_EEEESG_SI_NS1_21upper_bound_search_opENS9_16wrapped_functionINS8_7greaterIiEEbEEEE10hipError_tPvRmT1_T2_T3_mmT4_T5_P12ihipStream_tbEUlRKiE_EEST_SX_SY_mSZ_S12_bEUlT_E_NS1_11comp_targetILNS1_3genE10ELNS1_11target_archE1200ELNS1_3gpuE4ELNS1_3repE0EEENS1_30default_config_static_selectorELNS0_4arch9wavefront6targetE0EEEvSW_.num_named_barrier, 0
	.set _ZN7rocprim17ROCPRIM_400000_NS6detail17trampoline_kernelINS0_14default_configENS1_27upper_bound_config_selectorIilEEZNS1_14transform_implILb0ES3_S5_N6thrust23THRUST_200600_302600_NS6detail15normal_iteratorINS8_7pointerIiNS8_11hip_rocprim3tagENS8_11use_defaultESE_EEEENSA_INSB_IlSD_SE_SE_EEEEZNS1_13binary_searchIS3_S5_NSA_INSB_IiSD_NS8_16tagged_referenceIiSD_EESE_EEEESG_SI_NS1_21upper_bound_search_opENS9_16wrapped_functionINS8_7greaterIiEEbEEEE10hipError_tPvRmT1_T2_T3_mmT4_T5_P12ihipStream_tbEUlRKiE_EEST_SX_SY_mSZ_S12_bEUlT_E_NS1_11comp_targetILNS1_3genE10ELNS1_11target_archE1200ELNS1_3gpuE4ELNS1_3repE0EEENS1_30default_config_static_selectorELNS0_4arch9wavefront6targetE0EEEvSW_.private_seg_size, 0
	.set _ZN7rocprim17ROCPRIM_400000_NS6detail17trampoline_kernelINS0_14default_configENS1_27upper_bound_config_selectorIilEEZNS1_14transform_implILb0ES3_S5_N6thrust23THRUST_200600_302600_NS6detail15normal_iteratorINS8_7pointerIiNS8_11hip_rocprim3tagENS8_11use_defaultESE_EEEENSA_INSB_IlSD_SE_SE_EEEEZNS1_13binary_searchIS3_S5_NSA_INSB_IiSD_NS8_16tagged_referenceIiSD_EESE_EEEESG_SI_NS1_21upper_bound_search_opENS9_16wrapped_functionINS8_7greaterIiEEbEEEE10hipError_tPvRmT1_T2_T3_mmT4_T5_P12ihipStream_tbEUlRKiE_EEST_SX_SY_mSZ_S12_bEUlT_E_NS1_11comp_targetILNS1_3genE10ELNS1_11target_archE1200ELNS1_3gpuE4ELNS1_3repE0EEENS1_30default_config_static_selectorELNS0_4arch9wavefront6targetE0EEEvSW_.uses_vcc, 0
	.set _ZN7rocprim17ROCPRIM_400000_NS6detail17trampoline_kernelINS0_14default_configENS1_27upper_bound_config_selectorIilEEZNS1_14transform_implILb0ES3_S5_N6thrust23THRUST_200600_302600_NS6detail15normal_iteratorINS8_7pointerIiNS8_11hip_rocprim3tagENS8_11use_defaultESE_EEEENSA_INSB_IlSD_SE_SE_EEEEZNS1_13binary_searchIS3_S5_NSA_INSB_IiSD_NS8_16tagged_referenceIiSD_EESE_EEEESG_SI_NS1_21upper_bound_search_opENS9_16wrapped_functionINS8_7greaterIiEEbEEEE10hipError_tPvRmT1_T2_T3_mmT4_T5_P12ihipStream_tbEUlRKiE_EEST_SX_SY_mSZ_S12_bEUlT_E_NS1_11comp_targetILNS1_3genE10ELNS1_11target_archE1200ELNS1_3gpuE4ELNS1_3repE0EEENS1_30default_config_static_selectorELNS0_4arch9wavefront6targetE0EEEvSW_.uses_flat_scratch, 0
	.set _ZN7rocprim17ROCPRIM_400000_NS6detail17trampoline_kernelINS0_14default_configENS1_27upper_bound_config_selectorIilEEZNS1_14transform_implILb0ES3_S5_N6thrust23THRUST_200600_302600_NS6detail15normal_iteratorINS8_7pointerIiNS8_11hip_rocprim3tagENS8_11use_defaultESE_EEEENSA_INSB_IlSD_SE_SE_EEEEZNS1_13binary_searchIS3_S5_NSA_INSB_IiSD_NS8_16tagged_referenceIiSD_EESE_EEEESG_SI_NS1_21upper_bound_search_opENS9_16wrapped_functionINS8_7greaterIiEEbEEEE10hipError_tPvRmT1_T2_T3_mmT4_T5_P12ihipStream_tbEUlRKiE_EEST_SX_SY_mSZ_S12_bEUlT_E_NS1_11comp_targetILNS1_3genE10ELNS1_11target_archE1200ELNS1_3gpuE4ELNS1_3repE0EEENS1_30default_config_static_selectorELNS0_4arch9wavefront6targetE0EEEvSW_.has_dyn_sized_stack, 0
	.set _ZN7rocprim17ROCPRIM_400000_NS6detail17trampoline_kernelINS0_14default_configENS1_27upper_bound_config_selectorIilEEZNS1_14transform_implILb0ES3_S5_N6thrust23THRUST_200600_302600_NS6detail15normal_iteratorINS8_7pointerIiNS8_11hip_rocprim3tagENS8_11use_defaultESE_EEEENSA_INSB_IlSD_SE_SE_EEEEZNS1_13binary_searchIS3_S5_NSA_INSB_IiSD_NS8_16tagged_referenceIiSD_EESE_EEEESG_SI_NS1_21upper_bound_search_opENS9_16wrapped_functionINS8_7greaterIiEEbEEEE10hipError_tPvRmT1_T2_T3_mmT4_T5_P12ihipStream_tbEUlRKiE_EEST_SX_SY_mSZ_S12_bEUlT_E_NS1_11comp_targetILNS1_3genE10ELNS1_11target_archE1200ELNS1_3gpuE4ELNS1_3repE0EEENS1_30default_config_static_selectorELNS0_4arch9wavefront6targetE0EEEvSW_.has_recursion, 0
	.set _ZN7rocprim17ROCPRIM_400000_NS6detail17trampoline_kernelINS0_14default_configENS1_27upper_bound_config_selectorIilEEZNS1_14transform_implILb0ES3_S5_N6thrust23THRUST_200600_302600_NS6detail15normal_iteratorINS8_7pointerIiNS8_11hip_rocprim3tagENS8_11use_defaultESE_EEEENSA_INSB_IlSD_SE_SE_EEEEZNS1_13binary_searchIS3_S5_NSA_INSB_IiSD_NS8_16tagged_referenceIiSD_EESE_EEEESG_SI_NS1_21upper_bound_search_opENS9_16wrapped_functionINS8_7greaterIiEEbEEEE10hipError_tPvRmT1_T2_T3_mmT4_T5_P12ihipStream_tbEUlRKiE_EEST_SX_SY_mSZ_S12_bEUlT_E_NS1_11comp_targetILNS1_3genE10ELNS1_11target_archE1200ELNS1_3gpuE4ELNS1_3repE0EEENS1_30default_config_static_selectorELNS0_4arch9wavefront6targetE0EEEvSW_.has_indirect_call, 0
	.section	.AMDGPU.csdata,"",@progbits
; Kernel info:
; codeLenInByte = 0
; TotalNumSgprs: 0
; NumVgprs: 0
; ScratchSize: 0
; MemoryBound: 0
; FloatMode: 240
; IeeeMode: 1
; LDSByteSize: 0 bytes/workgroup (compile time only)
; SGPRBlocks: 0
; VGPRBlocks: 0
; NumSGPRsForWavesPerEU: 1
; NumVGPRsForWavesPerEU: 1
; NamedBarCnt: 0
; Occupancy: 16
; WaveLimiterHint : 0
; COMPUTE_PGM_RSRC2:SCRATCH_EN: 0
; COMPUTE_PGM_RSRC2:USER_SGPR: 2
; COMPUTE_PGM_RSRC2:TRAP_HANDLER: 0
; COMPUTE_PGM_RSRC2:TGID_X_EN: 1
; COMPUTE_PGM_RSRC2:TGID_Y_EN: 0
; COMPUTE_PGM_RSRC2:TGID_Z_EN: 0
; COMPUTE_PGM_RSRC2:TIDIG_COMP_CNT: 0
	.section	.text._ZN7rocprim17ROCPRIM_400000_NS6detail17trampoline_kernelINS0_14default_configENS1_27upper_bound_config_selectorIilEEZNS1_14transform_implILb0ES3_S5_N6thrust23THRUST_200600_302600_NS6detail15normal_iteratorINS8_7pointerIiNS8_11hip_rocprim3tagENS8_11use_defaultESE_EEEENSA_INSB_IlSD_SE_SE_EEEEZNS1_13binary_searchIS3_S5_NSA_INSB_IiSD_NS8_16tagged_referenceIiSD_EESE_EEEESG_SI_NS1_21upper_bound_search_opENS9_16wrapped_functionINS8_7greaterIiEEbEEEE10hipError_tPvRmT1_T2_T3_mmT4_T5_P12ihipStream_tbEUlRKiE_EEST_SX_SY_mSZ_S12_bEUlT_E_NS1_11comp_targetILNS1_3genE9ELNS1_11target_archE1100ELNS1_3gpuE3ELNS1_3repE0EEENS1_30default_config_static_selectorELNS0_4arch9wavefront6targetE0EEEvSW_,"axG",@progbits,_ZN7rocprim17ROCPRIM_400000_NS6detail17trampoline_kernelINS0_14default_configENS1_27upper_bound_config_selectorIilEEZNS1_14transform_implILb0ES3_S5_N6thrust23THRUST_200600_302600_NS6detail15normal_iteratorINS8_7pointerIiNS8_11hip_rocprim3tagENS8_11use_defaultESE_EEEENSA_INSB_IlSD_SE_SE_EEEEZNS1_13binary_searchIS3_S5_NSA_INSB_IiSD_NS8_16tagged_referenceIiSD_EESE_EEEESG_SI_NS1_21upper_bound_search_opENS9_16wrapped_functionINS8_7greaterIiEEbEEEE10hipError_tPvRmT1_T2_T3_mmT4_T5_P12ihipStream_tbEUlRKiE_EEST_SX_SY_mSZ_S12_bEUlT_E_NS1_11comp_targetILNS1_3genE9ELNS1_11target_archE1100ELNS1_3gpuE3ELNS1_3repE0EEENS1_30default_config_static_selectorELNS0_4arch9wavefront6targetE0EEEvSW_,comdat
	.protected	_ZN7rocprim17ROCPRIM_400000_NS6detail17trampoline_kernelINS0_14default_configENS1_27upper_bound_config_selectorIilEEZNS1_14transform_implILb0ES3_S5_N6thrust23THRUST_200600_302600_NS6detail15normal_iteratorINS8_7pointerIiNS8_11hip_rocprim3tagENS8_11use_defaultESE_EEEENSA_INSB_IlSD_SE_SE_EEEEZNS1_13binary_searchIS3_S5_NSA_INSB_IiSD_NS8_16tagged_referenceIiSD_EESE_EEEESG_SI_NS1_21upper_bound_search_opENS9_16wrapped_functionINS8_7greaterIiEEbEEEE10hipError_tPvRmT1_T2_T3_mmT4_T5_P12ihipStream_tbEUlRKiE_EEST_SX_SY_mSZ_S12_bEUlT_E_NS1_11comp_targetILNS1_3genE9ELNS1_11target_archE1100ELNS1_3gpuE3ELNS1_3repE0EEENS1_30default_config_static_selectorELNS0_4arch9wavefront6targetE0EEEvSW_ ; -- Begin function _ZN7rocprim17ROCPRIM_400000_NS6detail17trampoline_kernelINS0_14default_configENS1_27upper_bound_config_selectorIilEEZNS1_14transform_implILb0ES3_S5_N6thrust23THRUST_200600_302600_NS6detail15normal_iteratorINS8_7pointerIiNS8_11hip_rocprim3tagENS8_11use_defaultESE_EEEENSA_INSB_IlSD_SE_SE_EEEEZNS1_13binary_searchIS3_S5_NSA_INSB_IiSD_NS8_16tagged_referenceIiSD_EESE_EEEESG_SI_NS1_21upper_bound_search_opENS9_16wrapped_functionINS8_7greaterIiEEbEEEE10hipError_tPvRmT1_T2_T3_mmT4_T5_P12ihipStream_tbEUlRKiE_EEST_SX_SY_mSZ_S12_bEUlT_E_NS1_11comp_targetILNS1_3genE9ELNS1_11target_archE1100ELNS1_3gpuE3ELNS1_3repE0EEENS1_30default_config_static_selectorELNS0_4arch9wavefront6targetE0EEEvSW_
	.globl	_ZN7rocprim17ROCPRIM_400000_NS6detail17trampoline_kernelINS0_14default_configENS1_27upper_bound_config_selectorIilEEZNS1_14transform_implILb0ES3_S5_N6thrust23THRUST_200600_302600_NS6detail15normal_iteratorINS8_7pointerIiNS8_11hip_rocprim3tagENS8_11use_defaultESE_EEEENSA_INSB_IlSD_SE_SE_EEEEZNS1_13binary_searchIS3_S5_NSA_INSB_IiSD_NS8_16tagged_referenceIiSD_EESE_EEEESG_SI_NS1_21upper_bound_search_opENS9_16wrapped_functionINS8_7greaterIiEEbEEEE10hipError_tPvRmT1_T2_T3_mmT4_T5_P12ihipStream_tbEUlRKiE_EEST_SX_SY_mSZ_S12_bEUlT_E_NS1_11comp_targetILNS1_3genE9ELNS1_11target_archE1100ELNS1_3gpuE3ELNS1_3repE0EEENS1_30default_config_static_selectorELNS0_4arch9wavefront6targetE0EEEvSW_
	.p2align	8
	.type	_ZN7rocprim17ROCPRIM_400000_NS6detail17trampoline_kernelINS0_14default_configENS1_27upper_bound_config_selectorIilEEZNS1_14transform_implILb0ES3_S5_N6thrust23THRUST_200600_302600_NS6detail15normal_iteratorINS8_7pointerIiNS8_11hip_rocprim3tagENS8_11use_defaultESE_EEEENSA_INSB_IlSD_SE_SE_EEEEZNS1_13binary_searchIS3_S5_NSA_INSB_IiSD_NS8_16tagged_referenceIiSD_EESE_EEEESG_SI_NS1_21upper_bound_search_opENS9_16wrapped_functionINS8_7greaterIiEEbEEEE10hipError_tPvRmT1_T2_T3_mmT4_T5_P12ihipStream_tbEUlRKiE_EEST_SX_SY_mSZ_S12_bEUlT_E_NS1_11comp_targetILNS1_3genE9ELNS1_11target_archE1100ELNS1_3gpuE3ELNS1_3repE0EEENS1_30default_config_static_selectorELNS0_4arch9wavefront6targetE0EEEvSW_,@function
_ZN7rocprim17ROCPRIM_400000_NS6detail17trampoline_kernelINS0_14default_configENS1_27upper_bound_config_selectorIilEEZNS1_14transform_implILb0ES3_S5_N6thrust23THRUST_200600_302600_NS6detail15normal_iteratorINS8_7pointerIiNS8_11hip_rocprim3tagENS8_11use_defaultESE_EEEENSA_INSB_IlSD_SE_SE_EEEEZNS1_13binary_searchIS3_S5_NSA_INSB_IiSD_NS8_16tagged_referenceIiSD_EESE_EEEESG_SI_NS1_21upper_bound_search_opENS9_16wrapped_functionINS8_7greaterIiEEbEEEE10hipError_tPvRmT1_T2_T3_mmT4_T5_P12ihipStream_tbEUlRKiE_EEST_SX_SY_mSZ_S12_bEUlT_E_NS1_11comp_targetILNS1_3genE9ELNS1_11target_archE1100ELNS1_3gpuE3ELNS1_3repE0EEENS1_30default_config_static_selectorELNS0_4arch9wavefront6targetE0EEEvSW_: ; @_ZN7rocprim17ROCPRIM_400000_NS6detail17trampoline_kernelINS0_14default_configENS1_27upper_bound_config_selectorIilEEZNS1_14transform_implILb0ES3_S5_N6thrust23THRUST_200600_302600_NS6detail15normal_iteratorINS8_7pointerIiNS8_11hip_rocprim3tagENS8_11use_defaultESE_EEEENSA_INSB_IlSD_SE_SE_EEEEZNS1_13binary_searchIS3_S5_NSA_INSB_IiSD_NS8_16tagged_referenceIiSD_EESE_EEEESG_SI_NS1_21upper_bound_search_opENS9_16wrapped_functionINS8_7greaterIiEEbEEEE10hipError_tPvRmT1_T2_T3_mmT4_T5_P12ihipStream_tbEUlRKiE_EEST_SX_SY_mSZ_S12_bEUlT_E_NS1_11comp_targetILNS1_3genE9ELNS1_11target_archE1100ELNS1_3gpuE3ELNS1_3repE0EEENS1_30default_config_static_selectorELNS0_4arch9wavefront6targetE0EEEvSW_
; %bb.0:
	.section	.rodata,"a",@progbits
	.p2align	6, 0x0
	.amdhsa_kernel _ZN7rocprim17ROCPRIM_400000_NS6detail17trampoline_kernelINS0_14default_configENS1_27upper_bound_config_selectorIilEEZNS1_14transform_implILb0ES3_S5_N6thrust23THRUST_200600_302600_NS6detail15normal_iteratorINS8_7pointerIiNS8_11hip_rocprim3tagENS8_11use_defaultESE_EEEENSA_INSB_IlSD_SE_SE_EEEEZNS1_13binary_searchIS3_S5_NSA_INSB_IiSD_NS8_16tagged_referenceIiSD_EESE_EEEESG_SI_NS1_21upper_bound_search_opENS9_16wrapped_functionINS8_7greaterIiEEbEEEE10hipError_tPvRmT1_T2_T3_mmT4_T5_P12ihipStream_tbEUlRKiE_EEST_SX_SY_mSZ_S12_bEUlT_E_NS1_11comp_targetILNS1_3genE9ELNS1_11target_archE1100ELNS1_3gpuE3ELNS1_3repE0EEENS1_30default_config_static_selectorELNS0_4arch9wavefront6targetE0EEEvSW_
		.amdhsa_group_segment_fixed_size 0
		.amdhsa_private_segment_fixed_size 0
		.amdhsa_kernarg_size 56
		.amdhsa_user_sgpr_count 2
		.amdhsa_user_sgpr_dispatch_ptr 0
		.amdhsa_user_sgpr_queue_ptr 0
		.amdhsa_user_sgpr_kernarg_segment_ptr 1
		.amdhsa_user_sgpr_dispatch_id 0
		.amdhsa_user_sgpr_kernarg_preload_length 0
		.amdhsa_user_sgpr_kernarg_preload_offset 0
		.amdhsa_user_sgpr_private_segment_size 0
		.amdhsa_wavefront_size32 1
		.amdhsa_uses_dynamic_stack 0
		.amdhsa_enable_private_segment 0
		.amdhsa_system_sgpr_workgroup_id_x 1
		.amdhsa_system_sgpr_workgroup_id_y 0
		.amdhsa_system_sgpr_workgroup_id_z 0
		.amdhsa_system_sgpr_workgroup_info 0
		.amdhsa_system_vgpr_workitem_id 0
		.amdhsa_next_free_vgpr 1
		.amdhsa_next_free_sgpr 1
		.amdhsa_named_barrier_count 0
		.amdhsa_reserve_vcc 0
		.amdhsa_float_round_mode_32 0
		.amdhsa_float_round_mode_16_64 0
		.amdhsa_float_denorm_mode_32 3
		.amdhsa_float_denorm_mode_16_64 3
		.amdhsa_fp16_overflow 0
		.amdhsa_memory_ordered 1
		.amdhsa_forward_progress 1
		.amdhsa_inst_pref_size 0
		.amdhsa_round_robin_scheduling 0
		.amdhsa_exception_fp_ieee_invalid_op 0
		.amdhsa_exception_fp_denorm_src 0
		.amdhsa_exception_fp_ieee_div_zero 0
		.amdhsa_exception_fp_ieee_overflow 0
		.amdhsa_exception_fp_ieee_underflow 0
		.amdhsa_exception_fp_ieee_inexact 0
		.amdhsa_exception_int_div_zero 0
	.end_amdhsa_kernel
	.section	.text._ZN7rocprim17ROCPRIM_400000_NS6detail17trampoline_kernelINS0_14default_configENS1_27upper_bound_config_selectorIilEEZNS1_14transform_implILb0ES3_S5_N6thrust23THRUST_200600_302600_NS6detail15normal_iteratorINS8_7pointerIiNS8_11hip_rocprim3tagENS8_11use_defaultESE_EEEENSA_INSB_IlSD_SE_SE_EEEEZNS1_13binary_searchIS3_S5_NSA_INSB_IiSD_NS8_16tagged_referenceIiSD_EESE_EEEESG_SI_NS1_21upper_bound_search_opENS9_16wrapped_functionINS8_7greaterIiEEbEEEE10hipError_tPvRmT1_T2_T3_mmT4_T5_P12ihipStream_tbEUlRKiE_EEST_SX_SY_mSZ_S12_bEUlT_E_NS1_11comp_targetILNS1_3genE9ELNS1_11target_archE1100ELNS1_3gpuE3ELNS1_3repE0EEENS1_30default_config_static_selectorELNS0_4arch9wavefront6targetE0EEEvSW_,"axG",@progbits,_ZN7rocprim17ROCPRIM_400000_NS6detail17trampoline_kernelINS0_14default_configENS1_27upper_bound_config_selectorIilEEZNS1_14transform_implILb0ES3_S5_N6thrust23THRUST_200600_302600_NS6detail15normal_iteratorINS8_7pointerIiNS8_11hip_rocprim3tagENS8_11use_defaultESE_EEEENSA_INSB_IlSD_SE_SE_EEEEZNS1_13binary_searchIS3_S5_NSA_INSB_IiSD_NS8_16tagged_referenceIiSD_EESE_EEEESG_SI_NS1_21upper_bound_search_opENS9_16wrapped_functionINS8_7greaterIiEEbEEEE10hipError_tPvRmT1_T2_T3_mmT4_T5_P12ihipStream_tbEUlRKiE_EEST_SX_SY_mSZ_S12_bEUlT_E_NS1_11comp_targetILNS1_3genE9ELNS1_11target_archE1100ELNS1_3gpuE3ELNS1_3repE0EEENS1_30default_config_static_selectorELNS0_4arch9wavefront6targetE0EEEvSW_,comdat
.Lfunc_end129:
	.size	_ZN7rocprim17ROCPRIM_400000_NS6detail17trampoline_kernelINS0_14default_configENS1_27upper_bound_config_selectorIilEEZNS1_14transform_implILb0ES3_S5_N6thrust23THRUST_200600_302600_NS6detail15normal_iteratorINS8_7pointerIiNS8_11hip_rocprim3tagENS8_11use_defaultESE_EEEENSA_INSB_IlSD_SE_SE_EEEEZNS1_13binary_searchIS3_S5_NSA_INSB_IiSD_NS8_16tagged_referenceIiSD_EESE_EEEESG_SI_NS1_21upper_bound_search_opENS9_16wrapped_functionINS8_7greaterIiEEbEEEE10hipError_tPvRmT1_T2_T3_mmT4_T5_P12ihipStream_tbEUlRKiE_EEST_SX_SY_mSZ_S12_bEUlT_E_NS1_11comp_targetILNS1_3genE9ELNS1_11target_archE1100ELNS1_3gpuE3ELNS1_3repE0EEENS1_30default_config_static_selectorELNS0_4arch9wavefront6targetE0EEEvSW_, .Lfunc_end129-_ZN7rocprim17ROCPRIM_400000_NS6detail17trampoline_kernelINS0_14default_configENS1_27upper_bound_config_selectorIilEEZNS1_14transform_implILb0ES3_S5_N6thrust23THRUST_200600_302600_NS6detail15normal_iteratorINS8_7pointerIiNS8_11hip_rocprim3tagENS8_11use_defaultESE_EEEENSA_INSB_IlSD_SE_SE_EEEEZNS1_13binary_searchIS3_S5_NSA_INSB_IiSD_NS8_16tagged_referenceIiSD_EESE_EEEESG_SI_NS1_21upper_bound_search_opENS9_16wrapped_functionINS8_7greaterIiEEbEEEE10hipError_tPvRmT1_T2_T3_mmT4_T5_P12ihipStream_tbEUlRKiE_EEST_SX_SY_mSZ_S12_bEUlT_E_NS1_11comp_targetILNS1_3genE9ELNS1_11target_archE1100ELNS1_3gpuE3ELNS1_3repE0EEENS1_30default_config_static_selectorELNS0_4arch9wavefront6targetE0EEEvSW_
                                        ; -- End function
	.set _ZN7rocprim17ROCPRIM_400000_NS6detail17trampoline_kernelINS0_14default_configENS1_27upper_bound_config_selectorIilEEZNS1_14transform_implILb0ES3_S5_N6thrust23THRUST_200600_302600_NS6detail15normal_iteratorINS8_7pointerIiNS8_11hip_rocprim3tagENS8_11use_defaultESE_EEEENSA_INSB_IlSD_SE_SE_EEEEZNS1_13binary_searchIS3_S5_NSA_INSB_IiSD_NS8_16tagged_referenceIiSD_EESE_EEEESG_SI_NS1_21upper_bound_search_opENS9_16wrapped_functionINS8_7greaterIiEEbEEEE10hipError_tPvRmT1_T2_T3_mmT4_T5_P12ihipStream_tbEUlRKiE_EEST_SX_SY_mSZ_S12_bEUlT_E_NS1_11comp_targetILNS1_3genE9ELNS1_11target_archE1100ELNS1_3gpuE3ELNS1_3repE0EEENS1_30default_config_static_selectorELNS0_4arch9wavefront6targetE0EEEvSW_.num_vgpr, 0
	.set _ZN7rocprim17ROCPRIM_400000_NS6detail17trampoline_kernelINS0_14default_configENS1_27upper_bound_config_selectorIilEEZNS1_14transform_implILb0ES3_S5_N6thrust23THRUST_200600_302600_NS6detail15normal_iteratorINS8_7pointerIiNS8_11hip_rocprim3tagENS8_11use_defaultESE_EEEENSA_INSB_IlSD_SE_SE_EEEEZNS1_13binary_searchIS3_S5_NSA_INSB_IiSD_NS8_16tagged_referenceIiSD_EESE_EEEESG_SI_NS1_21upper_bound_search_opENS9_16wrapped_functionINS8_7greaterIiEEbEEEE10hipError_tPvRmT1_T2_T3_mmT4_T5_P12ihipStream_tbEUlRKiE_EEST_SX_SY_mSZ_S12_bEUlT_E_NS1_11comp_targetILNS1_3genE9ELNS1_11target_archE1100ELNS1_3gpuE3ELNS1_3repE0EEENS1_30default_config_static_selectorELNS0_4arch9wavefront6targetE0EEEvSW_.num_agpr, 0
	.set _ZN7rocprim17ROCPRIM_400000_NS6detail17trampoline_kernelINS0_14default_configENS1_27upper_bound_config_selectorIilEEZNS1_14transform_implILb0ES3_S5_N6thrust23THRUST_200600_302600_NS6detail15normal_iteratorINS8_7pointerIiNS8_11hip_rocprim3tagENS8_11use_defaultESE_EEEENSA_INSB_IlSD_SE_SE_EEEEZNS1_13binary_searchIS3_S5_NSA_INSB_IiSD_NS8_16tagged_referenceIiSD_EESE_EEEESG_SI_NS1_21upper_bound_search_opENS9_16wrapped_functionINS8_7greaterIiEEbEEEE10hipError_tPvRmT1_T2_T3_mmT4_T5_P12ihipStream_tbEUlRKiE_EEST_SX_SY_mSZ_S12_bEUlT_E_NS1_11comp_targetILNS1_3genE9ELNS1_11target_archE1100ELNS1_3gpuE3ELNS1_3repE0EEENS1_30default_config_static_selectorELNS0_4arch9wavefront6targetE0EEEvSW_.numbered_sgpr, 0
	.set _ZN7rocprim17ROCPRIM_400000_NS6detail17trampoline_kernelINS0_14default_configENS1_27upper_bound_config_selectorIilEEZNS1_14transform_implILb0ES3_S5_N6thrust23THRUST_200600_302600_NS6detail15normal_iteratorINS8_7pointerIiNS8_11hip_rocprim3tagENS8_11use_defaultESE_EEEENSA_INSB_IlSD_SE_SE_EEEEZNS1_13binary_searchIS3_S5_NSA_INSB_IiSD_NS8_16tagged_referenceIiSD_EESE_EEEESG_SI_NS1_21upper_bound_search_opENS9_16wrapped_functionINS8_7greaterIiEEbEEEE10hipError_tPvRmT1_T2_T3_mmT4_T5_P12ihipStream_tbEUlRKiE_EEST_SX_SY_mSZ_S12_bEUlT_E_NS1_11comp_targetILNS1_3genE9ELNS1_11target_archE1100ELNS1_3gpuE3ELNS1_3repE0EEENS1_30default_config_static_selectorELNS0_4arch9wavefront6targetE0EEEvSW_.num_named_barrier, 0
	.set _ZN7rocprim17ROCPRIM_400000_NS6detail17trampoline_kernelINS0_14default_configENS1_27upper_bound_config_selectorIilEEZNS1_14transform_implILb0ES3_S5_N6thrust23THRUST_200600_302600_NS6detail15normal_iteratorINS8_7pointerIiNS8_11hip_rocprim3tagENS8_11use_defaultESE_EEEENSA_INSB_IlSD_SE_SE_EEEEZNS1_13binary_searchIS3_S5_NSA_INSB_IiSD_NS8_16tagged_referenceIiSD_EESE_EEEESG_SI_NS1_21upper_bound_search_opENS9_16wrapped_functionINS8_7greaterIiEEbEEEE10hipError_tPvRmT1_T2_T3_mmT4_T5_P12ihipStream_tbEUlRKiE_EEST_SX_SY_mSZ_S12_bEUlT_E_NS1_11comp_targetILNS1_3genE9ELNS1_11target_archE1100ELNS1_3gpuE3ELNS1_3repE0EEENS1_30default_config_static_selectorELNS0_4arch9wavefront6targetE0EEEvSW_.private_seg_size, 0
	.set _ZN7rocprim17ROCPRIM_400000_NS6detail17trampoline_kernelINS0_14default_configENS1_27upper_bound_config_selectorIilEEZNS1_14transform_implILb0ES3_S5_N6thrust23THRUST_200600_302600_NS6detail15normal_iteratorINS8_7pointerIiNS8_11hip_rocprim3tagENS8_11use_defaultESE_EEEENSA_INSB_IlSD_SE_SE_EEEEZNS1_13binary_searchIS3_S5_NSA_INSB_IiSD_NS8_16tagged_referenceIiSD_EESE_EEEESG_SI_NS1_21upper_bound_search_opENS9_16wrapped_functionINS8_7greaterIiEEbEEEE10hipError_tPvRmT1_T2_T3_mmT4_T5_P12ihipStream_tbEUlRKiE_EEST_SX_SY_mSZ_S12_bEUlT_E_NS1_11comp_targetILNS1_3genE9ELNS1_11target_archE1100ELNS1_3gpuE3ELNS1_3repE0EEENS1_30default_config_static_selectorELNS0_4arch9wavefront6targetE0EEEvSW_.uses_vcc, 0
	.set _ZN7rocprim17ROCPRIM_400000_NS6detail17trampoline_kernelINS0_14default_configENS1_27upper_bound_config_selectorIilEEZNS1_14transform_implILb0ES3_S5_N6thrust23THRUST_200600_302600_NS6detail15normal_iteratorINS8_7pointerIiNS8_11hip_rocprim3tagENS8_11use_defaultESE_EEEENSA_INSB_IlSD_SE_SE_EEEEZNS1_13binary_searchIS3_S5_NSA_INSB_IiSD_NS8_16tagged_referenceIiSD_EESE_EEEESG_SI_NS1_21upper_bound_search_opENS9_16wrapped_functionINS8_7greaterIiEEbEEEE10hipError_tPvRmT1_T2_T3_mmT4_T5_P12ihipStream_tbEUlRKiE_EEST_SX_SY_mSZ_S12_bEUlT_E_NS1_11comp_targetILNS1_3genE9ELNS1_11target_archE1100ELNS1_3gpuE3ELNS1_3repE0EEENS1_30default_config_static_selectorELNS0_4arch9wavefront6targetE0EEEvSW_.uses_flat_scratch, 0
	.set _ZN7rocprim17ROCPRIM_400000_NS6detail17trampoline_kernelINS0_14default_configENS1_27upper_bound_config_selectorIilEEZNS1_14transform_implILb0ES3_S5_N6thrust23THRUST_200600_302600_NS6detail15normal_iteratorINS8_7pointerIiNS8_11hip_rocprim3tagENS8_11use_defaultESE_EEEENSA_INSB_IlSD_SE_SE_EEEEZNS1_13binary_searchIS3_S5_NSA_INSB_IiSD_NS8_16tagged_referenceIiSD_EESE_EEEESG_SI_NS1_21upper_bound_search_opENS9_16wrapped_functionINS8_7greaterIiEEbEEEE10hipError_tPvRmT1_T2_T3_mmT4_T5_P12ihipStream_tbEUlRKiE_EEST_SX_SY_mSZ_S12_bEUlT_E_NS1_11comp_targetILNS1_3genE9ELNS1_11target_archE1100ELNS1_3gpuE3ELNS1_3repE0EEENS1_30default_config_static_selectorELNS0_4arch9wavefront6targetE0EEEvSW_.has_dyn_sized_stack, 0
	.set _ZN7rocprim17ROCPRIM_400000_NS6detail17trampoline_kernelINS0_14default_configENS1_27upper_bound_config_selectorIilEEZNS1_14transform_implILb0ES3_S5_N6thrust23THRUST_200600_302600_NS6detail15normal_iteratorINS8_7pointerIiNS8_11hip_rocprim3tagENS8_11use_defaultESE_EEEENSA_INSB_IlSD_SE_SE_EEEEZNS1_13binary_searchIS3_S5_NSA_INSB_IiSD_NS8_16tagged_referenceIiSD_EESE_EEEESG_SI_NS1_21upper_bound_search_opENS9_16wrapped_functionINS8_7greaterIiEEbEEEE10hipError_tPvRmT1_T2_T3_mmT4_T5_P12ihipStream_tbEUlRKiE_EEST_SX_SY_mSZ_S12_bEUlT_E_NS1_11comp_targetILNS1_3genE9ELNS1_11target_archE1100ELNS1_3gpuE3ELNS1_3repE0EEENS1_30default_config_static_selectorELNS0_4arch9wavefront6targetE0EEEvSW_.has_recursion, 0
	.set _ZN7rocprim17ROCPRIM_400000_NS6detail17trampoline_kernelINS0_14default_configENS1_27upper_bound_config_selectorIilEEZNS1_14transform_implILb0ES3_S5_N6thrust23THRUST_200600_302600_NS6detail15normal_iteratorINS8_7pointerIiNS8_11hip_rocprim3tagENS8_11use_defaultESE_EEEENSA_INSB_IlSD_SE_SE_EEEEZNS1_13binary_searchIS3_S5_NSA_INSB_IiSD_NS8_16tagged_referenceIiSD_EESE_EEEESG_SI_NS1_21upper_bound_search_opENS9_16wrapped_functionINS8_7greaterIiEEbEEEE10hipError_tPvRmT1_T2_T3_mmT4_T5_P12ihipStream_tbEUlRKiE_EEST_SX_SY_mSZ_S12_bEUlT_E_NS1_11comp_targetILNS1_3genE9ELNS1_11target_archE1100ELNS1_3gpuE3ELNS1_3repE0EEENS1_30default_config_static_selectorELNS0_4arch9wavefront6targetE0EEEvSW_.has_indirect_call, 0
	.section	.AMDGPU.csdata,"",@progbits
; Kernel info:
; codeLenInByte = 0
; TotalNumSgprs: 0
; NumVgprs: 0
; ScratchSize: 0
; MemoryBound: 0
; FloatMode: 240
; IeeeMode: 1
; LDSByteSize: 0 bytes/workgroup (compile time only)
; SGPRBlocks: 0
; VGPRBlocks: 0
; NumSGPRsForWavesPerEU: 1
; NumVGPRsForWavesPerEU: 1
; NamedBarCnt: 0
; Occupancy: 16
; WaveLimiterHint : 0
; COMPUTE_PGM_RSRC2:SCRATCH_EN: 0
; COMPUTE_PGM_RSRC2:USER_SGPR: 2
; COMPUTE_PGM_RSRC2:TRAP_HANDLER: 0
; COMPUTE_PGM_RSRC2:TGID_X_EN: 1
; COMPUTE_PGM_RSRC2:TGID_Y_EN: 0
; COMPUTE_PGM_RSRC2:TGID_Z_EN: 0
; COMPUTE_PGM_RSRC2:TIDIG_COMP_CNT: 0
	.section	.text._ZN7rocprim17ROCPRIM_400000_NS6detail17trampoline_kernelINS0_14default_configENS1_27upper_bound_config_selectorIilEEZNS1_14transform_implILb0ES3_S5_N6thrust23THRUST_200600_302600_NS6detail15normal_iteratorINS8_7pointerIiNS8_11hip_rocprim3tagENS8_11use_defaultESE_EEEENSA_INSB_IlSD_SE_SE_EEEEZNS1_13binary_searchIS3_S5_NSA_INSB_IiSD_NS8_16tagged_referenceIiSD_EESE_EEEESG_SI_NS1_21upper_bound_search_opENS9_16wrapped_functionINS8_7greaterIiEEbEEEE10hipError_tPvRmT1_T2_T3_mmT4_T5_P12ihipStream_tbEUlRKiE_EEST_SX_SY_mSZ_S12_bEUlT_E_NS1_11comp_targetILNS1_3genE8ELNS1_11target_archE1030ELNS1_3gpuE2ELNS1_3repE0EEENS1_30default_config_static_selectorELNS0_4arch9wavefront6targetE0EEEvSW_,"axG",@progbits,_ZN7rocprim17ROCPRIM_400000_NS6detail17trampoline_kernelINS0_14default_configENS1_27upper_bound_config_selectorIilEEZNS1_14transform_implILb0ES3_S5_N6thrust23THRUST_200600_302600_NS6detail15normal_iteratorINS8_7pointerIiNS8_11hip_rocprim3tagENS8_11use_defaultESE_EEEENSA_INSB_IlSD_SE_SE_EEEEZNS1_13binary_searchIS3_S5_NSA_INSB_IiSD_NS8_16tagged_referenceIiSD_EESE_EEEESG_SI_NS1_21upper_bound_search_opENS9_16wrapped_functionINS8_7greaterIiEEbEEEE10hipError_tPvRmT1_T2_T3_mmT4_T5_P12ihipStream_tbEUlRKiE_EEST_SX_SY_mSZ_S12_bEUlT_E_NS1_11comp_targetILNS1_3genE8ELNS1_11target_archE1030ELNS1_3gpuE2ELNS1_3repE0EEENS1_30default_config_static_selectorELNS0_4arch9wavefront6targetE0EEEvSW_,comdat
	.protected	_ZN7rocprim17ROCPRIM_400000_NS6detail17trampoline_kernelINS0_14default_configENS1_27upper_bound_config_selectorIilEEZNS1_14transform_implILb0ES3_S5_N6thrust23THRUST_200600_302600_NS6detail15normal_iteratorINS8_7pointerIiNS8_11hip_rocprim3tagENS8_11use_defaultESE_EEEENSA_INSB_IlSD_SE_SE_EEEEZNS1_13binary_searchIS3_S5_NSA_INSB_IiSD_NS8_16tagged_referenceIiSD_EESE_EEEESG_SI_NS1_21upper_bound_search_opENS9_16wrapped_functionINS8_7greaterIiEEbEEEE10hipError_tPvRmT1_T2_T3_mmT4_T5_P12ihipStream_tbEUlRKiE_EEST_SX_SY_mSZ_S12_bEUlT_E_NS1_11comp_targetILNS1_3genE8ELNS1_11target_archE1030ELNS1_3gpuE2ELNS1_3repE0EEENS1_30default_config_static_selectorELNS0_4arch9wavefront6targetE0EEEvSW_ ; -- Begin function _ZN7rocprim17ROCPRIM_400000_NS6detail17trampoline_kernelINS0_14default_configENS1_27upper_bound_config_selectorIilEEZNS1_14transform_implILb0ES3_S5_N6thrust23THRUST_200600_302600_NS6detail15normal_iteratorINS8_7pointerIiNS8_11hip_rocprim3tagENS8_11use_defaultESE_EEEENSA_INSB_IlSD_SE_SE_EEEEZNS1_13binary_searchIS3_S5_NSA_INSB_IiSD_NS8_16tagged_referenceIiSD_EESE_EEEESG_SI_NS1_21upper_bound_search_opENS9_16wrapped_functionINS8_7greaterIiEEbEEEE10hipError_tPvRmT1_T2_T3_mmT4_T5_P12ihipStream_tbEUlRKiE_EEST_SX_SY_mSZ_S12_bEUlT_E_NS1_11comp_targetILNS1_3genE8ELNS1_11target_archE1030ELNS1_3gpuE2ELNS1_3repE0EEENS1_30default_config_static_selectorELNS0_4arch9wavefront6targetE0EEEvSW_
	.globl	_ZN7rocprim17ROCPRIM_400000_NS6detail17trampoline_kernelINS0_14default_configENS1_27upper_bound_config_selectorIilEEZNS1_14transform_implILb0ES3_S5_N6thrust23THRUST_200600_302600_NS6detail15normal_iteratorINS8_7pointerIiNS8_11hip_rocprim3tagENS8_11use_defaultESE_EEEENSA_INSB_IlSD_SE_SE_EEEEZNS1_13binary_searchIS3_S5_NSA_INSB_IiSD_NS8_16tagged_referenceIiSD_EESE_EEEESG_SI_NS1_21upper_bound_search_opENS9_16wrapped_functionINS8_7greaterIiEEbEEEE10hipError_tPvRmT1_T2_T3_mmT4_T5_P12ihipStream_tbEUlRKiE_EEST_SX_SY_mSZ_S12_bEUlT_E_NS1_11comp_targetILNS1_3genE8ELNS1_11target_archE1030ELNS1_3gpuE2ELNS1_3repE0EEENS1_30default_config_static_selectorELNS0_4arch9wavefront6targetE0EEEvSW_
	.p2align	8
	.type	_ZN7rocprim17ROCPRIM_400000_NS6detail17trampoline_kernelINS0_14default_configENS1_27upper_bound_config_selectorIilEEZNS1_14transform_implILb0ES3_S5_N6thrust23THRUST_200600_302600_NS6detail15normal_iteratorINS8_7pointerIiNS8_11hip_rocprim3tagENS8_11use_defaultESE_EEEENSA_INSB_IlSD_SE_SE_EEEEZNS1_13binary_searchIS3_S5_NSA_INSB_IiSD_NS8_16tagged_referenceIiSD_EESE_EEEESG_SI_NS1_21upper_bound_search_opENS9_16wrapped_functionINS8_7greaterIiEEbEEEE10hipError_tPvRmT1_T2_T3_mmT4_T5_P12ihipStream_tbEUlRKiE_EEST_SX_SY_mSZ_S12_bEUlT_E_NS1_11comp_targetILNS1_3genE8ELNS1_11target_archE1030ELNS1_3gpuE2ELNS1_3repE0EEENS1_30default_config_static_selectorELNS0_4arch9wavefront6targetE0EEEvSW_,@function
_ZN7rocprim17ROCPRIM_400000_NS6detail17trampoline_kernelINS0_14default_configENS1_27upper_bound_config_selectorIilEEZNS1_14transform_implILb0ES3_S5_N6thrust23THRUST_200600_302600_NS6detail15normal_iteratorINS8_7pointerIiNS8_11hip_rocprim3tagENS8_11use_defaultESE_EEEENSA_INSB_IlSD_SE_SE_EEEEZNS1_13binary_searchIS3_S5_NSA_INSB_IiSD_NS8_16tagged_referenceIiSD_EESE_EEEESG_SI_NS1_21upper_bound_search_opENS9_16wrapped_functionINS8_7greaterIiEEbEEEE10hipError_tPvRmT1_T2_T3_mmT4_T5_P12ihipStream_tbEUlRKiE_EEST_SX_SY_mSZ_S12_bEUlT_E_NS1_11comp_targetILNS1_3genE8ELNS1_11target_archE1030ELNS1_3gpuE2ELNS1_3repE0EEENS1_30default_config_static_selectorELNS0_4arch9wavefront6targetE0EEEvSW_: ; @_ZN7rocprim17ROCPRIM_400000_NS6detail17trampoline_kernelINS0_14default_configENS1_27upper_bound_config_selectorIilEEZNS1_14transform_implILb0ES3_S5_N6thrust23THRUST_200600_302600_NS6detail15normal_iteratorINS8_7pointerIiNS8_11hip_rocprim3tagENS8_11use_defaultESE_EEEENSA_INSB_IlSD_SE_SE_EEEEZNS1_13binary_searchIS3_S5_NSA_INSB_IiSD_NS8_16tagged_referenceIiSD_EESE_EEEESG_SI_NS1_21upper_bound_search_opENS9_16wrapped_functionINS8_7greaterIiEEbEEEE10hipError_tPvRmT1_T2_T3_mmT4_T5_P12ihipStream_tbEUlRKiE_EEST_SX_SY_mSZ_S12_bEUlT_E_NS1_11comp_targetILNS1_3genE8ELNS1_11target_archE1030ELNS1_3gpuE2ELNS1_3repE0EEENS1_30default_config_static_selectorELNS0_4arch9wavefront6targetE0EEEvSW_
; %bb.0:
	.section	.rodata,"a",@progbits
	.p2align	6, 0x0
	.amdhsa_kernel _ZN7rocprim17ROCPRIM_400000_NS6detail17trampoline_kernelINS0_14default_configENS1_27upper_bound_config_selectorIilEEZNS1_14transform_implILb0ES3_S5_N6thrust23THRUST_200600_302600_NS6detail15normal_iteratorINS8_7pointerIiNS8_11hip_rocprim3tagENS8_11use_defaultESE_EEEENSA_INSB_IlSD_SE_SE_EEEEZNS1_13binary_searchIS3_S5_NSA_INSB_IiSD_NS8_16tagged_referenceIiSD_EESE_EEEESG_SI_NS1_21upper_bound_search_opENS9_16wrapped_functionINS8_7greaterIiEEbEEEE10hipError_tPvRmT1_T2_T3_mmT4_T5_P12ihipStream_tbEUlRKiE_EEST_SX_SY_mSZ_S12_bEUlT_E_NS1_11comp_targetILNS1_3genE8ELNS1_11target_archE1030ELNS1_3gpuE2ELNS1_3repE0EEENS1_30default_config_static_selectorELNS0_4arch9wavefront6targetE0EEEvSW_
		.amdhsa_group_segment_fixed_size 0
		.amdhsa_private_segment_fixed_size 0
		.amdhsa_kernarg_size 56
		.amdhsa_user_sgpr_count 2
		.amdhsa_user_sgpr_dispatch_ptr 0
		.amdhsa_user_sgpr_queue_ptr 0
		.amdhsa_user_sgpr_kernarg_segment_ptr 1
		.amdhsa_user_sgpr_dispatch_id 0
		.amdhsa_user_sgpr_kernarg_preload_length 0
		.amdhsa_user_sgpr_kernarg_preload_offset 0
		.amdhsa_user_sgpr_private_segment_size 0
		.amdhsa_wavefront_size32 1
		.amdhsa_uses_dynamic_stack 0
		.amdhsa_enable_private_segment 0
		.amdhsa_system_sgpr_workgroup_id_x 1
		.amdhsa_system_sgpr_workgroup_id_y 0
		.amdhsa_system_sgpr_workgroup_id_z 0
		.amdhsa_system_sgpr_workgroup_info 0
		.amdhsa_system_vgpr_workitem_id 0
		.amdhsa_next_free_vgpr 1
		.amdhsa_next_free_sgpr 1
		.amdhsa_named_barrier_count 0
		.amdhsa_reserve_vcc 0
		.amdhsa_float_round_mode_32 0
		.amdhsa_float_round_mode_16_64 0
		.amdhsa_float_denorm_mode_32 3
		.amdhsa_float_denorm_mode_16_64 3
		.amdhsa_fp16_overflow 0
		.amdhsa_memory_ordered 1
		.amdhsa_forward_progress 1
		.amdhsa_inst_pref_size 0
		.amdhsa_round_robin_scheduling 0
		.amdhsa_exception_fp_ieee_invalid_op 0
		.amdhsa_exception_fp_denorm_src 0
		.amdhsa_exception_fp_ieee_div_zero 0
		.amdhsa_exception_fp_ieee_overflow 0
		.amdhsa_exception_fp_ieee_underflow 0
		.amdhsa_exception_fp_ieee_inexact 0
		.amdhsa_exception_int_div_zero 0
	.end_amdhsa_kernel
	.section	.text._ZN7rocprim17ROCPRIM_400000_NS6detail17trampoline_kernelINS0_14default_configENS1_27upper_bound_config_selectorIilEEZNS1_14transform_implILb0ES3_S5_N6thrust23THRUST_200600_302600_NS6detail15normal_iteratorINS8_7pointerIiNS8_11hip_rocprim3tagENS8_11use_defaultESE_EEEENSA_INSB_IlSD_SE_SE_EEEEZNS1_13binary_searchIS3_S5_NSA_INSB_IiSD_NS8_16tagged_referenceIiSD_EESE_EEEESG_SI_NS1_21upper_bound_search_opENS9_16wrapped_functionINS8_7greaterIiEEbEEEE10hipError_tPvRmT1_T2_T3_mmT4_T5_P12ihipStream_tbEUlRKiE_EEST_SX_SY_mSZ_S12_bEUlT_E_NS1_11comp_targetILNS1_3genE8ELNS1_11target_archE1030ELNS1_3gpuE2ELNS1_3repE0EEENS1_30default_config_static_selectorELNS0_4arch9wavefront6targetE0EEEvSW_,"axG",@progbits,_ZN7rocprim17ROCPRIM_400000_NS6detail17trampoline_kernelINS0_14default_configENS1_27upper_bound_config_selectorIilEEZNS1_14transform_implILb0ES3_S5_N6thrust23THRUST_200600_302600_NS6detail15normal_iteratorINS8_7pointerIiNS8_11hip_rocprim3tagENS8_11use_defaultESE_EEEENSA_INSB_IlSD_SE_SE_EEEEZNS1_13binary_searchIS3_S5_NSA_INSB_IiSD_NS8_16tagged_referenceIiSD_EESE_EEEESG_SI_NS1_21upper_bound_search_opENS9_16wrapped_functionINS8_7greaterIiEEbEEEE10hipError_tPvRmT1_T2_T3_mmT4_T5_P12ihipStream_tbEUlRKiE_EEST_SX_SY_mSZ_S12_bEUlT_E_NS1_11comp_targetILNS1_3genE8ELNS1_11target_archE1030ELNS1_3gpuE2ELNS1_3repE0EEENS1_30default_config_static_selectorELNS0_4arch9wavefront6targetE0EEEvSW_,comdat
.Lfunc_end130:
	.size	_ZN7rocprim17ROCPRIM_400000_NS6detail17trampoline_kernelINS0_14default_configENS1_27upper_bound_config_selectorIilEEZNS1_14transform_implILb0ES3_S5_N6thrust23THRUST_200600_302600_NS6detail15normal_iteratorINS8_7pointerIiNS8_11hip_rocprim3tagENS8_11use_defaultESE_EEEENSA_INSB_IlSD_SE_SE_EEEEZNS1_13binary_searchIS3_S5_NSA_INSB_IiSD_NS8_16tagged_referenceIiSD_EESE_EEEESG_SI_NS1_21upper_bound_search_opENS9_16wrapped_functionINS8_7greaterIiEEbEEEE10hipError_tPvRmT1_T2_T3_mmT4_T5_P12ihipStream_tbEUlRKiE_EEST_SX_SY_mSZ_S12_bEUlT_E_NS1_11comp_targetILNS1_3genE8ELNS1_11target_archE1030ELNS1_3gpuE2ELNS1_3repE0EEENS1_30default_config_static_selectorELNS0_4arch9wavefront6targetE0EEEvSW_, .Lfunc_end130-_ZN7rocprim17ROCPRIM_400000_NS6detail17trampoline_kernelINS0_14default_configENS1_27upper_bound_config_selectorIilEEZNS1_14transform_implILb0ES3_S5_N6thrust23THRUST_200600_302600_NS6detail15normal_iteratorINS8_7pointerIiNS8_11hip_rocprim3tagENS8_11use_defaultESE_EEEENSA_INSB_IlSD_SE_SE_EEEEZNS1_13binary_searchIS3_S5_NSA_INSB_IiSD_NS8_16tagged_referenceIiSD_EESE_EEEESG_SI_NS1_21upper_bound_search_opENS9_16wrapped_functionINS8_7greaterIiEEbEEEE10hipError_tPvRmT1_T2_T3_mmT4_T5_P12ihipStream_tbEUlRKiE_EEST_SX_SY_mSZ_S12_bEUlT_E_NS1_11comp_targetILNS1_3genE8ELNS1_11target_archE1030ELNS1_3gpuE2ELNS1_3repE0EEENS1_30default_config_static_selectorELNS0_4arch9wavefront6targetE0EEEvSW_
                                        ; -- End function
	.set _ZN7rocprim17ROCPRIM_400000_NS6detail17trampoline_kernelINS0_14default_configENS1_27upper_bound_config_selectorIilEEZNS1_14transform_implILb0ES3_S5_N6thrust23THRUST_200600_302600_NS6detail15normal_iteratorINS8_7pointerIiNS8_11hip_rocprim3tagENS8_11use_defaultESE_EEEENSA_INSB_IlSD_SE_SE_EEEEZNS1_13binary_searchIS3_S5_NSA_INSB_IiSD_NS8_16tagged_referenceIiSD_EESE_EEEESG_SI_NS1_21upper_bound_search_opENS9_16wrapped_functionINS8_7greaterIiEEbEEEE10hipError_tPvRmT1_T2_T3_mmT4_T5_P12ihipStream_tbEUlRKiE_EEST_SX_SY_mSZ_S12_bEUlT_E_NS1_11comp_targetILNS1_3genE8ELNS1_11target_archE1030ELNS1_3gpuE2ELNS1_3repE0EEENS1_30default_config_static_selectorELNS0_4arch9wavefront6targetE0EEEvSW_.num_vgpr, 0
	.set _ZN7rocprim17ROCPRIM_400000_NS6detail17trampoline_kernelINS0_14default_configENS1_27upper_bound_config_selectorIilEEZNS1_14transform_implILb0ES3_S5_N6thrust23THRUST_200600_302600_NS6detail15normal_iteratorINS8_7pointerIiNS8_11hip_rocprim3tagENS8_11use_defaultESE_EEEENSA_INSB_IlSD_SE_SE_EEEEZNS1_13binary_searchIS3_S5_NSA_INSB_IiSD_NS8_16tagged_referenceIiSD_EESE_EEEESG_SI_NS1_21upper_bound_search_opENS9_16wrapped_functionINS8_7greaterIiEEbEEEE10hipError_tPvRmT1_T2_T3_mmT4_T5_P12ihipStream_tbEUlRKiE_EEST_SX_SY_mSZ_S12_bEUlT_E_NS1_11comp_targetILNS1_3genE8ELNS1_11target_archE1030ELNS1_3gpuE2ELNS1_3repE0EEENS1_30default_config_static_selectorELNS0_4arch9wavefront6targetE0EEEvSW_.num_agpr, 0
	.set _ZN7rocprim17ROCPRIM_400000_NS6detail17trampoline_kernelINS0_14default_configENS1_27upper_bound_config_selectorIilEEZNS1_14transform_implILb0ES3_S5_N6thrust23THRUST_200600_302600_NS6detail15normal_iteratorINS8_7pointerIiNS8_11hip_rocprim3tagENS8_11use_defaultESE_EEEENSA_INSB_IlSD_SE_SE_EEEEZNS1_13binary_searchIS3_S5_NSA_INSB_IiSD_NS8_16tagged_referenceIiSD_EESE_EEEESG_SI_NS1_21upper_bound_search_opENS9_16wrapped_functionINS8_7greaterIiEEbEEEE10hipError_tPvRmT1_T2_T3_mmT4_T5_P12ihipStream_tbEUlRKiE_EEST_SX_SY_mSZ_S12_bEUlT_E_NS1_11comp_targetILNS1_3genE8ELNS1_11target_archE1030ELNS1_3gpuE2ELNS1_3repE0EEENS1_30default_config_static_selectorELNS0_4arch9wavefront6targetE0EEEvSW_.numbered_sgpr, 0
	.set _ZN7rocprim17ROCPRIM_400000_NS6detail17trampoline_kernelINS0_14default_configENS1_27upper_bound_config_selectorIilEEZNS1_14transform_implILb0ES3_S5_N6thrust23THRUST_200600_302600_NS6detail15normal_iteratorINS8_7pointerIiNS8_11hip_rocprim3tagENS8_11use_defaultESE_EEEENSA_INSB_IlSD_SE_SE_EEEEZNS1_13binary_searchIS3_S5_NSA_INSB_IiSD_NS8_16tagged_referenceIiSD_EESE_EEEESG_SI_NS1_21upper_bound_search_opENS9_16wrapped_functionINS8_7greaterIiEEbEEEE10hipError_tPvRmT1_T2_T3_mmT4_T5_P12ihipStream_tbEUlRKiE_EEST_SX_SY_mSZ_S12_bEUlT_E_NS1_11comp_targetILNS1_3genE8ELNS1_11target_archE1030ELNS1_3gpuE2ELNS1_3repE0EEENS1_30default_config_static_selectorELNS0_4arch9wavefront6targetE0EEEvSW_.num_named_barrier, 0
	.set _ZN7rocprim17ROCPRIM_400000_NS6detail17trampoline_kernelINS0_14default_configENS1_27upper_bound_config_selectorIilEEZNS1_14transform_implILb0ES3_S5_N6thrust23THRUST_200600_302600_NS6detail15normal_iteratorINS8_7pointerIiNS8_11hip_rocprim3tagENS8_11use_defaultESE_EEEENSA_INSB_IlSD_SE_SE_EEEEZNS1_13binary_searchIS3_S5_NSA_INSB_IiSD_NS8_16tagged_referenceIiSD_EESE_EEEESG_SI_NS1_21upper_bound_search_opENS9_16wrapped_functionINS8_7greaterIiEEbEEEE10hipError_tPvRmT1_T2_T3_mmT4_T5_P12ihipStream_tbEUlRKiE_EEST_SX_SY_mSZ_S12_bEUlT_E_NS1_11comp_targetILNS1_3genE8ELNS1_11target_archE1030ELNS1_3gpuE2ELNS1_3repE0EEENS1_30default_config_static_selectorELNS0_4arch9wavefront6targetE0EEEvSW_.private_seg_size, 0
	.set _ZN7rocprim17ROCPRIM_400000_NS6detail17trampoline_kernelINS0_14default_configENS1_27upper_bound_config_selectorIilEEZNS1_14transform_implILb0ES3_S5_N6thrust23THRUST_200600_302600_NS6detail15normal_iteratorINS8_7pointerIiNS8_11hip_rocprim3tagENS8_11use_defaultESE_EEEENSA_INSB_IlSD_SE_SE_EEEEZNS1_13binary_searchIS3_S5_NSA_INSB_IiSD_NS8_16tagged_referenceIiSD_EESE_EEEESG_SI_NS1_21upper_bound_search_opENS9_16wrapped_functionINS8_7greaterIiEEbEEEE10hipError_tPvRmT1_T2_T3_mmT4_T5_P12ihipStream_tbEUlRKiE_EEST_SX_SY_mSZ_S12_bEUlT_E_NS1_11comp_targetILNS1_3genE8ELNS1_11target_archE1030ELNS1_3gpuE2ELNS1_3repE0EEENS1_30default_config_static_selectorELNS0_4arch9wavefront6targetE0EEEvSW_.uses_vcc, 0
	.set _ZN7rocprim17ROCPRIM_400000_NS6detail17trampoline_kernelINS0_14default_configENS1_27upper_bound_config_selectorIilEEZNS1_14transform_implILb0ES3_S5_N6thrust23THRUST_200600_302600_NS6detail15normal_iteratorINS8_7pointerIiNS8_11hip_rocprim3tagENS8_11use_defaultESE_EEEENSA_INSB_IlSD_SE_SE_EEEEZNS1_13binary_searchIS3_S5_NSA_INSB_IiSD_NS8_16tagged_referenceIiSD_EESE_EEEESG_SI_NS1_21upper_bound_search_opENS9_16wrapped_functionINS8_7greaterIiEEbEEEE10hipError_tPvRmT1_T2_T3_mmT4_T5_P12ihipStream_tbEUlRKiE_EEST_SX_SY_mSZ_S12_bEUlT_E_NS1_11comp_targetILNS1_3genE8ELNS1_11target_archE1030ELNS1_3gpuE2ELNS1_3repE0EEENS1_30default_config_static_selectorELNS0_4arch9wavefront6targetE0EEEvSW_.uses_flat_scratch, 0
	.set _ZN7rocprim17ROCPRIM_400000_NS6detail17trampoline_kernelINS0_14default_configENS1_27upper_bound_config_selectorIilEEZNS1_14transform_implILb0ES3_S5_N6thrust23THRUST_200600_302600_NS6detail15normal_iteratorINS8_7pointerIiNS8_11hip_rocprim3tagENS8_11use_defaultESE_EEEENSA_INSB_IlSD_SE_SE_EEEEZNS1_13binary_searchIS3_S5_NSA_INSB_IiSD_NS8_16tagged_referenceIiSD_EESE_EEEESG_SI_NS1_21upper_bound_search_opENS9_16wrapped_functionINS8_7greaterIiEEbEEEE10hipError_tPvRmT1_T2_T3_mmT4_T5_P12ihipStream_tbEUlRKiE_EEST_SX_SY_mSZ_S12_bEUlT_E_NS1_11comp_targetILNS1_3genE8ELNS1_11target_archE1030ELNS1_3gpuE2ELNS1_3repE0EEENS1_30default_config_static_selectorELNS0_4arch9wavefront6targetE0EEEvSW_.has_dyn_sized_stack, 0
	.set _ZN7rocprim17ROCPRIM_400000_NS6detail17trampoline_kernelINS0_14default_configENS1_27upper_bound_config_selectorIilEEZNS1_14transform_implILb0ES3_S5_N6thrust23THRUST_200600_302600_NS6detail15normal_iteratorINS8_7pointerIiNS8_11hip_rocprim3tagENS8_11use_defaultESE_EEEENSA_INSB_IlSD_SE_SE_EEEEZNS1_13binary_searchIS3_S5_NSA_INSB_IiSD_NS8_16tagged_referenceIiSD_EESE_EEEESG_SI_NS1_21upper_bound_search_opENS9_16wrapped_functionINS8_7greaterIiEEbEEEE10hipError_tPvRmT1_T2_T3_mmT4_T5_P12ihipStream_tbEUlRKiE_EEST_SX_SY_mSZ_S12_bEUlT_E_NS1_11comp_targetILNS1_3genE8ELNS1_11target_archE1030ELNS1_3gpuE2ELNS1_3repE0EEENS1_30default_config_static_selectorELNS0_4arch9wavefront6targetE0EEEvSW_.has_recursion, 0
	.set _ZN7rocprim17ROCPRIM_400000_NS6detail17trampoline_kernelINS0_14default_configENS1_27upper_bound_config_selectorIilEEZNS1_14transform_implILb0ES3_S5_N6thrust23THRUST_200600_302600_NS6detail15normal_iteratorINS8_7pointerIiNS8_11hip_rocprim3tagENS8_11use_defaultESE_EEEENSA_INSB_IlSD_SE_SE_EEEEZNS1_13binary_searchIS3_S5_NSA_INSB_IiSD_NS8_16tagged_referenceIiSD_EESE_EEEESG_SI_NS1_21upper_bound_search_opENS9_16wrapped_functionINS8_7greaterIiEEbEEEE10hipError_tPvRmT1_T2_T3_mmT4_T5_P12ihipStream_tbEUlRKiE_EEST_SX_SY_mSZ_S12_bEUlT_E_NS1_11comp_targetILNS1_3genE8ELNS1_11target_archE1030ELNS1_3gpuE2ELNS1_3repE0EEENS1_30default_config_static_selectorELNS0_4arch9wavefront6targetE0EEEvSW_.has_indirect_call, 0
	.section	.AMDGPU.csdata,"",@progbits
; Kernel info:
; codeLenInByte = 0
; TotalNumSgprs: 0
; NumVgprs: 0
; ScratchSize: 0
; MemoryBound: 0
; FloatMode: 240
; IeeeMode: 1
; LDSByteSize: 0 bytes/workgroup (compile time only)
; SGPRBlocks: 0
; VGPRBlocks: 0
; NumSGPRsForWavesPerEU: 1
; NumVGPRsForWavesPerEU: 1
; NamedBarCnt: 0
; Occupancy: 16
; WaveLimiterHint : 0
; COMPUTE_PGM_RSRC2:SCRATCH_EN: 0
; COMPUTE_PGM_RSRC2:USER_SGPR: 2
; COMPUTE_PGM_RSRC2:TRAP_HANDLER: 0
; COMPUTE_PGM_RSRC2:TGID_X_EN: 1
; COMPUTE_PGM_RSRC2:TGID_Y_EN: 0
; COMPUTE_PGM_RSRC2:TGID_Z_EN: 0
; COMPUTE_PGM_RSRC2:TIDIG_COMP_CNT: 0
	.section	.text._ZN7rocprim17ROCPRIM_400000_NS6detail17trampoline_kernelINS0_14default_configENS1_27upper_bound_config_selectorIilEEZNS1_14transform_implILb0ES3_S5_N6thrust23THRUST_200600_302600_NS6detail15normal_iteratorINS8_7pointerIiNS8_11hip_rocprim3tagENS8_11use_defaultESE_EEEENSA_INSB_IlSD_SE_SE_EEEEZNS1_13binary_searchIS3_S5_NSA_INSB_IiSD_RiSE_EEEESG_SI_NS1_21upper_bound_search_opENS9_16wrapped_functionINS8_7greaterIiEEbEEEE10hipError_tPvRmT1_T2_T3_mmT4_T5_P12ihipStream_tbEUlRKiE_EESS_SW_SX_mSY_S11_bEUlT_E_NS1_11comp_targetILNS1_3genE0ELNS1_11target_archE4294967295ELNS1_3gpuE0ELNS1_3repE0EEENS1_30default_config_static_selectorELNS0_4arch9wavefront6targetE0EEEvSV_,"axG",@progbits,_ZN7rocprim17ROCPRIM_400000_NS6detail17trampoline_kernelINS0_14default_configENS1_27upper_bound_config_selectorIilEEZNS1_14transform_implILb0ES3_S5_N6thrust23THRUST_200600_302600_NS6detail15normal_iteratorINS8_7pointerIiNS8_11hip_rocprim3tagENS8_11use_defaultESE_EEEENSA_INSB_IlSD_SE_SE_EEEEZNS1_13binary_searchIS3_S5_NSA_INSB_IiSD_RiSE_EEEESG_SI_NS1_21upper_bound_search_opENS9_16wrapped_functionINS8_7greaterIiEEbEEEE10hipError_tPvRmT1_T2_T3_mmT4_T5_P12ihipStream_tbEUlRKiE_EESS_SW_SX_mSY_S11_bEUlT_E_NS1_11comp_targetILNS1_3genE0ELNS1_11target_archE4294967295ELNS1_3gpuE0ELNS1_3repE0EEENS1_30default_config_static_selectorELNS0_4arch9wavefront6targetE0EEEvSV_,comdat
	.protected	_ZN7rocprim17ROCPRIM_400000_NS6detail17trampoline_kernelINS0_14default_configENS1_27upper_bound_config_selectorIilEEZNS1_14transform_implILb0ES3_S5_N6thrust23THRUST_200600_302600_NS6detail15normal_iteratorINS8_7pointerIiNS8_11hip_rocprim3tagENS8_11use_defaultESE_EEEENSA_INSB_IlSD_SE_SE_EEEEZNS1_13binary_searchIS3_S5_NSA_INSB_IiSD_RiSE_EEEESG_SI_NS1_21upper_bound_search_opENS9_16wrapped_functionINS8_7greaterIiEEbEEEE10hipError_tPvRmT1_T2_T3_mmT4_T5_P12ihipStream_tbEUlRKiE_EESS_SW_SX_mSY_S11_bEUlT_E_NS1_11comp_targetILNS1_3genE0ELNS1_11target_archE4294967295ELNS1_3gpuE0ELNS1_3repE0EEENS1_30default_config_static_selectorELNS0_4arch9wavefront6targetE0EEEvSV_ ; -- Begin function _ZN7rocprim17ROCPRIM_400000_NS6detail17trampoline_kernelINS0_14default_configENS1_27upper_bound_config_selectorIilEEZNS1_14transform_implILb0ES3_S5_N6thrust23THRUST_200600_302600_NS6detail15normal_iteratorINS8_7pointerIiNS8_11hip_rocprim3tagENS8_11use_defaultESE_EEEENSA_INSB_IlSD_SE_SE_EEEEZNS1_13binary_searchIS3_S5_NSA_INSB_IiSD_RiSE_EEEESG_SI_NS1_21upper_bound_search_opENS9_16wrapped_functionINS8_7greaterIiEEbEEEE10hipError_tPvRmT1_T2_T3_mmT4_T5_P12ihipStream_tbEUlRKiE_EESS_SW_SX_mSY_S11_bEUlT_E_NS1_11comp_targetILNS1_3genE0ELNS1_11target_archE4294967295ELNS1_3gpuE0ELNS1_3repE0EEENS1_30default_config_static_selectorELNS0_4arch9wavefront6targetE0EEEvSV_
	.globl	_ZN7rocprim17ROCPRIM_400000_NS6detail17trampoline_kernelINS0_14default_configENS1_27upper_bound_config_selectorIilEEZNS1_14transform_implILb0ES3_S5_N6thrust23THRUST_200600_302600_NS6detail15normal_iteratorINS8_7pointerIiNS8_11hip_rocprim3tagENS8_11use_defaultESE_EEEENSA_INSB_IlSD_SE_SE_EEEEZNS1_13binary_searchIS3_S5_NSA_INSB_IiSD_RiSE_EEEESG_SI_NS1_21upper_bound_search_opENS9_16wrapped_functionINS8_7greaterIiEEbEEEE10hipError_tPvRmT1_T2_T3_mmT4_T5_P12ihipStream_tbEUlRKiE_EESS_SW_SX_mSY_S11_bEUlT_E_NS1_11comp_targetILNS1_3genE0ELNS1_11target_archE4294967295ELNS1_3gpuE0ELNS1_3repE0EEENS1_30default_config_static_selectorELNS0_4arch9wavefront6targetE0EEEvSV_
	.p2align	8
	.type	_ZN7rocprim17ROCPRIM_400000_NS6detail17trampoline_kernelINS0_14default_configENS1_27upper_bound_config_selectorIilEEZNS1_14transform_implILb0ES3_S5_N6thrust23THRUST_200600_302600_NS6detail15normal_iteratorINS8_7pointerIiNS8_11hip_rocprim3tagENS8_11use_defaultESE_EEEENSA_INSB_IlSD_SE_SE_EEEEZNS1_13binary_searchIS3_S5_NSA_INSB_IiSD_RiSE_EEEESG_SI_NS1_21upper_bound_search_opENS9_16wrapped_functionINS8_7greaterIiEEbEEEE10hipError_tPvRmT1_T2_T3_mmT4_T5_P12ihipStream_tbEUlRKiE_EESS_SW_SX_mSY_S11_bEUlT_E_NS1_11comp_targetILNS1_3genE0ELNS1_11target_archE4294967295ELNS1_3gpuE0ELNS1_3repE0EEENS1_30default_config_static_selectorELNS0_4arch9wavefront6targetE0EEEvSV_,@function
_ZN7rocprim17ROCPRIM_400000_NS6detail17trampoline_kernelINS0_14default_configENS1_27upper_bound_config_selectorIilEEZNS1_14transform_implILb0ES3_S5_N6thrust23THRUST_200600_302600_NS6detail15normal_iteratorINS8_7pointerIiNS8_11hip_rocprim3tagENS8_11use_defaultESE_EEEENSA_INSB_IlSD_SE_SE_EEEEZNS1_13binary_searchIS3_S5_NSA_INSB_IiSD_RiSE_EEEESG_SI_NS1_21upper_bound_search_opENS9_16wrapped_functionINS8_7greaterIiEEbEEEE10hipError_tPvRmT1_T2_T3_mmT4_T5_P12ihipStream_tbEUlRKiE_EESS_SW_SX_mSY_S11_bEUlT_E_NS1_11comp_targetILNS1_3genE0ELNS1_11target_archE4294967295ELNS1_3gpuE0ELNS1_3repE0EEENS1_30default_config_static_selectorELNS0_4arch9wavefront6targetE0EEEvSV_: ; @_ZN7rocprim17ROCPRIM_400000_NS6detail17trampoline_kernelINS0_14default_configENS1_27upper_bound_config_selectorIilEEZNS1_14transform_implILb0ES3_S5_N6thrust23THRUST_200600_302600_NS6detail15normal_iteratorINS8_7pointerIiNS8_11hip_rocprim3tagENS8_11use_defaultESE_EEEENSA_INSB_IlSD_SE_SE_EEEEZNS1_13binary_searchIS3_S5_NSA_INSB_IiSD_RiSE_EEEESG_SI_NS1_21upper_bound_search_opENS9_16wrapped_functionINS8_7greaterIiEEbEEEE10hipError_tPvRmT1_T2_T3_mmT4_T5_P12ihipStream_tbEUlRKiE_EESS_SW_SX_mSY_S11_bEUlT_E_NS1_11comp_targetILNS1_3genE0ELNS1_11target_archE4294967295ELNS1_3gpuE0ELNS1_3repE0EEENS1_30default_config_static_selectorELNS0_4arch9wavefront6targetE0EEEvSV_
; %bb.0:
	s_clause 0x3
	s_load_b128 s[12:15], s[0:1], 0x0
	s_load_b128 s[4:7], s[0:1], 0x18
	s_load_b32 s16, s[0:1], 0x38
	s_load_b64 s[8:9], s[0:1], 0x28
	s_bfe_u32 s2, ttmp6, 0x4000c
	s_and_b32 s3, ttmp6, 15
	s_add_co_i32 s2, s2, 1
	s_getreg_b32 s10, hwreg(HW_REG_IB_STS2, 6, 4)
	s_mul_i32 s2, ttmp9, s2
	s_delay_alu instid0(SALU_CYCLE_1)
	s_add_co_i32 s17, s3, s2
	s_wait_kmcnt 0x0
	s_lshl_b64 s[2:3], s[14:15], 2
	s_lshl_b64 s[14:15], s[14:15], 3
	s_cmp_eq_u32 s10, 0
	s_add_nc_u64 s[10:11], s[12:13], s[2:3]
	s_cselect_b32 s12, ttmp9, s17
	s_add_co_i32 s16, s16, -1
	s_add_nc_u64 s[2:3], s[4:5], s[14:15]
	s_lshl_b32 s4, s12, 8
	s_mov_b32 s5, 0
	s_cmp_lg_u32 s12, s16
	s_mov_b32 s12, -1
	s_cbranch_scc0 .LBB131_7
; %bb.1:
	s_cmp_eq_u64 s[8:9], 0
	s_cbranch_scc1 .LBB131_5
; %bb.2:
	s_lshl_b64 s[12:13], s[4:5], 2
	v_mov_b64_e32 v[2:3], 0
	s_add_nc_u64 s[12:13], s[10:11], s[12:13]
	v_mov_b64_e32 v[4:5], s[8:9]
	flat_load_b32 v1, v0, s[12:13] scale_offset
	s_wait_xcnt 0x0
	s_mov_b32 s12, 0
.LBB131_3:                              ; =>This Inner Loop Header: Depth=1
	v_sub_nc_u64_e32 v[6:7], v[4:5], v[2:3]
	s_delay_alu instid0(VALU_DEP_1) | instskip(SKIP_1) | instid1(VALU_DEP_2)
	v_lshrrev_b64 v[8:9], 1, v[6:7]
	v_lshrrev_b64 v[6:7], 6, v[6:7]
	v_add_nc_u64_e32 v[8:9], v[8:9], v[2:3]
	s_delay_alu instid0(VALU_DEP_1) | instskip(NEXT) | instid1(VALU_DEP_1)
	v_add_nc_u64_e32 v[6:7], v[8:9], v[6:7]
	v_lshl_add_u64 v[8:9], v[6:7], 2, s[6:7]
	global_load_b32 v10, v[8:9], off
	s_wait_xcnt 0x0
	v_add_nc_u64_e32 v[8:9], 1, v[6:7]
	s_wait_loadcnt_dscnt 0x0
	v_cmp_gt_i32_e32 vcc_lo, v1, v10
	v_dual_cndmask_b32 v5, v5, v7 :: v_dual_cndmask_b32 v4, v4, v6
	s_delay_alu instid0(VALU_DEP_3) | instskip(NEXT) | instid1(VALU_DEP_1)
	v_dual_cndmask_b32 v3, v9, v3 :: v_dual_cndmask_b32 v2, v8, v2
	v_cmp_ge_u64_e32 vcc_lo, v[2:3], v[4:5]
	s_or_b32 s12, vcc_lo, s12
	s_delay_alu instid0(SALU_CYCLE_1)
	s_and_not1_b32 exec_lo, exec_lo, s12
	s_cbranch_execnz .LBB131_3
; %bb.4:
	s_or_b32 exec_lo, exec_lo, s12
	s_branch .LBB131_6
.LBB131_5:
	v_mov_b64_e32 v[2:3], 0
.LBB131_6:
	s_lshl_b64 s[12:13], s[4:5], 3
	s_delay_alu instid0(SALU_CYCLE_1)
	s_add_nc_u64 s[14:15], s[2:3], s[12:13]
	s_mov_b32 s12, 0
	flat_store_b64 v0, v[2:3], s[14:15] scale_offset
.LBB131_7:
	s_and_b32 vcc_lo, exec_lo, s12
	s_cbranch_vccz .LBB131_16
; %bb.8:
	s_load_b32 s0, s[0:1], 0x10
                                        ; implicit-def: $vgpr1
	s_wait_kmcnt 0x0
	s_sub_co_i32 s1, s0, s4
	s_delay_alu instid0(SALU_CYCLE_1)
	v_cmp_le_u32_e64 s0, s1, v0
	v_cmp_gt_u32_e32 vcc_lo, s1, v0
	s_and_saveexec_b32 s1, vcc_lo
	s_cbranch_execz .LBB131_10
; %bb.9:
	s_lshl_b64 s[12:13], s[4:5], 2
	s_delay_alu instid0(SALU_CYCLE_1)
	s_add_nc_u64 s[10:11], s[10:11], s[12:13]
	flat_load_b32 v1, v0, s[10:11] scale_offset
.LBB131_10:
	s_wait_xcnt 0x0
	s_or_b32 exec_lo, exec_lo, s1
	v_mov_b64_e32 v[2:3], 0
	s_cmp_lg_u64 s[8:9], 0
	s_cselect_b32 s1, -1, 0
	s_xor_b32 s0, s0, -1
	s_delay_alu instid0(SALU_CYCLE_1) | instskip(NEXT) | instid1(SALU_CYCLE_1)
	s_and_b32 s0, s0, s1
	s_and_saveexec_b32 s1, s0
	s_cbranch_execz .LBB131_14
; %bb.11:
	v_mov_b64_e32 v[2:3], 0
	v_mov_b64_e32 v[4:5], s[8:9]
	s_mov_b32 s8, 0
.LBB131_12:                             ; =>This Inner Loop Header: Depth=1
	s_delay_alu instid0(VALU_DEP_1) | instskip(NEXT) | instid1(VALU_DEP_1)
	v_sub_nc_u64_e32 v[6:7], v[4:5], v[2:3]
	v_lshrrev_b64 v[8:9], 1, v[6:7]
	v_lshrrev_b64 v[6:7], 6, v[6:7]
	s_delay_alu instid0(VALU_DEP_2) | instskip(NEXT) | instid1(VALU_DEP_1)
	v_add_nc_u64_e32 v[8:9], v[8:9], v[2:3]
	v_add_nc_u64_e32 v[6:7], v[8:9], v[6:7]
	s_delay_alu instid0(VALU_DEP_1)
	v_lshl_add_u64 v[8:9], v[6:7], 2, s[6:7]
	global_load_b32 v10, v[8:9], off
	s_wait_xcnt 0x0
	v_add_nc_u64_e32 v[8:9], 1, v[6:7]
	s_wait_loadcnt_dscnt 0x0
	v_cmp_gt_i32_e64 s0, v1, v10
	s_delay_alu instid0(VALU_DEP_1) | instskip(NEXT) | instid1(VALU_DEP_3)
	v_dual_cndmask_b32 v5, v5, v7, s0 :: v_dual_cndmask_b32 v4, v4, v6, s0
	v_dual_cndmask_b32 v3, v9, v3, s0 :: v_dual_cndmask_b32 v2, v8, v2, s0
	s_delay_alu instid0(VALU_DEP_1) | instskip(SKIP_1) | instid1(SALU_CYCLE_1)
	v_cmp_ge_u64_e64 s0, v[2:3], v[4:5]
	s_or_b32 s8, s0, s8
	s_and_not1_b32 exec_lo, exec_lo, s8
	s_cbranch_execnz .LBB131_12
; %bb.13:
	s_or_b32 exec_lo, exec_lo, s8
.LBB131_14:
	s_delay_alu instid0(SALU_CYCLE_1)
	s_or_b32 exec_lo, exec_lo, s1
	s_and_saveexec_b32 s0, vcc_lo
	s_cbranch_execz .LBB131_16
; %bb.15:
	s_lshl_b64 s[0:1], s[4:5], 3
	s_delay_alu instid0(SALU_CYCLE_1)
	s_add_nc_u64 s[0:1], s[2:3], s[0:1]
	flat_store_b64 v0, v[2:3], s[0:1] scale_offset
.LBB131_16:
	s_endpgm
	.section	.rodata,"a",@progbits
	.p2align	6, 0x0
	.amdhsa_kernel _ZN7rocprim17ROCPRIM_400000_NS6detail17trampoline_kernelINS0_14default_configENS1_27upper_bound_config_selectorIilEEZNS1_14transform_implILb0ES3_S5_N6thrust23THRUST_200600_302600_NS6detail15normal_iteratorINS8_7pointerIiNS8_11hip_rocprim3tagENS8_11use_defaultESE_EEEENSA_INSB_IlSD_SE_SE_EEEEZNS1_13binary_searchIS3_S5_NSA_INSB_IiSD_RiSE_EEEESG_SI_NS1_21upper_bound_search_opENS9_16wrapped_functionINS8_7greaterIiEEbEEEE10hipError_tPvRmT1_T2_T3_mmT4_T5_P12ihipStream_tbEUlRKiE_EESS_SW_SX_mSY_S11_bEUlT_E_NS1_11comp_targetILNS1_3genE0ELNS1_11target_archE4294967295ELNS1_3gpuE0ELNS1_3repE0EEENS1_30default_config_static_selectorELNS0_4arch9wavefront6targetE0EEEvSV_
		.amdhsa_group_segment_fixed_size 0
		.amdhsa_private_segment_fixed_size 0
		.amdhsa_kernarg_size 312
		.amdhsa_user_sgpr_count 2
		.amdhsa_user_sgpr_dispatch_ptr 0
		.amdhsa_user_sgpr_queue_ptr 0
		.amdhsa_user_sgpr_kernarg_segment_ptr 1
		.amdhsa_user_sgpr_dispatch_id 0
		.amdhsa_user_sgpr_kernarg_preload_length 0
		.amdhsa_user_sgpr_kernarg_preload_offset 0
		.amdhsa_user_sgpr_private_segment_size 0
		.amdhsa_wavefront_size32 1
		.amdhsa_uses_dynamic_stack 0
		.amdhsa_enable_private_segment 0
		.amdhsa_system_sgpr_workgroup_id_x 1
		.amdhsa_system_sgpr_workgroup_id_y 0
		.amdhsa_system_sgpr_workgroup_id_z 0
		.amdhsa_system_sgpr_workgroup_info 0
		.amdhsa_system_vgpr_workitem_id 0
		.amdhsa_next_free_vgpr 11
		.amdhsa_next_free_sgpr 18
		.amdhsa_named_barrier_count 0
		.amdhsa_reserve_vcc 1
		.amdhsa_float_round_mode_32 0
		.amdhsa_float_round_mode_16_64 0
		.amdhsa_float_denorm_mode_32 3
		.amdhsa_float_denorm_mode_16_64 3
		.amdhsa_fp16_overflow 0
		.amdhsa_memory_ordered 1
		.amdhsa_forward_progress 1
		.amdhsa_inst_pref_size 5
		.amdhsa_round_robin_scheduling 0
		.amdhsa_exception_fp_ieee_invalid_op 0
		.amdhsa_exception_fp_denorm_src 0
		.amdhsa_exception_fp_ieee_div_zero 0
		.amdhsa_exception_fp_ieee_overflow 0
		.amdhsa_exception_fp_ieee_underflow 0
		.amdhsa_exception_fp_ieee_inexact 0
		.amdhsa_exception_int_div_zero 0
	.end_amdhsa_kernel
	.section	.text._ZN7rocprim17ROCPRIM_400000_NS6detail17trampoline_kernelINS0_14default_configENS1_27upper_bound_config_selectorIilEEZNS1_14transform_implILb0ES3_S5_N6thrust23THRUST_200600_302600_NS6detail15normal_iteratorINS8_7pointerIiNS8_11hip_rocprim3tagENS8_11use_defaultESE_EEEENSA_INSB_IlSD_SE_SE_EEEEZNS1_13binary_searchIS3_S5_NSA_INSB_IiSD_RiSE_EEEESG_SI_NS1_21upper_bound_search_opENS9_16wrapped_functionINS8_7greaterIiEEbEEEE10hipError_tPvRmT1_T2_T3_mmT4_T5_P12ihipStream_tbEUlRKiE_EESS_SW_SX_mSY_S11_bEUlT_E_NS1_11comp_targetILNS1_3genE0ELNS1_11target_archE4294967295ELNS1_3gpuE0ELNS1_3repE0EEENS1_30default_config_static_selectorELNS0_4arch9wavefront6targetE0EEEvSV_,"axG",@progbits,_ZN7rocprim17ROCPRIM_400000_NS6detail17trampoline_kernelINS0_14default_configENS1_27upper_bound_config_selectorIilEEZNS1_14transform_implILb0ES3_S5_N6thrust23THRUST_200600_302600_NS6detail15normal_iteratorINS8_7pointerIiNS8_11hip_rocprim3tagENS8_11use_defaultESE_EEEENSA_INSB_IlSD_SE_SE_EEEEZNS1_13binary_searchIS3_S5_NSA_INSB_IiSD_RiSE_EEEESG_SI_NS1_21upper_bound_search_opENS9_16wrapped_functionINS8_7greaterIiEEbEEEE10hipError_tPvRmT1_T2_T3_mmT4_T5_P12ihipStream_tbEUlRKiE_EESS_SW_SX_mSY_S11_bEUlT_E_NS1_11comp_targetILNS1_3genE0ELNS1_11target_archE4294967295ELNS1_3gpuE0ELNS1_3repE0EEENS1_30default_config_static_selectorELNS0_4arch9wavefront6targetE0EEEvSV_,comdat
.Lfunc_end131:
	.size	_ZN7rocprim17ROCPRIM_400000_NS6detail17trampoline_kernelINS0_14default_configENS1_27upper_bound_config_selectorIilEEZNS1_14transform_implILb0ES3_S5_N6thrust23THRUST_200600_302600_NS6detail15normal_iteratorINS8_7pointerIiNS8_11hip_rocprim3tagENS8_11use_defaultESE_EEEENSA_INSB_IlSD_SE_SE_EEEEZNS1_13binary_searchIS3_S5_NSA_INSB_IiSD_RiSE_EEEESG_SI_NS1_21upper_bound_search_opENS9_16wrapped_functionINS8_7greaterIiEEbEEEE10hipError_tPvRmT1_T2_T3_mmT4_T5_P12ihipStream_tbEUlRKiE_EESS_SW_SX_mSY_S11_bEUlT_E_NS1_11comp_targetILNS1_3genE0ELNS1_11target_archE4294967295ELNS1_3gpuE0ELNS1_3repE0EEENS1_30default_config_static_selectorELNS0_4arch9wavefront6targetE0EEEvSV_, .Lfunc_end131-_ZN7rocprim17ROCPRIM_400000_NS6detail17trampoline_kernelINS0_14default_configENS1_27upper_bound_config_selectorIilEEZNS1_14transform_implILb0ES3_S5_N6thrust23THRUST_200600_302600_NS6detail15normal_iteratorINS8_7pointerIiNS8_11hip_rocprim3tagENS8_11use_defaultESE_EEEENSA_INSB_IlSD_SE_SE_EEEEZNS1_13binary_searchIS3_S5_NSA_INSB_IiSD_RiSE_EEEESG_SI_NS1_21upper_bound_search_opENS9_16wrapped_functionINS8_7greaterIiEEbEEEE10hipError_tPvRmT1_T2_T3_mmT4_T5_P12ihipStream_tbEUlRKiE_EESS_SW_SX_mSY_S11_bEUlT_E_NS1_11comp_targetILNS1_3genE0ELNS1_11target_archE4294967295ELNS1_3gpuE0ELNS1_3repE0EEENS1_30default_config_static_selectorELNS0_4arch9wavefront6targetE0EEEvSV_
                                        ; -- End function
	.set _ZN7rocprim17ROCPRIM_400000_NS6detail17trampoline_kernelINS0_14default_configENS1_27upper_bound_config_selectorIilEEZNS1_14transform_implILb0ES3_S5_N6thrust23THRUST_200600_302600_NS6detail15normal_iteratorINS8_7pointerIiNS8_11hip_rocprim3tagENS8_11use_defaultESE_EEEENSA_INSB_IlSD_SE_SE_EEEEZNS1_13binary_searchIS3_S5_NSA_INSB_IiSD_RiSE_EEEESG_SI_NS1_21upper_bound_search_opENS9_16wrapped_functionINS8_7greaterIiEEbEEEE10hipError_tPvRmT1_T2_T3_mmT4_T5_P12ihipStream_tbEUlRKiE_EESS_SW_SX_mSY_S11_bEUlT_E_NS1_11comp_targetILNS1_3genE0ELNS1_11target_archE4294967295ELNS1_3gpuE0ELNS1_3repE0EEENS1_30default_config_static_selectorELNS0_4arch9wavefront6targetE0EEEvSV_.num_vgpr, 11
	.set _ZN7rocprim17ROCPRIM_400000_NS6detail17trampoline_kernelINS0_14default_configENS1_27upper_bound_config_selectorIilEEZNS1_14transform_implILb0ES3_S5_N6thrust23THRUST_200600_302600_NS6detail15normal_iteratorINS8_7pointerIiNS8_11hip_rocprim3tagENS8_11use_defaultESE_EEEENSA_INSB_IlSD_SE_SE_EEEEZNS1_13binary_searchIS3_S5_NSA_INSB_IiSD_RiSE_EEEESG_SI_NS1_21upper_bound_search_opENS9_16wrapped_functionINS8_7greaterIiEEbEEEE10hipError_tPvRmT1_T2_T3_mmT4_T5_P12ihipStream_tbEUlRKiE_EESS_SW_SX_mSY_S11_bEUlT_E_NS1_11comp_targetILNS1_3genE0ELNS1_11target_archE4294967295ELNS1_3gpuE0ELNS1_3repE0EEENS1_30default_config_static_selectorELNS0_4arch9wavefront6targetE0EEEvSV_.num_agpr, 0
	.set _ZN7rocprim17ROCPRIM_400000_NS6detail17trampoline_kernelINS0_14default_configENS1_27upper_bound_config_selectorIilEEZNS1_14transform_implILb0ES3_S5_N6thrust23THRUST_200600_302600_NS6detail15normal_iteratorINS8_7pointerIiNS8_11hip_rocprim3tagENS8_11use_defaultESE_EEEENSA_INSB_IlSD_SE_SE_EEEEZNS1_13binary_searchIS3_S5_NSA_INSB_IiSD_RiSE_EEEESG_SI_NS1_21upper_bound_search_opENS9_16wrapped_functionINS8_7greaterIiEEbEEEE10hipError_tPvRmT1_T2_T3_mmT4_T5_P12ihipStream_tbEUlRKiE_EESS_SW_SX_mSY_S11_bEUlT_E_NS1_11comp_targetILNS1_3genE0ELNS1_11target_archE4294967295ELNS1_3gpuE0ELNS1_3repE0EEENS1_30default_config_static_selectorELNS0_4arch9wavefront6targetE0EEEvSV_.numbered_sgpr, 18
	.set _ZN7rocprim17ROCPRIM_400000_NS6detail17trampoline_kernelINS0_14default_configENS1_27upper_bound_config_selectorIilEEZNS1_14transform_implILb0ES3_S5_N6thrust23THRUST_200600_302600_NS6detail15normal_iteratorINS8_7pointerIiNS8_11hip_rocprim3tagENS8_11use_defaultESE_EEEENSA_INSB_IlSD_SE_SE_EEEEZNS1_13binary_searchIS3_S5_NSA_INSB_IiSD_RiSE_EEEESG_SI_NS1_21upper_bound_search_opENS9_16wrapped_functionINS8_7greaterIiEEbEEEE10hipError_tPvRmT1_T2_T3_mmT4_T5_P12ihipStream_tbEUlRKiE_EESS_SW_SX_mSY_S11_bEUlT_E_NS1_11comp_targetILNS1_3genE0ELNS1_11target_archE4294967295ELNS1_3gpuE0ELNS1_3repE0EEENS1_30default_config_static_selectorELNS0_4arch9wavefront6targetE0EEEvSV_.num_named_barrier, 0
	.set _ZN7rocprim17ROCPRIM_400000_NS6detail17trampoline_kernelINS0_14default_configENS1_27upper_bound_config_selectorIilEEZNS1_14transform_implILb0ES3_S5_N6thrust23THRUST_200600_302600_NS6detail15normal_iteratorINS8_7pointerIiNS8_11hip_rocprim3tagENS8_11use_defaultESE_EEEENSA_INSB_IlSD_SE_SE_EEEEZNS1_13binary_searchIS3_S5_NSA_INSB_IiSD_RiSE_EEEESG_SI_NS1_21upper_bound_search_opENS9_16wrapped_functionINS8_7greaterIiEEbEEEE10hipError_tPvRmT1_T2_T3_mmT4_T5_P12ihipStream_tbEUlRKiE_EESS_SW_SX_mSY_S11_bEUlT_E_NS1_11comp_targetILNS1_3genE0ELNS1_11target_archE4294967295ELNS1_3gpuE0ELNS1_3repE0EEENS1_30default_config_static_selectorELNS0_4arch9wavefront6targetE0EEEvSV_.private_seg_size, 0
	.set _ZN7rocprim17ROCPRIM_400000_NS6detail17trampoline_kernelINS0_14default_configENS1_27upper_bound_config_selectorIilEEZNS1_14transform_implILb0ES3_S5_N6thrust23THRUST_200600_302600_NS6detail15normal_iteratorINS8_7pointerIiNS8_11hip_rocprim3tagENS8_11use_defaultESE_EEEENSA_INSB_IlSD_SE_SE_EEEEZNS1_13binary_searchIS3_S5_NSA_INSB_IiSD_RiSE_EEEESG_SI_NS1_21upper_bound_search_opENS9_16wrapped_functionINS8_7greaterIiEEbEEEE10hipError_tPvRmT1_T2_T3_mmT4_T5_P12ihipStream_tbEUlRKiE_EESS_SW_SX_mSY_S11_bEUlT_E_NS1_11comp_targetILNS1_3genE0ELNS1_11target_archE4294967295ELNS1_3gpuE0ELNS1_3repE0EEENS1_30default_config_static_selectorELNS0_4arch9wavefront6targetE0EEEvSV_.uses_vcc, 1
	.set _ZN7rocprim17ROCPRIM_400000_NS6detail17trampoline_kernelINS0_14default_configENS1_27upper_bound_config_selectorIilEEZNS1_14transform_implILb0ES3_S5_N6thrust23THRUST_200600_302600_NS6detail15normal_iteratorINS8_7pointerIiNS8_11hip_rocprim3tagENS8_11use_defaultESE_EEEENSA_INSB_IlSD_SE_SE_EEEEZNS1_13binary_searchIS3_S5_NSA_INSB_IiSD_RiSE_EEEESG_SI_NS1_21upper_bound_search_opENS9_16wrapped_functionINS8_7greaterIiEEbEEEE10hipError_tPvRmT1_T2_T3_mmT4_T5_P12ihipStream_tbEUlRKiE_EESS_SW_SX_mSY_S11_bEUlT_E_NS1_11comp_targetILNS1_3genE0ELNS1_11target_archE4294967295ELNS1_3gpuE0ELNS1_3repE0EEENS1_30default_config_static_selectorELNS0_4arch9wavefront6targetE0EEEvSV_.uses_flat_scratch, 0
	.set _ZN7rocprim17ROCPRIM_400000_NS6detail17trampoline_kernelINS0_14default_configENS1_27upper_bound_config_selectorIilEEZNS1_14transform_implILb0ES3_S5_N6thrust23THRUST_200600_302600_NS6detail15normal_iteratorINS8_7pointerIiNS8_11hip_rocprim3tagENS8_11use_defaultESE_EEEENSA_INSB_IlSD_SE_SE_EEEEZNS1_13binary_searchIS3_S5_NSA_INSB_IiSD_RiSE_EEEESG_SI_NS1_21upper_bound_search_opENS9_16wrapped_functionINS8_7greaterIiEEbEEEE10hipError_tPvRmT1_T2_T3_mmT4_T5_P12ihipStream_tbEUlRKiE_EESS_SW_SX_mSY_S11_bEUlT_E_NS1_11comp_targetILNS1_3genE0ELNS1_11target_archE4294967295ELNS1_3gpuE0ELNS1_3repE0EEENS1_30default_config_static_selectorELNS0_4arch9wavefront6targetE0EEEvSV_.has_dyn_sized_stack, 0
	.set _ZN7rocprim17ROCPRIM_400000_NS6detail17trampoline_kernelINS0_14default_configENS1_27upper_bound_config_selectorIilEEZNS1_14transform_implILb0ES3_S5_N6thrust23THRUST_200600_302600_NS6detail15normal_iteratorINS8_7pointerIiNS8_11hip_rocprim3tagENS8_11use_defaultESE_EEEENSA_INSB_IlSD_SE_SE_EEEEZNS1_13binary_searchIS3_S5_NSA_INSB_IiSD_RiSE_EEEESG_SI_NS1_21upper_bound_search_opENS9_16wrapped_functionINS8_7greaterIiEEbEEEE10hipError_tPvRmT1_T2_T3_mmT4_T5_P12ihipStream_tbEUlRKiE_EESS_SW_SX_mSY_S11_bEUlT_E_NS1_11comp_targetILNS1_3genE0ELNS1_11target_archE4294967295ELNS1_3gpuE0ELNS1_3repE0EEENS1_30default_config_static_selectorELNS0_4arch9wavefront6targetE0EEEvSV_.has_recursion, 0
	.set _ZN7rocprim17ROCPRIM_400000_NS6detail17trampoline_kernelINS0_14default_configENS1_27upper_bound_config_selectorIilEEZNS1_14transform_implILb0ES3_S5_N6thrust23THRUST_200600_302600_NS6detail15normal_iteratorINS8_7pointerIiNS8_11hip_rocprim3tagENS8_11use_defaultESE_EEEENSA_INSB_IlSD_SE_SE_EEEEZNS1_13binary_searchIS3_S5_NSA_INSB_IiSD_RiSE_EEEESG_SI_NS1_21upper_bound_search_opENS9_16wrapped_functionINS8_7greaterIiEEbEEEE10hipError_tPvRmT1_T2_T3_mmT4_T5_P12ihipStream_tbEUlRKiE_EESS_SW_SX_mSY_S11_bEUlT_E_NS1_11comp_targetILNS1_3genE0ELNS1_11target_archE4294967295ELNS1_3gpuE0ELNS1_3repE0EEENS1_30default_config_static_selectorELNS0_4arch9wavefront6targetE0EEEvSV_.has_indirect_call, 0
	.section	.AMDGPU.csdata,"",@progbits
; Kernel info:
; codeLenInByte = 620
; TotalNumSgprs: 20
; NumVgprs: 11
; ScratchSize: 0
; MemoryBound: 0
; FloatMode: 240
; IeeeMode: 1
; LDSByteSize: 0 bytes/workgroup (compile time only)
; SGPRBlocks: 0
; VGPRBlocks: 0
; NumSGPRsForWavesPerEU: 20
; NumVGPRsForWavesPerEU: 11
; NamedBarCnt: 0
; Occupancy: 16
; WaveLimiterHint : 0
; COMPUTE_PGM_RSRC2:SCRATCH_EN: 0
; COMPUTE_PGM_RSRC2:USER_SGPR: 2
; COMPUTE_PGM_RSRC2:TRAP_HANDLER: 0
; COMPUTE_PGM_RSRC2:TGID_X_EN: 1
; COMPUTE_PGM_RSRC2:TGID_Y_EN: 0
; COMPUTE_PGM_RSRC2:TGID_Z_EN: 0
; COMPUTE_PGM_RSRC2:TIDIG_COMP_CNT: 0
	.section	.text._ZN7rocprim17ROCPRIM_400000_NS6detail17trampoline_kernelINS0_14default_configENS1_27upper_bound_config_selectorIilEEZNS1_14transform_implILb0ES3_S5_N6thrust23THRUST_200600_302600_NS6detail15normal_iteratorINS8_7pointerIiNS8_11hip_rocprim3tagENS8_11use_defaultESE_EEEENSA_INSB_IlSD_SE_SE_EEEEZNS1_13binary_searchIS3_S5_NSA_INSB_IiSD_RiSE_EEEESG_SI_NS1_21upper_bound_search_opENS9_16wrapped_functionINS8_7greaterIiEEbEEEE10hipError_tPvRmT1_T2_T3_mmT4_T5_P12ihipStream_tbEUlRKiE_EESS_SW_SX_mSY_S11_bEUlT_E_NS1_11comp_targetILNS1_3genE5ELNS1_11target_archE942ELNS1_3gpuE9ELNS1_3repE0EEENS1_30default_config_static_selectorELNS0_4arch9wavefront6targetE0EEEvSV_,"axG",@progbits,_ZN7rocprim17ROCPRIM_400000_NS6detail17trampoline_kernelINS0_14default_configENS1_27upper_bound_config_selectorIilEEZNS1_14transform_implILb0ES3_S5_N6thrust23THRUST_200600_302600_NS6detail15normal_iteratorINS8_7pointerIiNS8_11hip_rocprim3tagENS8_11use_defaultESE_EEEENSA_INSB_IlSD_SE_SE_EEEEZNS1_13binary_searchIS3_S5_NSA_INSB_IiSD_RiSE_EEEESG_SI_NS1_21upper_bound_search_opENS9_16wrapped_functionINS8_7greaterIiEEbEEEE10hipError_tPvRmT1_T2_T3_mmT4_T5_P12ihipStream_tbEUlRKiE_EESS_SW_SX_mSY_S11_bEUlT_E_NS1_11comp_targetILNS1_3genE5ELNS1_11target_archE942ELNS1_3gpuE9ELNS1_3repE0EEENS1_30default_config_static_selectorELNS0_4arch9wavefront6targetE0EEEvSV_,comdat
	.protected	_ZN7rocprim17ROCPRIM_400000_NS6detail17trampoline_kernelINS0_14default_configENS1_27upper_bound_config_selectorIilEEZNS1_14transform_implILb0ES3_S5_N6thrust23THRUST_200600_302600_NS6detail15normal_iteratorINS8_7pointerIiNS8_11hip_rocprim3tagENS8_11use_defaultESE_EEEENSA_INSB_IlSD_SE_SE_EEEEZNS1_13binary_searchIS3_S5_NSA_INSB_IiSD_RiSE_EEEESG_SI_NS1_21upper_bound_search_opENS9_16wrapped_functionINS8_7greaterIiEEbEEEE10hipError_tPvRmT1_T2_T3_mmT4_T5_P12ihipStream_tbEUlRKiE_EESS_SW_SX_mSY_S11_bEUlT_E_NS1_11comp_targetILNS1_3genE5ELNS1_11target_archE942ELNS1_3gpuE9ELNS1_3repE0EEENS1_30default_config_static_selectorELNS0_4arch9wavefront6targetE0EEEvSV_ ; -- Begin function _ZN7rocprim17ROCPRIM_400000_NS6detail17trampoline_kernelINS0_14default_configENS1_27upper_bound_config_selectorIilEEZNS1_14transform_implILb0ES3_S5_N6thrust23THRUST_200600_302600_NS6detail15normal_iteratorINS8_7pointerIiNS8_11hip_rocprim3tagENS8_11use_defaultESE_EEEENSA_INSB_IlSD_SE_SE_EEEEZNS1_13binary_searchIS3_S5_NSA_INSB_IiSD_RiSE_EEEESG_SI_NS1_21upper_bound_search_opENS9_16wrapped_functionINS8_7greaterIiEEbEEEE10hipError_tPvRmT1_T2_T3_mmT4_T5_P12ihipStream_tbEUlRKiE_EESS_SW_SX_mSY_S11_bEUlT_E_NS1_11comp_targetILNS1_3genE5ELNS1_11target_archE942ELNS1_3gpuE9ELNS1_3repE0EEENS1_30default_config_static_selectorELNS0_4arch9wavefront6targetE0EEEvSV_
	.globl	_ZN7rocprim17ROCPRIM_400000_NS6detail17trampoline_kernelINS0_14default_configENS1_27upper_bound_config_selectorIilEEZNS1_14transform_implILb0ES3_S5_N6thrust23THRUST_200600_302600_NS6detail15normal_iteratorINS8_7pointerIiNS8_11hip_rocprim3tagENS8_11use_defaultESE_EEEENSA_INSB_IlSD_SE_SE_EEEEZNS1_13binary_searchIS3_S5_NSA_INSB_IiSD_RiSE_EEEESG_SI_NS1_21upper_bound_search_opENS9_16wrapped_functionINS8_7greaterIiEEbEEEE10hipError_tPvRmT1_T2_T3_mmT4_T5_P12ihipStream_tbEUlRKiE_EESS_SW_SX_mSY_S11_bEUlT_E_NS1_11comp_targetILNS1_3genE5ELNS1_11target_archE942ELNS1_3gpuE9ELNS1_3repE0EEENS1_30default_config_static_selectorELNS0_4arch9wavefront6targetE0EEEvSV_
	.p2align	8
	.type	_ZN7rocprim17ROCPRIM_400000_NS6detail17trampoline_kernelINS0_14default_configENS1_27upper_bound_config_selectorIilEEZNS1_14transform_implILb0ES3_S5_N6thrust23THRUST_200600_302600_NS6detail15normal_iteratorINS8_7pointerIiNS8_11hip_rocprim3tagENS8_11use_defaultESE_EEEENSA_INSB_IlSD_SE_SE_EEEEZNS1_13binary_searchIS3_S5_NSA_INSB_IiSD_RiSE_EEEESG_SI_NS1_21upper_bound_search_opENS9_16wrapped_functionINS8_7greaterIiEEbEEEE10hipError_tPvRmT1_T2_T3_mmT4_T5_P12ihipStream_tbEUlRKiE_EESS_SW_SX_mSY_S11_bEUlT_E_NS1_11comp_targetILNS1_3genE5ELNS1_11target_archE942ELNS1_3gpuE9ELNS1_3repE0EEENS1_30default_config_static_selectorELNS0_4arch9wavefront6targetE0EEEvSV_,@function
_ZN7rocprim17ROCPRIM_400000_NS6detail17trampoline_kernelINS0_14default_configENS1_27upper_bound_config_selectorIilEEZNS1_14transform_implILb0ES3_S5_N6thrust23THRUST_200600_302600_NS6detail15normal_iteratorINS8_7pointerIiNS8_11hip_rocprim3tagENS8_11use_defaultESE_EEEENSA_INSB_IlSD_SE_SE_EEEEZNS1_13binary_searchIS3_S5_NSA_INSB_IiSD_RiSE_EEEESG_SI_NS1_21upper_bound_search_opENS9_16wrapped_functionINS8_7greaterIiEEbEEEE10hipError_tPvRmT1_T2_T3_mmT4_T5_P12ihipStream_tbEUlRKiE_EESS_SW_SX_mSY_S11_bEUlT_E_NS1_11comp_targetILNS1_3genE5ELNS1_11target_archE942ELNS1_3gpuE9ELNS1_3repE0EEENS1_30default_config_static_selectorELNS0_4arch9wavefront6targetE0EEEvSV_: ; @_ZN7rocprim17ROCPRIM_400000_NS6detail17trampoline_kernelINS0_14default_configENS1_27upper_bound_config_selectorIilEEZNS1_14transform_implILb0ES3_S5_N6thrust23THRUST_200600_302600_NS6detail15normal_iteratorINS8_7pointerIiNS8_11hip_rocprim3tagENS8_11use_defaultESE_EEEENSA_INSB_IlSD_SE_SE_EEEEZNS1_13binary_searchIS3_S5_NSA_INSB_IiSD_RiSE_EEEESG_SI_NS1_21upper_bound_search_opENS9_16wrapped_functionINS8_7greaterIiEEbEEEE10hipError_tPvRmT1_T2_T3_mmT4_T5_P12ihipStream_tbEUlRKiE_EESS_SW_SX_mSY_S11_bEUlT_E_NS1_11comp_targetILNS1_3genE5ELNS1_11target_archE942ELNS1_3gpuE9ELNS1_3repE0EEENS1_30default_config_static_selectorELNS0_4arch9wavefront6targetE0EEEvSV_
; %bb.0:
	.section	.rodata,"a",@progbits
	.p2align	6, 0x0
	.amdhsa_kernel _ZN7rocprim17ROCPRIM_400000_NS6detail17trampoline_kernelINS0_14default_configENS1_27upper_bound_config_selectorIilEEZNS1_14transform_implILb0ES3_S5_N6thrust23THRUST_200600_302600_NS6detail15normal_iteratorINS8_7pointerIiNS8_11hip_rocprim3tagENS8_11use_defaultESE_EEEENSA_INSB_IlSD_SE_SE_EEEEZNS1_13binary_searchIS3_S5_NSA_INSB_IiSD_RiSE_EEEESG_SI_NS1_21upper_bound_search_opENS9_16wrapped_functionINS8_7greaterIiEEbEEEE10hipError_tPvRmT1_T2_T3_mmT4_T5_P12ihipStream_tbEUlRKiE_EESS_SW_SX_mSY_S11_bEUlT_E_NS1_11comp_targetILNS1_3genE5ELNS1_11target_archE942ELNS1_3gpuE9ELNS1_3repE0EEENS1_30default_config_static_selectorELNS0_4arch9wavefront6targetE0EEEvSV_
		.amdhsa_group_segment_fixed_size 0
		.amdhsa_private_segment_fixed_size 0
		.amdhsa_kernarg_size 56
		.amdhsa_user_sgpr_count 2
		.amdhsa_user_sgpr_dispatch_ptr 0
		.amdhsa_user_sgpr_queue_ptr 0
		.amdhsa_user_sgpr_kernarg_segment_ptr 1
		.amdhsa_user_sgpr_dispatch_id 0
		.amdhsa_user_sgpr_kernarg_preload_length 0
		.amdhsa_user_sgpr_kernarg_preload_offset 0
		.amdhsa_user_sgpr_private_segment_size 0
		.amdhsa_wavefront_size32 1
		.amdhsa_uses_dynamic_stack 0
		.amdhsa_enable_private_segment 0
		.amdhsa_system_sgpr_workgroup_id_x 1
		.amdhsa_system_sgpr_workgroup_id_y 0
		.amdhsa_system_sgpr_workgroup_id_z 0
		.amdhsa_system_sgpr_workgroup_info 0
		.amdhsa_system_vgpr_workitem_id 0
		.amdhsa_next_free_vgpr 1
		.amdhsa_next_free_sgpr 1
		.amdhsa_named_barrier_count 0
		.amdhsa_reserve_vcc 0
		.amdhsa_float_round_mode_32 0
		.amdhsa_float_round_mode_16_64 0
		.amdhsa_float_denorm_mode_32 3
		.amdhsa_float_denorm_mode_16_64 3
		.amdhsa_fp16_overflow 0
		.amdhsa_memory_ordered 1
		.amdhsa_forward_progress 1
		.amdhsa_inst_pref_size 0
		.amdhsa_round_robin_scheduling 0
		.amdhsa_exception_fp_ieee_invalid_op 0
		.amdhsa_exception_fp_denorm_src 0
		.amdhsa_exception_fp_ieee_div_zero 0
		.amdhsa_exception_fp_ieee_overflow 0
		.amdhsa_exception_fp_ieee_underflow 0
		.amdhsa_exception_fp_ieee_inexact 0
		.amdhsa_exception_int_div_zero 0
	.end_amdhsa_kernel
	.section	.text._ZN7rocprim17ROCPRIM_400000_NS6detail17trampoline_kernelINS0_14default_configENS1_27upper_bound_config_selectorIilEEZNS1_14transform_implILb0ES3_S5_N6thrust23THRUST_200600_302600_NS6detail15normal_iteratorINS8_7pointerIiNS8_11hip_rocprim3tagENS8_11use_defaultESE_EEEENSA_INSB_IlSD_SE_SE_EEEEZNS1_13binary_searchIS3_S5_NSA_INSB_IiSD_RiSE_EEEESG_SI_NS1_21upper_bound_search_opENS9_16wrapped_functionINS8_7greaterIiEEbEEEE10hipError_tPvRmT1_T2_T3_mmT4_T5_P12ihipStream_tbEUlRKiE_EESS_SW_SX_mSY_S11_bEUlT_E_NS1_11comp_targetILNS1_3genE5ELNS1_11target_archE942ELNS1_3gpuE9ELNS1_3repE0EEENS1_30default_config_static_selectorELNS0_4arch9wavefront6targetE0EEEvSV_,"axG",@progbits,_ZN7rocprim17ROCPRIM_400000_NS6detail17trampoline_kernelINS0_14default_configENS1_27upper_bound_config_selectorIilEEZNS1_14transform_implILb0ES3_S5_N6thrust23THRUST_200600_302600_NS6detail15normal_iteratorINS8_7pointerIiNS8_11hip_rocprim3tagENS8_11use_defaultESE_EEEENSA_INSB_IlSD_SE_SE_EEEEZNS1_13binary_searchIS3_S5_NSA_INSB_IiSD_RiSE_EEEESG_SI_NS1_21upper_bound_search_opENS9_16wrapped_functionINS8_7greaterIiEEbEEEE10hipError_tPvRmT1_T2_T3_mmT4_T5_P12ihipStream_tbEUlRKiE_EESS_SW_SX_mSY_S11_bEUlT_E_NS1_11comp_targetILNS1_3genE5ELNS1_11target_archE942ELNS1_3gpuE9ELNS1_3repE0EEENS1_30default_config_static_selectorELNS0_4arch9wavefront6targetE0EEEvSV_,comdat
.Lfunc_end132:
	.size	_ZN7rocprim17ROCPRIM_400000_NS6detail17trampoline_kernelINS0_14default_configENS1_27upper_bound_config_selectorIilEEZNS1_14transform_implILb0ES3_S5_N6thrust23THRUST_200600_302600_NS6detail15normal_iteratorINS8_7pointerIiNS8_11hip_rocprim3tagENS8_11use_defaultESE_EEEENSA_INSB_IlSD_SE_SE_EEEEZNS1_13binary_searchIS3_S5_NSA_INSB_IiSD_RiSE_EEEESG_SI_NS1_21upper_bound_search_opENS9_16wrapped_functionINS8_7greaterIiEEbEEEE10hipError_tPvRmT1_T2_T3_mmT4_T5_P12ihipStream_tbEUlRKiE_EESS_SW_SX_mSY_S11_bEUlT_E_NS1_11comp_targetILNS1_3genE5ELNS1_11target_archE942ELNS1_3gpuE9ELNS1_3repE0EEENS1_30default_config_static_selectorELNS0_4arch9wavefront6targetE0EEEvSV_, .Lfunc_end132-_ZN7rocprim17ROCPRIM_400000_NS6detail17trampoline_kernelINS0_14default_configENS1_27upper_bound_config_selectorIilEEZNS1_14transform_implILb0ES3_S5_N6thrust23THRUST_200600_302600_NS6detail15normal_iteratorINS8_7pointerIiNS8_11hip_rocprim3tagENS8_11use_defaultESE_EEEENSA_INSB_IlSD_SE_SE_EEEEZNS1_13binary_searchIS3_S5_NSA_INSB_IiSD_RiSE_EEEESG_SI_NS1_21upper_bound_search_opENS9_16wrapped_functionINS8_7greaterIiEEbEEEE10hipError_tPvRmT1_T2_T3_mmT4_T5_P12ihipStream_tbEUlRKiE_EESS_SW_SX_mSY_S11_bEUlT_E_NS1_11comp_targetILNS1_3genE5ELNS1_11target_archE942ELNS1_3gpuE9ELNS1_3repE0EEENS1_30default_config_static_selectorELNS0_4arch9wavefront6targetE0EEEvSV_
                                        ; -- End function
	.set _ZN7rocprim17ROCPRIM_400000_NS6detail17trampoline_kernelINS0_14default_configENS1_27upper_bound_config_selectorIilEEZNS1_14transform_implILb0ES3_S5_N6thrust23THRUST_200600_302600_NS6detail15normal_iteratorINS8_7pointerIiNS8_11hip_rocprim3tagENS8_11use_defaultESE_EEEENSA_INSB_IlSD_SE_SE_EEEEZNS1_13binary_searchIS3_S5_NSA_INSB_IiSD_RiSE_EEEESG_SI_NS1_21upper_bound_search_opENS9_16wrapped_functionINS8_7greaterIiEEbEEEE10hipError_tPvRmT1_T2_T3_mmT4_T5_P12ihipStream_tbEUlRKiE_EESS_SW_SX_mSY_S11_bEUlT_E_NS1_11comp_targetILNS1_3genE5ELNS1_11target_archE942ELNS1_3gpuE9ELNS1_3repE0EEENS1_30default_config_static_selectorELNS0_4arch9wavefront6targetE0EEEvSV_.num_vgpr, 0
	.set _ZN7rocprim17ROCPRIM_400000_NS6detail17trampoline_kernelINS0_14default_configENS1_27upper_bound_config_selectorIilEEZNS1_14transform_implILb0ES3_S5_N6thrust23THRUST_200600_302600_NS6detail15normal_iteratorINS8_7pointerIiNS8_11hip_rocprim3tagENS8_11use_defaultESE_EEEENSA_INSB_IlSD_SE_SE_EEEEZNS1_13binary_searchIS3_S5_NSA_INSB_IiSD_RiSE_EEEESG_SI_NS1_21upper_bound_search_opENS9_16wrapped_functionINS8_7greaterIiEEbEEEE10hipError_tPvRmT1_T2_T3_mmT4_T5_P12ihipStream_tbEUlRKiE_EESS_SW_SX_mSY_S11_bEUlT_E_NS1_11comp_targetILNS1_3genE5ELNS1_11target_archE942ELNS1_3gpuE9ELNS1_3repE0EEENS1_30default_config_static_selectorELNS0_4arch9wavefront6targetE0EEEvSV_.num_agpr, 0
	.set _ZN7rocprim17ROCPRIM_400000_NS6detail17trampoline_kernelINS0_14default_configENS1_27upper_bound_config_selectorIilEEZNS1_14transform_implILb0ES3_S5_N6thrust23THRUST_200600_302600_NS6detail15normal_iteratorINS8_7pointerIiNS8_11hip_rocprim3tagENS8_11use_defaultESE_EEEENSA_INSB_IlSD_SE_SE_EEEEZNS1_13binary_searchIS3_S5_NSA_INSB_IiSD_RiSE_EEEESG_SI_NS1_21upper_bound_search_opENS9_16wrapped_functionINS8_7greaterIiEEbEEEE10hipError_tPvRmT1_T2_T3_mmT4_T5_P12ihipStream_tbEUlRKiE_EESS_SW_SX_mSY_S11_bEUlT_E_NS1_11comp_targetILNS1_3genE5ELNS1_11target_archE942ELNS1_3gpuE9ELNS1_3repE0EEENS1_30default_config_static_selectorELNS0_4arch9wavefront6targetE0EEEvSV_.numbered_sgpr, 0
	.set _ZN7rocprim17ROCPRIM_400000_NS6detail17trampoline_kernelINS0_14default_configENS1_27upper_bound_config_selectorIilEEZNS1_14transform_implILb0ES3_S5_N6thrust23THRUST_200600_302600_NS6detail15normal_iteratorINS8_7pointerIiNS8_11hip_rocprim3tagENS8_11use_defaultESE_EEEENSA_INSB_IlSD_SE_SE_EEEEZNS1_13binary_searchIS3_S5_NSA_INSB_IiSD_RiSE_EEEESG_SI_NS1_21upper_bound_search_opENS9_16wrapped_functionINS8_7greaterIiEEbEEEE10hipError_tPvRmT1_T2_T3_mmT4_T5_P12ihipStream_tbEUlRKiE_EESS_SW_SX_mSY_S11_bEUlT_E_NS1_11comp_targetILNS1_3genE5ELNS1_11target_archE942ELNS1_3gpuE9ELNS1_3repE0EEENS1_30default_config_static_selectorELNS0_4arch9wavefront6targetE0EEEvSV_.num_named_barrier, 0
	.set _ZN7rocprim17ROCPRIM_400000_NS6detail17trampoline_kernelINS0_14default_configENS1_27upper_bound_config_selectorIilEEZNS1_14transform_implILb0ES3_S5_N6thrust23THRUST_200600_302600_NS6detail15normal_iteratorINS8_7pointerIiNS8_11hip_rocprim3tagENS8_11use_defaultESE_EEEENSA_INSB_IlSD_SE_SE_EEEEZNS1_13binary_searchIS3_S5_NSA_INSB_IiSD_RiSE_EEEESG_SI_NS1_21upper_bound_search_opENS9_16wrapped_functionINS8_7greaterIiEEbEEEE10hipError_tPvRmT1_T2_T3_mmT4_T5_P12ihipStream_tbEUlRKiE_EESS_SW_SX_mSY_S11_bEUlT_E_NS1_11comp_targetILNS1_3genE5ELNS1_11target_archE942ELNS1_3gpuE9ELNS1_3repE0EEENS1_30default_config_static_selectorELNS0_4arch9wavefront6targetE0EEEvSV_.private_seg_size, 0
	.set _ZN7rocprim17ROCPRIM_400000_NS6detail17trampoline_kernelINS0_14default_configENS1_27upper_bound_config_selectorIilEEZNS1_14transform_implILb0ES3_S5_N6thrust23THRUST_200600_302600_NS6detail15normal_iteratorINS8_7pointerIiNS8_11hip_rocprim3tagENS8_11use_defaultESE_EEEENSA_INSB_IlSD_SE_SE_EEEEZNS1_13binary_searchIS3_S5_NSA_INSB_IiSD_RiSE_EEEESG_SI_NS1_21upper_bound_search_opENS9_16wrapped_functionINS8_7greaterIiEEbEEEE10hipError_tPvRmT1_T2_T3_mmT4_T5_P12ihipStream_tbEUlRKiE_EESS_SW_SX_mSY_S11_bEUlT_E_NS1_11comp_targetILNS1_3genE5ELNS1_11target_archE942ELNS1_3gpuE9ELNS1_3repE0EEENS1_30default_config_static_selectorELNS0_4arch9wavefront6targetE0EEEvSV_.uses_vcc, 0
	.set _ZN7rocprim17ROCPRIM_400000_NS6detail17trampoline_kernelINS0_14default_configENS1_27upper_bound_config_selectorIilEEZNS1_14transform_implILb0ES3_S5_N6thrust23THRUST_200600_302600_NS6detail15normal_iteratorINS8_7pointerIiNS8_11hip_rocprim3tagENS8_11use_defaultESE_EEEENSA_INSB_IlSD_SE_SE_EEEEZNS1_13binary_searchIS3_S5_NSA_INSB_IiSD_RiSE_EEEESG_SI_NS1_21upper_bound_search_opENS9_16wrapped_functionINS8_7greaterIiEEbEEEE10hipError_tPvRmT1_T2_T3_mmT4_T5_P12ihipStream_tbEUlRKiE_EESS_SW_SX_mSY_S11_bEUlT_E_NS1_11comp_targetILNS1_3genE5ELNS1_11target_archE942ELNS1_3gpuE9ELNS1_3repE0EEENS1_30default_config_static_selectorELNS0_4arch9wavefront6targetE0EEEvSV_.uses_flat_scratch, 0
	.set _ZN7rocprim17ROCPRIM_400000_NS6detail17trampoline_kernelINS0_14default_configENS1_27upper_bound_config_selectorIilEEZNS1_14transform_implILb0ES3_S5_N6thrust23THRUST_200600_302600_NS6detail15normal_iteratorINS8_7pointerIiNS8_11hip_rocprim3tagENS8_11use_defaultESE_EEEENSA_INSB_IlSD_SE_SE_EEEEZNS1_13binary_searchIS3_S5_NSA_INSB_IiSD_RiSE_EEEESG_SI_NS1_21upper_bound_search_opENS9_16wrapped_functionINS8_7greaterIiEEbEEEE10hipError_tPvRmT1_T2_T3_mmT4_T5_P12ihipStream_tbEUlRKiE_EESS_SW_SX_mSY_S11_bEUlT_E_NS1_11comp_targetILNS1_3genE5ELNS1_11target_archE942ELNS1_3gpuE9ELNS1_3repE0EEENS1_30default_config_static_selectorELNS0_4arch9wavefront6targetE0EEEvSV_.has_dyn_sized_stack, 0
	.set _ZN7rocprim17ROCPRIM_400000_NS6detail17trampoline_kernelINS0_14default_configENS1_27upper_bound_config_selectorIilEEZNS1_14transform_implILb0ES3_S5_N6thrust23THRUST_200600_302600_NS6detail15normal_iteratorINS8_7pointerIiNS8_11hip_rocprim3tagENS8_11use_defaultESE_EEEENSA_INSB_IlSD_SE_SE_EEEEZNS1_13binary_searchIS3_S5_NSA_INSB_IiSD_RiSE_EEEESG_SI_NS1_21upper_bound_search_opENS9_16wrapped_functionINS8_7greaterIiEEbEEEE10hipError_tPvRmT1_T2_T3_mmT4_T5_P12ihipStream_tbEUlRKiE_EESS_SW_SX_mSY_S11_bEUlT_E_NS1_11comp_targetILNS1_3genE5ELNS1_11target_archE942ELNS1_3gpuE9ELNS1_3repE0EEENS1_30default_config_static_selectorELNS0_4arch9wavefront6targetE0EEEvSV_.has_recursion, 0
	.set _ZN7rocprim17ROCPRIM_400000_NS6detail17trampoline_kernelINS0_14default_configENS1_27upper_bound_config_selectorIilEEZNS1_14transform_implILb0ES3_S5_N6thrust23THRUST_200600_302600_NS6detail15normal_iteratorINS8_7pointerIiNS8_11hip_rocprim3tagENS8_11use_defaultESE_EEEENSA_INSB_IlSD_SE_SE_EEEEZNS1_13binary_searchIS3_S5_NSA_INSB_IiSD_RiSE_EEEESG_SI_NS1_21upper_bound_search_opENS9_16wrapped_functionINS8_7greaterIiEEbEEEE10hipError_tPvRmT1_T2_T3_mmT4_T5_P12ihipStream_tbEUlRKiE_EESS_SW_SX_mSY_S11_bEUlT_E_NS1_11comp_targetILNS1_3genE5ELNS1_11target_archE942ELNS1_3gpuE9ELNS1_3repE0EEENS1_30default_config_static_selectorELNS0_4arch9wavefront6targetE0EEEvSV_.has_indirect_call, 0
	.section	.AMDGPU.csdata,"",@progbits
; Kernel info:
; codeLenInByte = 0
; TotalNumSgprs: 0
; NumVgprs: 0
; ScratchSize: 0
; MemoryBound: 0
; FloatMode: 240
; IeeeMode: 1
; LDSByteSize: 0 bytes/workgroup (compile time only)
; SGPRBlocks: 0
; VGPRBlocks: 0
; NumSGPRsForWavesPerEU: 1
; NumVGPRsForWavesPerEU: 1
; NamedBarCnt: 0
; Occupancy: 16
; WaveLimiterHint : 0
; COMPUTE_PGM_RSRC2:SCRATCH_EN: 0
; COMPUTE_PGM_RSRC2:USER_SGPR: 2
; COMPUTE_PGM_RSRC2:TRAP_HANDLER: 0
; COMPUTE_PGM_RSRC2:TGID_X_EN: 1
; COMPUTE_PGM_RSRC2:TGID_Y_EN: 0
; COMPUTE_PGM_RSRC2:TGID_Z_EN: 0
; COMPUTE_PGM_RSRC2:TIDIG_COMP_CNT: 0
	.section	.text._ZN7rocprim17ROCPRIM_400000_NS6detail17trampoline_kernelINS0_14default_configENS1_27upper_bound_config_selectorIilEEZNS1_14transform_implILb0ES3_S5_N6thrust23THRUST_200600_302600_NS6detail15normal_iteratorINS8_7pointerIiNS8_11hip_rocprim3tagENS8_11use_defaultESE_EEEENSA_INSB_IlSD_SE_SE_EEEEZNS1_13binary_searchIS3_S5_NSA_INSB_IiSD_RiSE_EEEESG_SI_NS1_21upper_bound_search_opENS9_16wrapped_functionINS8_7greaterIiEEbEEEE10hipError_tPvRmT1_T2_T3_mmT4_T5_P12ihipStream_tbEUlRKiE_EESS_SW_SX_mSY_S11_bEUlT_E_NS1_11comp_targetILNS1_3genE4ELNS1_11target_archE910ELNS1_3gpuE8ELNS1_3repE0EEENS1_30default_config_static_selectorELNS0_4arch9wavefront6targetE0EEEvSV_,"axG",@progbits,_ZN7rocprim17ROCPRIM_400000_NS6detail17trampoline_kernelINS0_14default_configENS1_27upper_bound_config_selectorIilEEZNS1_14transform_implILb0ES3_S5_N6thrust23THRUST_200600_302600_NS6detail15normal_iteratorINS8_7pointerIiNS8_11hip_rocprim3tagENS8_11use_defaultESE_EEEENSA_INSB_IlSD_SE_SE_EEEEZNS1_13binary_searchIS3_S5_NSA_INSB_IiSD_RiSE_EEEESG_SI_NS1_21upper_bound_search_opENS9_16wrapped_functionINS8_7greaterIiEEbEEEE10hipError_tPvRmT1_T2_T3_mmT4_T5_P12ihipStream_tbEUlRKiE_EESS_SW_SX_mSY_S11_bEUlT_E_NS1_11comp_targetILNS1_3genE4ELNS1_11target_archE910ELNS1_3gpuE8ELNS1_3repE0EEENS1_30default_config_static_selectorELNS0_4arch9wavefront6targetE0EEEvSV_,comdat
	.protected	_ZN7rocprim17ROCPRIM_400000_NS6detail17trampoline_kernelINS0_14default_configENS1_27upper_bound_config_selectorIilEEZNS1_14transform_implILb0ES3_S5_N6thrust23THRUST_200600_302600_NS6detail15normal_iteratorINS8_7pointerIiNS8_11hip_rocprim3tagENS8_11use_defaultESE_EEEENSA_INSB_IlSD_SE_SE_EEEEZNS1_13binary_searchIS3_S5_NSA_INSB_IiSD_RiSE_EEEESG_SI_NS1_21upper_bound_search_opENS9_16wrapped_functionINS8_7greaterIiEEbEEEE10hipError_tPvRmT1_T2_T3_mmT4_T5_P12ihipStream_tbEUlRKiE_EESS_SW_SX_mSY_S11_bEUlT_E_NS1_11comp_targetILNS1_3genE4ELNS1_11target_archE910ELNS1_3gpuE8ELNS1_3repE0EEENS1_30default_config_static_selectorELNS0_4arch9wavefront6targetE0EEEvSV_ ; -- Begin function _ZN7rocprim17ROCPRIM_400000_NS6detail17trampoline_kernelINS0_14default_configENS1_27upper_bound_config_selectorIilEEZNS1_14transform_implILb0ES3_S5_N6thrust23THRUST_200600_302600_NS6detail15normal_iteratorINS8_7pointerIiNS8_11hip_rocprim3tagENS8_11use_defaultESE_EEEENSA_INSB_IlSD_SE_SE_EEEEZNS1_13binary_searchIS3_S5_NSA_INSB_IiSD_RiSE_EEEESG_SI_NS1_21upper_bound_search_opENS9_16wrapped_functionINS8_7greaterIiEEbEEEE10hipError_tPvRmT1_T2_T3_mmT4_T5_P12ihipStream_tbEUlRKiE_EESS_SW_SX_mSY_S11_bEUlT_E_NS1_11comp_targetILNS1_3genE4ELNS1_11target_archE910ELNS1_3gpuE8ELNS1_3repE0EEENS1_30default_config_static_selectorELNS0_4arch9wavefront6targetE0EEEvSV_
	.globl	_ZN7rocprim17ROCPRIM_400000_NS6detail17trampoline_kernelINS0_14default_configENS1_27upper_bound_config_selectorIilEEZNS1_14transform_implILb0ES3_S5_N6thrust23THRUST_200600_302600_NS6detail15normal_iteratorINS8_7pointerIiNS8_11hip_rocprim3tagENS8_11use_defaultESE_EEEENSA_INSB_IlSD_SE_SE_EEEEZNS1_13binary_searchIS3_S5_NSA_INSB_IiSD_RiSE_EEEESG_SI_NS1_21upper_bound_search_opENS9_16wrapped_functionINS8_7greaterIiEEbEEEE10hipError_tPvRmT1_T2_T3_mmT4_T5_P12ihipStream_tbEUlRKiE_EESS_SW_SX_mSY_S11_bEUlT_E_NS1_11comp_targetILNS1_3genE4ELNS1_11target_archE910ELNS1_3gpuE8ELNS1_3repE0EEENS1_30default_config_static_selectorELNS0_4arch9wavefront6targetE0EEEvSV_
	.p2align	8
	.type	_ZN7rocprim17ROCPRIM_400000_NS6detail17trampoline_kernelINS0_14default_configENS1_27upper_bound_config_selectorIilEEZNS1_14transform_implILb0ES3_S5_N6thrust23THRUST_200600_302600_NS6detail15normal_iteratorINS8_7pointerIiNS8_11hip_rocprim3tagENS8_11use_defaultESE_EEEENSA_INSB_IlSD_SE_SE_EEEEZNS1_13binary_searchIS3_S5_NSA_INSB_IiSD_RiSE_EEEESG_SI_NS1_21upper_bound_search_opENS9_16wrapped_functionINS8_7greaterIiEEbEEEE10hipError_tPvRmT1_T2_T3_mmT4_T5_P12ihipStream_tbEUlRKiE_EESS_SW_SX_mSY_S11_bEUlT_E_NS1_11comp_targetILNS1_3genE4ELNS1_11target_archE910ELNS1_3gpuE8ELNS1_3repE0EEENS1_30default_config_static_selectorELNS0_4arch9wavefront6targetE0EEEvSV_,@function
_ZN7rocprim17ROCPRIM_400000_NS6detail17trampoline_kernelINS0_14default_configENS1_27upper_bound_config_selectorIilEEZNS1_14transform_implILb0ES3_S5_N6thrust23THRUST_200600_302600_NS6detail15normal_iteratorINS8_7pointerIiNS8_11hip_rocprim3tagENS8_11use_defaultESE_EEEENSA_INSB_IlSD_SE_SE_EEEEZNS1_13binary_searchIS3_S5_NSA_INSB_IiSD_RiSE_EEEESG_SI_NS1_21upper_bound_search_opENS9_16wrapped_functionINS8_7greaterIiEEbEEEE10hipError_tPvRmT1_T2_T3_mmT4_T5_P12ihipStream_tbEUlRKiE_EESS_SW_SX_mSY_S11_bEUlT_E_NS1_11comp_targetILNS1_3genE4ELNS1_11target_archE910ELNS1_3gpuE8ELNS1_3repE0EEENS1_30default_config_static_selectorELNS0_4arch9wavefront6targetE0EEEvSV_: ; @_ZN7rocprim17ROCPRIM_400000_NS6detail17trampoline_kernelINS0_14default_configENS1_27upper_bound_config_selectorIilEEZNS1_14transform_implILb0ES3_S5_N6thrust23THRUST_200600_302600_NS6detail15normal_iteratorINS8_7pointerIiNS8_11hip_rocprim3tagENS8_11use_defaultESE_EEEENSA_INSB_IlSD_SE_SE_EEEEZNS1_13binary_searchIS3_S5_NSA_INSB_IiSD_RiSE_EEEESG_SI_NS1_21upper_bound_search_opENS9_16wrapped_functionINS8_7greaterIiEEbEEEE10hipError_tPvRmT1_T2_T3_mmT4_T5_P12ihipStream_tbEUlRKiE_EESS_SW_SX_mSY_S11_bEUlT_E_NS1_11comp_targetILNS1_3genE4ELNS1_11target_archE910ELNS1_3gpuE8ELNS1_3repE0EEENS1_30default_config_static_selectorELNS0_4arch9wavefront6targetE0EEEvSV_
; %bb.0:
	.section	.rodata,"a",@progbits
	.p2align	6, 0x0
	.amdhsa_kernel _ZN7rocprim17ROCPRIM_400000_NS6detail17trampoline_kernelINS0_14default_configENS1_27upper_bound_config_selectorIilEEZNS1_14transform_implILb0ES3_S5_N6thrust23THRUST_200600_302600_NS6detail15normal_iteratorINS8_7pointerIiNS8_11hip_rocprim3tagENS8_11use_defaultESE_EEEENSA_INSB_IlSD_SE_SE_EEEEZNS1_13binary_searchIS3_S5_NSA_INSB_IiSD_RiSE_EEEESG_SI_NS1_21upper_bound_search_opENS9_16wrapped_functionINS8_7greaterIiEEbEEEE10hipError_tPvRmT1_T2_T3_mmT4_T5_P12ihipStream_tbEUlRKiE_EESS_SW_SX_mSY_S11_bEUlT_E_NS1_11comp_targetILNS1_3genE4ELNS1_11target_archE910ELNS1_3gpuE8ELNS1_3repE0EEENS1_30default_config_static_selectorELNS0_4arch9wavefront6targetE0EEEvSV_
		.amdhsa_group_segment_fixed_size 0
		.amdhsa_private_segment_fixed_size 0
		.amdhsa_kernarg_size 56
		.amdhsa_user_sgpr_count 2
		.amdhsa_user_sgpr_dispatch_ptr 0
		.amdhsa_user_sgpr_queue_ptr 0
		.amdhsa_user_sgpr_kernarg_segment_ptr 1
		.amdhsa_user_sgpr_dispatch_id 0
		.amdhsa_user_sgpr_kernarg_preload_length 0
		.amdhsa_user_sgpr_kernarg_preload_offset 0
		.amdhsa_user_sgpr_private_segment_size 0
		.amdhsa_wavefront_size32 1
		.amdhsa_uses_dynamic_stack 0
		.amdhsa_enable_private_segment 0
		.amdhsa_system_sgpr_workgroup_id_x 1
		.amdhsa_system_sgpr_workgroup_id_y 0
		.amdhsa_system_sgpr_workgroup_id_z 0
		.amdhsa_system_sgpr_workgroup_info 0
		.amdhsa_system_vgpr_workitem_id 0
		.amdhsa_next_free_vgpr 1
		.amdhsa_next_free_sgpr 1
		.amdhsa_named_barrier_count 0
		.amdhsa_reserve_vcc 0
		.amdhsa_float_round_mode_32 0
		.amdhsa_float_round_mode_16_64 0
		.amdhsa_float_denorm_mode_32 3
		.amdhsa_float_denorm_mode_16_64 3
		.amdhsa_fp16_overflow 0
		.amdhsa_memory_ordered 1
		.amdhsa_forward_progress 1
		.amdhsa_inst_pref_size 0
		.amdhsa_round_robin_scheduling 0
		.amdhsa_exception_fp_ieee_invalid_op 0
		.amdhsa_exception_fp_denorm_src 0
		.amdhsa_exception_fp_ieee_div_zero 0
		.amdhsa_exception_fp_ieee_overflow 0
		.amdhsa_exception_fp_ieee_underflow 0
		.amdhsa_exception_fp_ieee_inexact 0
		.amdhsa_exception_int_div_zero 0
	.end_amdhsa_kernel
	.section	.text._ZN7rocprim17ROCPRIM_400000_NS6detail17trampoline_kernelINS0_14default_configENS1_27upper_bound_config_selectorIilEEZNS1_14transform_implILb0ES3_S5_N6thrust23THRUST_200600_302600_NS6detail15normal_iteratorINS8_7pointerIiNS8_11hip_rocprim3tagENS8_11use_defaultESE_EEEENSA_INSB_IlSD_SE_SE_EEEEZNS1_13binary_searchIS3_S5_NSA_INSB_IiSD_RiSE_EEEESG_SI_NS1_21upper_bound_search_opENS9_16wrapped_functionINS8_7greaterIiEEbEEEE10hipError_tPvRmT1_T2_T3_mmT4_T5_P12ihipStream_tbEUlRKiE_EESS_SW_SX_mSY_S11_bEUlT_E_NS1_11comp_targetILNS1_3genE4ELNS1_11target_archE910ELNS1_3gpuE8ELNS1_3repE0EEENS1_30default_config_static_selectorELNS0_4arch9wavefront6targetE0EEEvSV_,"axG",@progbits,_ZN7rocprim17ROCPRIM_400000_NS6detail17trampoline_kernelINS0_14default_configENS1_27upper_bound_config_selectorIilEEZNS1_14transform_implILb0ES3_S5_N6thrust23THRUST_200600_302600_NS6detail15normal_iteratorINS8_7pointerIiNS8_11hip_rocprim3tagENS8_11use_defaultESE_EEEENSA_INSB_IlSD_SE_SE_EEEEZNS1_13binary_searchIS3_S5_NSA_INSB_IiSD_RiSE_EEEESG_SI_NS1_21upper_bound_search_opENS9_16wrapped_functionINS8_7greaterIiEEbEEEE10hipError_tPvRmT1_T2_T3_mmT4_T5_P12ihipStream_tbEUlRKiE_EESS_SW_SX_mSY_S11_bEUlT_E_NS1_11comp_targetILNS1_3genE4ELNS1_11target_archE910ELNS1_3gpuE8ELNS1_3repE0EEENS1_30default_config_static_selectorELNS0_4arch9wavefront6targetE0EEEvSV_,comdat
.Lfunc_end133:
	.size	_ZN7rocprim17ROCPRIM_400000_NS6detail17trampoline_kernelINS0_14default_configENS1_27upper_bound_config_selectorIilEEZNS1_14transform_implILb0ES3_S5_N6thrust23THRUST_200600_302600_NS6detail15normal_iteratorINS8_7pointerIiNS8_11hip_rocprim3tagENS8_11use_defaultESE_EEEENSA_INSB_IlSD_SE_SE_EEEEZNS1_13binary_searchIS3_S5_NSA_INSB_IiSD_RiSE_EEEESG_SI_NS1_21upper_bound_search_opENS9_16wrapped_functionINS8_7greaterIiEEbEEEE10hipError_tPvRmT1_T2_T3_mmT4_T5_P12ihipStream_tbEUlRKiE_EESS_SW_SX_mSY_S11_bEUlT_E_NS1_11comp_targetILNS1_3genE4ELNS1_11target_archE910ELNS1_3gpuE8ELNS1_3repE0EEENS1_30default_config_static_selectorELNS0_4arch9wavefront6targetE0EEEvSV_, .Lfunc_end133-_ZN7rocprim17ROCPRIM_400000_NS6detail17trampoline_kernelINS0_14default_configENS1_27upper_bound_config_selectorIilEEZNS1_14transform_implILb0ES3_S5_N6thrust23THRUST_200600_302600_NS6detail15normal_iteratorINS8_7pointerIiNS8_11hip_rocprim3tagENS8_11use_defaultESE_EEEENSA_INSB_IlSD_SE_SE_EEEEZNS1_13binary_searchIS3_S5_NSA_INSB_IiSD_RiSE_EEEESG_SI_NS1_21upper_bound_search_opENS9_16wrapped_functionINS8_7greaterIiEEbEEEE10hipError_tPvRmT1_T2_T3_mmT4_T5_P12ihipStream_tbEUlRKiE_EESS_SW_SX_mSY_S11_bEUlT_E_NS1_11comp_targetILNS1_3genE4ELNS1_11target_archE910ELNS1_3gpuE8ELNS1_3repE0EEENS1_30default_config_static_selectorELNS0_4arch9wavefront6targetE0EEEvSV_
                                        ; -- End function
	.set _ZN7rocprim17ROCPRIM_400000_NS6detail17trampoline_kernelINS0_14default_configENS1_27upper_bound_config_selectorIilEEZNS1_14transform_implILb0ES3_S5_N6thrust23THRUST_200600_302600_NS6detail15normal_iteratorINS8_7pointerIiNS8_11hip_rocprim3tagENS8_11use_defaultESE_EEEENSA_INSB_IlSD_SE_SE_EEEEZNS1_13binary_searchIS3_S5_NSA_INSB_IiSD_RiSE_EEEESG_SI_NS1_21upper_bound_search_opENS9_16wrapped_functionINS8_7greaterIiEEbEEEE10hipError_tPvRmT1_T2_T3_mmT4_T5_P12ihipStream_tbEUlRKiE_EESS_SW_SX_mSY_S11_bEUlT_E_NS1_11comp_targetILNS1_3genE4ELNS1_11target_archE910ELNS1_3gpuE8ELNS1_3repE0EEENS1_30default_config_static_selectorELNS0_4arch9wavefront6targetE0EEEvSV_.num_vgpr, 0
	.set _ZN7rocprim17ROCPRIM_400000_NS6detail17trampoline_kernelINS0_14default_configENS1_27upper_bound_config_selectorIilEEZNS1_14transform_implILb0ES3_S5_N6thrust23THRUST_200600_302600_NS6detail15normal_iteratorINS8_7pointerIiNS8_11hip_rocprim3tagENS8_11use_defaultESE_EEEENSA_INSB_IlSD_SE_SE_EEEEZNS1_13binary_searchIS3_S5_NSA_INSB_IiSD_RiSE_EEEESG_SI_NS1_21upper_bound_search_opENS9_16wrapped_functionINS8_7greaterIiEEbEEEE10hipError_tPvRmT1_T2_T3_mmT4_T5_P12ihipStream_tbEUlRKiE_EESS_SW_SX_mSY_S11_bEUlT_E_NS1_11comp_targetILNS1_3genE4ELNS1_11target_archE910ELNS1_3gpuE8ELNS1_3repE0EEENS1_30default_config_static_selectorELNS0_4arch9wavefront6targetE0EEEvSV_.num_agpr, 0
	.set _ZN7rocprim17ROCPRIM_400000_NS6detail17trampoline_kernelINS0_14default_configENS1_27upper_bound_config_selectorIilEEZNS1_14transform_implILb0ES3_S5_N6thrust23THRUST_200600_302600_NS6detail15normal_iteratorINS8_7pointerIiNS8_11hip_rocprim3tagENS8_11use_defaultESE_EEEENSA_INSB_IlSD_SE_SE_EEEEZNS1_13binary_searchIS3_S5_NSA_INSB_IiSD_RiSE_EEEESG_SI_NS1_21upper_bound_search_opENS9_16wrapped_functionINS8_7greaterIiEEbEEEE10hipError_tPvRmT1_T2_T3_mmT4_T5_P12ihipStream_tbEUlRKiE_EESS_SW_SX_mSY_S11_bEUlT_E_NS1_11comp_targetILNS1_3genE4ELNS1_11target_archE910ELNS1_3gpuE8ELNS1_3repE0EEENS1_30default_config_static_selectorELNS0_4arch9wavefront6targetE0EEEvSV_.numbered_sgpr, 0
	.set _ZN7rocprim17ROCPRIM_400000_NS6detail17trampoline_kernelINS0_14default_configENS1_27upper_bound_config_selectorIilEEZNS1_14transform_implILb0ES3_S5_N6thrust23THRUST_200600_302600_NS6detail15normal_iteratorINS8_7pointerIiNS8_11hip_rocprim3tagENS8_11use_defaultESE_EEEENSA_INSB_IlSD_SE_SE_EEEEZNS1_13binary_searchIS3_S5_NSA_INSB_IiSD_RiSE_EEEESG_SI_NS1_21upper_bound_search_opENS9_16wrapped_functionINS8_7greaterIiEEbEEEE10hipError_tPvRmT1_T2_T3_mmT4_T5_P12ihipStream_tbEUlRKiE_EESS_SW_SX_mSY_S11_bEUlT_E_NS1_11comp_targetILNS1_3genE4ELNS1_11target_archE910ELNS1_3gpuE8ELNS1_3repE0EEENS1_30default_config_static_selectorELNS0_4arch9wavefront6targetE0EEEvSV_.num_named_barrier, 0
	.set _ZN7rocprim17ROCPRIM_400000_NS6detail17trampoline_kernelINS0_14default_configENS1_27upper_bound_config_selectorIilEEZNS1_14transform_implILb0ES3_S5_N6thrust23THRUST_200600_302600_NS6detail15normal_iteratorINS8_7pointerIiNS8_11hip_rocprim3tagENS8_11use_defaultESE_EEEENSA_INSB_IlSD_SE_SE_EEEEZNS1_13binary_searchIS3_S5_NSA_INSB_IiSD_RiSE_EEEESG_SI_NS1_21upper_bound_search_opENS9_16wrapped_functionINS8_7greaterIiEEbEEEE10hipError_tPvRmT1_T2_T3_mmT4_T5_P12ihipStream_tbEUlRKiE_EESS_SW_SX_mSY_S11_bEUlT_E_NS1_11comp_targetILNS1_3genE4ELNS1_11target_archE910ELNS1_3gpuE8ELNS1_3repE0EEENS1_30default_config_static_selectorELNS0_4arch9wavefront6targetE0EEEvSV_.private_seg_size, 0
	.set _ZN7rocprim17ROCPRIM_400000_NS6detail17trampoline_kernelINS0_14default_configENS1_27upper_bound_config_selectorIilEEZNS1_14transform_implILb0ES3_S5_N6thrust23THRUST_200600_302600_NS6detail15normal_iteratorINS8_7pointerIiNS8_11hip_rocprim3tagENS8_11use_defaultESE_EEEENSA_INSB_IlSD_SE_SE_EEEEZNS1_13binary_searchIS3_S5_NSA_INSB_IiSD_RiSE_EEEESG_SI_NS1_21upper_bound_search_opENS9_16wrapped_functionINS8_7greaterIiEEbEEEE10hipError_tPvRmT1_T2_T3_mmT4_T5_P12ihipStream_tbEUlRKiE_EESS_SW_SX_mSY_S11_bEUlT_E_NS1_11comp_targetILNS1_3genE4ELNS1_11target_archE910ELNS1_3gpuE8ELNS1_3repE0EEENS1_30default_config_static_selectorELNS0_4arch9wavefront6targetE0EEEvSV_.uses_vcc, 0
	.set _ZN7rocprim17ROCPRIM_400000_NS6detail17trampoline_kernelINS0_14default_configENS1_27upper_bound_config_selectorIilEEZNS1_14transform_implILb0ES3_S5_N6thrust23THRUST_200600_302600_NS6detail15normal_iteratorINS8_7pointerIiNS8_11hip_rocprim3tagENS8_11use_defaultESE_EEEENSA_INSB_IlSD_SE_SE_EEEEZNS1_13binary_searchIS3_S5_NSA_INSB_IiSD_RiSE_EEEESG_SI_NS1_21upper_bound_search_opENS9_16wrapped_functionINS8_7greaterIiEEbEEEE10hipError_tPvRmT1_T2_T3_mmT4_T5_P12ihipStream_tbEUlRKiE_EESS_SW_SX_mSY_S11_bEUlT_E_NS1_11comp_targetILNS1_3genE4ELNS1_11target_archE910ELNS1_3gpuE8ELNS1_3repE0EEENS1_30default_config_static_selectorELNS0_4arch9wavefront6targetE0EEEvSV_.uses_flat_scratch, 0
	.set _ZN7rocprim17ROCPRIM_400000_NS6detail17trampoline_kernelINS0_14default_configENS1_27upper_bound_config_selectorIilEEZNS1_14transform_implILb0ES3_S5_N6thrust23THRUST_200600_302600_NS6detail15normal_iteratorINS8_7pointerIiNS8_11hip_rocprim3tagENS8_11use_defaultESE_EEEENSA_INSB_IlSD_SE_SE_EEEEZNS1_13binary_searchIS3_S5_NSA_INSB_IiSD_RiSE_EEEESG_SI_NS1_21upper_bound_search_opENS9_16wrapped_functionINS8_7greaterIiEEbEEEE10hipError_tPvRmT1_T2_T3_mmT4_T5_P12ihipStream_tbEUlRKiE_EESS_SW_SX_mSY_S11_bEUlT_E_NS1_11comp_targetILNS1_3genE4ELNS1_11target_archE910ELNS1_3gpuE8ELNS1_3repE0EEENS1_30default_config_static_selectorELNS0_4arch9wavefront6targetE0EEEvSV_.has_dyn_sized_stack, 0
	.set _ZN7rocprim17ROCPRIM_400000_NS6detail17trampoline_kernelINS0_14default_configENS1_27upper_bound_config_selectorIilEEZNS1_14transform_implILb0ES3_S5_N6thrust23THRUST_200600_302600_NS6detail15normal_iteratorINS8_7pointerIiNS8_11hip_rocprim3tagENS8_11use_defaultESE_EEEENSA_INSB_IlSD_SE_SE_EEEEZNS1_13binary_searchIS3_S5_NSA_INSB_IiSD_RiSE_EEEESG_SI_NS1_21upper_bound_search_opENS9_16wrapped_functionINS8_7greaterIiEEbEEEE10hipError_tPvRmT1_T2_T3_mmT4_T5_P12ihipStream_tbEUlRKiE_EESS_SW_SX_mSY_S11_bEUlT_E_NS1_11comp_targetILNS1_3genE4ELNS1_11target_archE910ELNS1_3gpuE8ELNS1_3repE0EEENS1_30default_config_static_selectorELNS0_4arch9wavefront6targetE0EEEvSV_.has_recursion, 0
	.set _ZN7rocprim17ROCPRIM_400000_NS6detail17trampoline_kernelINS0_14default_configENS1_27upper_bound_config_selectorIilEEZNS1_14transform_implILb0ES3_S5_N6thrust23THRUST_200600_302600_NS6detail15normal_iteratorINS8_7pointerIiNS8_11hip_rocprim3tagENS8_11use_defaultESE_EEEENSA_INSB_IlSD_SE_SE_EEEEZNS1_13binary_searchIS3_S5_NSA_INSB_IiSD_RiSE_EEEESG_SI_NS1_21upper_bound_search_opENS9_16wrapped_functionINS8_7greaterIiEEbEEEE10hipError_tPvRmT1_T2_T3_mmT4_T5_P12ihipStream_tbEUlRKiE_EESS_SW_SX_mSY_S11_bEUlT_E_NS1_11comp_targetILNS1_3genE4ELNS1_11target_archE910ELNS1_3gpuE8ELNS1_3repE0EEENS1_30default_config_static_selectorELNS0_4arch9wavefront6targetE0EEEvSV_.has_indirect_call, 0
	.section	.AMDGPU.csdata,"",@progbits
; Kernel info:
; codeLenInByte = 0
; TotalNumSgprs: 0
; NumVgprs: 0
; ScratchSize: 0
; MemoryBound: 0
; FloatMode: 240
; IeeeMode: 1
; LDSByteSize: 0 bytes/workgroup (compile time only)
; SGPRBlocks: 0
; VGPRBlocks: 0
; NumSGPRsForWavesPerEU: 1
; NumVGPRsForWavesPerEU: 1
; NamedBarCnt: 0
; Occupancy: 16
; WaveLimiterHint : 0
; COMPUTE_PGM_RSRC2:SCRATCH_EN: 0
; COMPUTE_PGM_RSRC2:USER_SGPR: 2
; COMPUTE_PGM_RSRC2:TRAP_HANDLER: 0
; COMPUTE_PGM_RSRC2:TGID_X_EN: 1
; COMPUTE_PGM_RSRC2:TGID_Y_EN: 0
; COMPUTE_PGM_RSRC2:TGID_Z_EN: 0
; COMPUTE_PGM_RSRC2:TIDIG_COMP_CNT: 0
	.section	.text._ZN7rocprim17ROCPRIM_400000_NS6detail17trampoline_kernelINS0_14default_configENS1_27upper_bound_config_selectorIilEEZNS1_14transform_implILb0ES3_S5_N6thrust23THRUST_200600_302600_NS6detail15normal_iteratorINS8_7pointerIiNS8_11hip_rocprim3tagENS8_11use_defaultESE_EEEENSA_INSB_IlSD_SE_SE_EEEEZNS1_13binary_searchIS3_S5_NSA_INSB_IiSD_RiSE_EEEESG_SI_NS1_21upper_bound_search_opENS9_16wrapped_functionINS8_7greaterIiEEbEEEE10hipError_tPvRmT1_T2_T3_mmT4_T5_P12ihipStream_tbEUlRKiE_EESS_SW_SX_mSY_S11_bEUlT_E_NS1_11comp_targetILNS1_3genE3ELNS1_11target_archE908ELNS1_3gpuE7ELNS1_3repE0EEENS1_30default_config_static_selectorELNS0_4arch9wavefront6targetE0EEEvSV_,"axG",@progbits,_ZN7rocprim17ROCPRIM_400000_NS6detail17trampoline_kernelINS0_14default_configENS1_27upper_bound_config_selectorIilEEZNS1_14transform_implILb0ES3_S5_N6thrust23THRUST_200600_302600_NS6detail15normal_iteratorINS8_7pointerIiNS8_11hip_rocprim3tagENS8_11use_defaultESE_EEEENSA_INSB_IlSD_SE_SE_EEEEZNS1_13binary_searchIS3_S5_NSA_INSB_IiSD_RiSE_EEEESG_SI_NS1_21upper_bound_search_opENS9_16wrapped_functionINS8_7greaterIiEEbEEEE10hipError_tPvRmT1_T2_T3_mmT4_T5_P12ihipStream_tbEUlRKiE_EESS_SW_SX_mSY_S11_bEUlT_E_NS1_11comp_targetILNS1_3genE3ELNS1_11target_archE908ELNS1_3gpuE7ELNS1_3repE0EEENS1_30default_config_static_selectorELNS0_4arch9wavefront6targetE0EEEvSV_,comdat
	.protected	_ZN7rocprim17ROCPRIM_400000_NS6detail17trampoline_kernelINS0_14default_configENS1_27upper_bound_config_selectorIilEEZNS1_14transform_implILb0ES3_S5_N6thrust23THRUST_200600_302600_NS6detail15normal_iteratorINS8_7pointerIiNS8_11hip_rocprim3tagENS8_11use_defaultESE_EEEENSA_INSB_IlSD_SE_SE_EEEEZNS1_13binary_searchIS3_S5_NSA_INSB_IiSD_RiSE_EEEESG_SI_NS1_21upper_bound_search_opENS9_16wrapped_functionINS8_7greaterIiEEbEEEE10hipError_tPvRmT1_T2_T3_mmT4_T5_P12ihipStream_tbEUlRKiE_EESS_SW_SX_mSY_S11_bEUlT_E_NS1_11comp_targetILNS1_3genE3ELNS1_11target_archE908ELNS1_3gpuE7ELNS1_3repE0EEENS1_30default_config_static_selectorELNS0_4arch9wavefront6targetE0EEEvSV_ ; -- Begin function _ZN7rocprim17ROCPRIM_400000_NS6detail17trampoline_kernelINS0_14default_configENS1_27upper_bound_config_selectorIilEEZNS1_14transform_implILb0ES3_S5_N6thrust23THRUST_200600_302600_NS6detail15normal_iteratorINS8_7pointerIiNS8_11hip_rocprim3tagENS8_11use_defaultESE_EEEENSA_INSB_IlSD_SE_SE_EEEEZNS1_13binary_searchIS3_S5_NSA_INSB_IiSD_RiSE_EEEESG_SI_NS1_21upper_bound_search_opENS9_16wrapped_functionINS8_7greaterIiEEbEEEE10hipError_tPvRmT1_T2_T3_mmT4_T5_P12ihipStream_tbEUlRKiE_EESS_SW_SX_mSY_S11_bEUlT_E_NS1_11comp_targetILNS1_3genE3ELNS1_11target_archE908ELNS1_3gpuE7ELNS1_3repE0EEENS1_30default_config_static_selectorELNS0_4arch9wavefront6targetE0EEEvSV_
	.globl	_ZN7rocprim17ROCPRIM_400000_NS6detail17trampoline_kernelINS0_14default_configENS1_27upper_bound_config_selectorIilEEZNS1_14transform_implILb0ES3_S5_N6thrust23THRUST_200600_302600_NS6detail15normal_iteratorINS8_7pointerIiNS8_11hip_rocprim3tagENS8_11use_defaultESE_EEEENSA_INSB_IlSD_SE_SE_EEEEZNS1_13binary_searchIS3_S5_NSA_INSB_IiSD_RiSE_EEEESG_SI_NS1_21upper_bound_search_opENS9_16wrapped_functionINS8_7greaterIiEEbEEEE10hipError_tPvRmT1_T2_T3_mmT4_T5_P12ihipStream_tbEUlRKiE_EESS_SW_SX_mSY_S11_bEUlT_E_NS1_11comp_targetILNS1_3genE3ELNS1_11target_archE908ELNS1_3gpuE7ELNS1_3repE0EEENS1_30default_config_static_selectorELNS0_4arch9wavefront6targetE0EEEvSV_
	.p2align	8
	.type	_ZN7rocprim17ROCPRIM_400000_NS6detail17trampoline_kernelINS0_14default_configENS1_27upper_bound_config_selectorIilEEZNS1_14transform_implILb0ES3_S5_N6thrust23THRUST_200600_302600_NS6detail15normal_iteratorINS8_7pointerIiNS8_11hip_rocprim3tagENS8_11use_defaultESE_EEEENSA_INSB_IlSD_SE_SE_EEEEZNS1_13binary_searchIS3_S5_NSA_INSB_IiSD_RiSE_EEEESG_SI_NS1_21upper_bound_search_opENS9_16wrapped_functionINS8_7greaterIiEEbEEEE10hipError_tPvRmT1_T2_T3_mmT4_T5_P12ihipStream_tbEUlRKiE_EESS_SW_SX_mSY_S11_bEUlT_E_NS1_11comp_targetILNS1_3genE3ELNS1_11target_archE908ELNS1_3gpuE7ELNS1_3repE0EEENS1_30default_config_static_selectorELNS0_4arch9wavefront6targetE0EEEvSV_,@function
_ZN7rocprim17ROCPRIM_400000_NS6detail17trampoline_kernelINS0_14default_configENS1_27upper_bound_config_selectorIilEEZNS1_14transform_implILb0ES3_S5_N6thrust23THRUST_200600_302600_NS6detail15normal_iteratorINS8_7pointerIiNS8_11hip_rocprim3tagENS8_11use_defaultESE_EEEENSA_INSB_IlSD_SE_SE_EEEEZNS1_13binary_searchIS3_S5_NSA_INSB_IiSD_RiSE_EEEESG_SI_NS1_21upper_bound_search_opENS9_16wrapped_functionINS8_7greaterIiEEbEEEE10hipError_tPvRmT1_T2_T3_mmT4_T5_P12ihipStream_tbEUlRKiE_EESS_SW_SX_mSY_S11_bEUlT_E_NS1_11comp_targetILNS1_3genE3ELNS1_11target_archE908ELNS1_3gpuE7ELNS1_3repE0EEENS1_30default_config_static_selectorELNS0_4arch9wavefront6targetE0EEEvSV_: ; @_ZN7rocprim17ROCPRIM_400000_NS6detail17trampoline_kernelINS0_14default_configENS1_27upper_bound_config_selectorIilEEZNS1_14transform_implILb0ES3_S5_N6thrust23THRUST_200600_302600_NS6detail15normal_iteratorINS8_7pointerIiNS8_11hip_rocprim3tagENS8_11use_defaultESE_EEEENSA_INSB_IlSD_SE_SE_EEEEZNS1_13binary_searchIS3_S5_NSA_INSB_IiSD_RiSE_EEEESG_SI_NS1_21upper_bound_search_opENS9_16wrapped_functionINS8_7greaterIiEEbEEEE10hipError_tPvRmT1_T2_T3_mmT4_T5_P12ihipStream_tbEUlRKiE_EESS_SW_SX_mSY_S11_bEUlT_E_NS1_11comp_targetILNS1_3genE3ELNS1_11target_archE908ELNS1_3gpuE7ELNS1_3repE0EEENS1_30default_config_static_selectorELNS0_4arch9wavefront6targetE0EEEvSV_
; %bb.0:
	.section	.rodata,"a",@progbits
	.p2align	6, 0x0
	.amdhsa_kernel _ZN7rocprim17ROCPRIM_400000_NS6detail17trampoline_kernelINS0_14default_configENS1_27upper_bound_config_selectorIilEEZNS1_14transform_implILb0ES3_S5_N6thrust23THRUST_200600_302600_NS6detail15normal_iteratorINS8_7pointerIiNS8_11hip_rocprim3tagENS8_11use_defaultESE_EEEENSA_INSB_IlSD_SE_SE_EEEEZNS1_13binary_searchIS3_S5_NSA_INSB_IiSD_RiSE_EEEESG_SI_NS1_21upper_bound_search_opENS9_16wrapped_functionINS8_7greaterIiEEbEEEE10hipError_tPvRmT1_T2_T3_mmT4_T5_P12ihipStream_tbEUlRKiE_EESS_SW_SX_mSY_S11_bEUlT_E_NS1_11comp_targetILNS1_3genE3ELNS1_11target_archE908ELNS1_3gpuE7ELNS1_3repE0EEENS1_30default_config_static_selectorELNS0_4arch9wavefront6targetE0EEEvSV_
		.amdhsa_group_segment_fixed_size 0
		.amdhsa_private_segment_fixed_size 0
		.amdhsa_kernarg_size 56
		.amdhsa_user_sgpr_count 2
		.amdhsa_user_sgpr_dispatch_ptr 0
		.amdhsa_user_sgpr_queue_ptr 0
		.amdhsa_user_sgpr_kernarg_segment_ptr 1
		.amdhsa_user_sgpr_dispatch_id 0
		.amdhsa_user_sgpr_kernarg_preload_length 0
		.amdhsa_user_sgpr_kernarg_preload_offset 0
		.amdhsa_user_sgpr_private_segment_size 0
		.amdhsa_wavefront_size32 1
		.amdhsa_uses_dynamic_stack 0
		.amdhsa_enable_private_segment 0
		.amdhsa_system_sgpr_workgroup_id_x 1
		.amdhsa_system_sgpr_workgroup_id_y 0
		.amdhsa_system_sgpr_workgroup_id_z 0
		.amdhsa_system_sgpr_workgroup_info 0
		.amdhsa_system_vgpr_workitem_id 0
		.amdhsa_next_free_vgpr 1
		.amdhsa_next_free_sgpr 1
		.amdhsa_named_barrier_count 0
		.amdhsa_reserve_vcc 0
		.amdhsa_float_round_mode_32 0
		.amdhsa_float_round_mode_16_64 0
		.amdhsa_float_denorm_mode_32 3
		.amdhsa_float_denorm_mode_16_64 3
		.amdhsa_fp16_overflow 0
		.amdhsa_memory_ordered 1
		.amdhsa_forward_progress 1
		.amdhsa_inst_pref_size 0
		.amdhsa_round_robin_scheduling 0
		.amdhsa_exception_fp_ieee_invalid_op 0
		.amdhsa_exception_fp_denorm_src 0
		.amdhsa_exception_fp_ieee_div_zero 0
		.amdhsa_exception_fp_ieee_overflow 0
		.amdhsa_exception_fp_ieee_underflow 0
		.amdhsa_exception_fp_ieee_inexact 0
		.amdhsa_exception_int_div_zero 0
	.end_amdhsa_kernel
	.section	.text._ZN7rocprim17ROCPRIM_400000_NS6detail17trampoline_kernelINS0_14default_configENS1_27upper_bound_config_selectorIilEEZNS1_14transform_implILb0ES3_S5_N6thrust23THRUST_200600_302600_NS6detail15normal_iteratorINS8_7pointerIiNS8_11hip_rocprim3tagENS8_11use_defaultESE_EEEENSA_INSB_IlSD_SE_SE_EEEEZNS1_13binary_searchIS3_S5_NSA_INSB_IiSD_RiSE_EEEESG_SI_NS1_21upper_bound_search_opENS9_16wrapped_functionINS8_7greaterIiEEbEEEE10hipError_tPvRmT1_T2_T3_mmT4_T5_P12ihipStream_tbEUlRKiE_EESS_SW_SX_mSY_S11_bEUlT_E_NS1_11comp_targetILNS1_3genE3ELNS1_11target_archE908ELNS1_3gpuE7ELNS1_3repE0EEENS1_30default_config_static_selectorELNS0_4arch9wavefront6targetE0EEEvSV_,"axG",@progbits,_ZN7rocprim17ROCPRIM_400000_NS6detail17trampoline_kernelINS0_14default_configENS1_27upper_bound_config_selectorIilEEZNS1_14transform_implILb0ES3_S5_N6thrust23THRUST_200600_302600_NS6detail15normal_iteratorINS8_7pointerIiNS8_11hip_rocprim3tagENS8_11use_defaultESE_EEEENSA_INSB_IlSD_SE_SE_EEEEZNS1_13binary_searchIS3_S5_NSA_INSB_IiSD_RiSE_EEEESG_SI_NS1_21upper_bound_search_opENS9_16wrapped_functionINS8_7greaterIiEEbEEEE10hipError_tPvRmT1_T2_T3_mmT4_T5_P12ihipStream_tbEUlRKiE_EESS_SW_SX_mSY_S11_bEUlT_E_NS1_11comp_targetILNS1_3genE3ELNS1_11target_archE908ELNS1_3gpuE7ELNS1_3repE0EEENS1_30default_config_static_selectorELNS0_4arch9wavefront6targetE0EEEvSV_,comdat
.Lfunc_end134:
	.size	_ZN7rocprim17ROCPRIM_400000_NS6detail17trampoline_kernelINS0_14default_configENS1_27upper_bound_config_selectorIilEEZNS1_14transform_implILb0ES3_S5_N6thrust23THRUST_200600_302600_NS6detail15normal_iteratorINS8_7pointerIiNS8_11hip_rocprim3tagENS8_11use_defaultESE_EEEENSA_INSB_IlSD_SE_SE_EEEEZNS1_13binary_searchIS3_S5_NSA_INSB_IiSD_RiSE_EEEESG_SI_NS1_21upper_bound_search_opENS9_16wrapped_functionINS8_7greaterIiEEbEEEE10hipError_tPvRmT1_T2_T3_mmT4_T5_P12ihipStream_tbEUlRKiE_EESS_SW_SX_mSY_S11_bEUlT_E_NS1_11comp_targetILNS1_3genE3ELNS1_11target_archE908ELNS1_3gpuE7ELNS1_3repE0EEENS1_30default_config_static_selectorELNS0_4arch9wavefront6targetE0EEEvSV_, .Lfunc_end134-_ZN7rocprim17ROCPRIM_400000_NS6detail17trampoline_kernelINS0_14default_configENS1_27upper_bound_config_selectorIilEEZNS1_14transform_implILb0ES3_S5_N6thrust23THRUST_200600_302600_NS6detail15normal_iteratorINS8_7pointerIiNS8_11hip_rocprim3tagENS8_11use_defaultESE_EEEENSA_INSB_IlSD_SE_SE_EEEEZNS1_13binary_searchIS3_S5_NSA_INSB_IiSD_RiSE_EEEESG_SI_NS1_21upper_bound_search_opENS9_16wrapped_functionINS8_7greaterIiEEbEEEE10hipError_tPvRmT1_T2_T3_mmT4_T5_P12ihipStream_tbEUlRKiE_EESS_SW_SX_mSY_S11_bEUlT_E_NS1_11comp_targetILNS1_3genE3ELNS1_11target_archE908ELNS1_3gpuE7ELNS1_3repE0EEENS1_30default_config_static_selectorELNS0_4arch9wavefront6targetE0EEEvSV_
                                        ; -- End function
	.set _ZN7rocprim17ROCPRIM_400000_NS6detail17trampoline_kernelINS0_14default_configENS1_27upper_bound_config_selectorIilEEZNS1_14transform_implILb0ES3_S5_N6thrust23THRUST_200600_302600_NS6detail15normal_iteratorINS8_7pointerIiNS8_11hip_rocprim3tagENS8_11use_defaultESE_EEEENSA_INSB_IlSD_SE_SE_EEEEZNS1_13binary_searchIS3_S5_NSA_INSB_IiSD_RiSE_EEEESG_SI_NS1_21upper_bound_search_opENS9_16wrapped_functionINS8_7greaterIiEEbEEEE10hipError_tPvRmT1_T2_T3_mmT4_T5_P12ihipStream_tbEUlRKiE_EESS_SW_SX_mSY_S11_bEUlT_E_NS1_11comp_targetILNS1_3genE3ELNS1_11target_archE908ELNS1_3gpuE7ELNS1_3repE0EEENS1_30default_config_static_selectorELNS0_4arch9wavefront6targetE0EEEvSV_.num_vgpr, 0
	.set _ZN7rocprim17ROCPRIM_400000_NS6detail17trampoline_kernelINS0_14default_configENS1_27upper_bound_config_selectorIilEEZNS1_14transform_implILb0ES3_S5_N6thrust23THRUST_200600_302600_NS6detail15normal_iteratorINS8_7pointerIiNS8_11hip_rocprim3tagENS8_11use_defaultESE_EEEENSA_INSB_IlSD_SE_SE_EEEEZNS1_13binary_searchIS3_S5_NSA_INSB_IiSD_RiSE_EEEESG_SI_NS1_21upper_bound_search_opENS9_16wrapped_functionINS8_7greaterIiEEbEEEE10hipError_tPvRmT1_T2_T3_mmT4_T5_P12ihipStream_tbEUlRKiE_EESS_SW_SX_mSY_S11_bEUlT_E_NS1_11comp_targetILNS1_3genE3ELNS1_11target_archE908ELNS1_3gpuE7ELNS1_3repE0EEENS1_30default_config_static_selectorELNS0_4arch9wavefront6targetE0EEEvSV_.num_agpr, 0
	.set _ZN7rocprim17ROCPRIM_400000_NS6detail17trampoline_kernelINS0_14default_configENS1_27upper_bound_config_selectorIilEEZNS1_14transform_implILb0ES3_S5_N6thrust23THRUST_200600_302600_NS6detail15normal_iteratorINS8_7pointerIiNS8_11hip_rocprim3tagENS8_11use_defaultESE_EEEENSA_INSB_IlSD_SE_SE_EEEEZNS1_13binary_searchIS3_S5_NSA_INSB_IiSD_RiSE_EEEESG_SI_NS1_21upper_bound_search_opENS9_16wrapped_functionINS8_7greaterIiEEbEEEE10hipError_tPvRmT1_T2_T3_mmT4_T5_P12ihipStream_tbEUlRKiE_EESS_SW_SX_mSY_S11_bEUlT_E_NS1_11comp_targetILNS1_3genE3ELNS1_11target_archE908ELNS1_3gpuE7ELNS1_3repE0EEENS1_30default_config_static_selectorELNS0_4arch9wavefront6targetE0EEEvSV_.numbered_sgpr, 0
	.set _ZN7rocprim17ROCPRIM_400000_NS6detail17trampoline_kernelINS0_14default_configENS1_27upper_bound_config_selectorIilEEZNS1_14transform_implILb0ES3_S5_N6thrust23THRUST_200600_302600_NS6detail15normal_iteratorINS8_7pointerIiNS8_11hip_rocprim3tagENS8_11use_defaultESE_EEEENSA_INSB_IlSD_SE_SE_EEEEZNS1_13binary_searchIS3_S5_NSA_INSB_IiSD_RiSE_EEEESG_SI_NS1_21upper_bound_search_opENS9_16wrapped_functionINS8_7greaterIiEEbEEEE10hipError_tPvRmT1_T2_T3_mmT4_T5_P12ihipStream_tbEUlRKiE_EESS_SW_SX_mSY_S11_bEUlT_E_NS1_11comp_targetILNS1_3genE3ELNS1_11target_archE908ELNS1_3gpuE7ELNS1_3repE0EEENS1_30default_config_static_selectorELNS0_4arch9wavefront6targetE0EEEvSV_.num_named_barrier, 0
	.set _ZN7rocprim17ROCPRIM_400000_NS6detail17trampoline_kernelINS0_14default_configENS1_27upper_bound_config_selectorIilEEZNS1_14transform_implILb0ES3_S5_N6thrust23THRUST_200600_302600_NS6detail15normal_iteratorINS8_7pointerIiNS8_11hip_rocprim3tagENS8_11use_defaultESE_EEEENSA_INSB_IlSD_SE_SE_EEEEZNS1_13binary_searchIS3_S5_NSA_INSB_IiSD_RiSE_EEEESG_SI_NS1_21upper_bound_search_opENS9_16wrapped_functionINS8_7greaterIiEEbEEEE10hipError_tPvRmT1_T2_T3_mmT4_T5_P12ihipStream_tbEUlRKiE_EESS_SW_SX_mSY_S11_bEUlT_E_NS1_11comp_targetILNS1_3genE3ELNS1_11target_archE908ELNS1_3gpuE7ELNS1_3repE0EEENS1_30default_config_static_selectorELNS0_4arch9wavefront6targetE0EEEvSV_.private_seg_size, 0
	.set _ZN7rocprim17ROCPRIM_400000_NS6detail17trampoline_kernelINS0_14default_configENS1_27upper_bound_config_selectorIilEEZNS1_14transform_implILb0ES3_S5_N6thrust23THRUST_200600_302600_NS6detail15normal_iteratorINS8_7pointerIiNS8_11hip_rocprim3tagENS8_11use_defaultESE_EEEENSA_INSB_IlSD_SE_SE_EEEEZNS1_13binary_searchIS3_S5_NSA_INSB_IiSD_RiSE_EEEESG_SI_NS1_21upper_bound_search_opENS9_16wrapped_functionINS8_7greaterIiEEbEEEE10hipError_tPvRmT1_T2_T3_mmT4_T5_P12ihipStream_tbEUlRKiE_EESS_SW_SX_mSY_S11_bEUlT_E_NS1_11comp_targetILNS1_3genE3ELNS1_11target_archE908ELNS1_3gpuE7ELNS1_3repE0EEENS1_30default_config_static_selectorELNS0_4arch9wavefront6targetE0EEEvSV_.uses_vcc, 0
	.set _ZN7rocprim17ROCPRIM_400000_NS6detail17trampoline_kernelINS0_14default_configENS1_27upper_bound_config_selectorIilEEZNS1_14transform_implILb0ES3_S5_N6thrust23THRUST_200600_302600_NS6detail15normal_iteratorINS8_7pointerIiNS8_11hip_rocprim3tagENS8_11use_defaultESE_EEEENSA_INSB_IlSD_SE_SE_EEEEZNS1_13binary_searchIS3_S5_NSA_INSB_IiSD_RiSE_EEEESG_SI_NS1_21upper_bound_search_opENS9_16wrapped_functionINS8_7greaterIiEEbEEEE10hipError_tPvRmT1_T2_T3_mmT4_T5_P12ihipStream_tbEUlRKiE_EESS_SW_SX_mSY_S11_bEUlT_E_NS1_11comp_targetILNS1_3genE3ELNS1_11target_archE908ELNS1_3gpuE7ELNS1_3repE0EEENS1_30default_config_static_selectorELNS0_4arch9wavefront6targetE0EEEvSV_.uses_flat_scratch, 0
	.set _ZN7rocprim17ROCPRIM_400000_NS6detail17trampoline_kernelINS0_14default_configENS1_27upper_bound_config_selectorIilEEZNS1_14transform_implILb0ES3_S5_N6thrust23THRUST_200600_302600_NS6detail15normal_iteratorINS8_7pointerIiNS8_11hip_rocprim3tagENS8_11use_defaultESE_EEEENSA_INSB_IlSD_SE_SE_EEEEZNS1_13binary_searchIS3_S5_NSA_INSB_IiSD_RiSE_EEEESG_SI_NS1_21upper_bound_search_opENS9_16wrapped_functionINS8_7greaterIiEEbEEEE10hipError_tPvRmT1_T2_T3_mmT4_T5_P12ihipStream_tbEUlRKiE_EESS_SW_SX_mSY_S11_bEUlT_E_NS1_11comp_targetILNS1_3genE3ELNS1_11target_archE908ELNS1_3gpuE7ELNS1_3repE0EEENS1_30default_config_static_selectorELNS0_4arch9wavefront6targetE0EEEvSV_.has_dyn_sized_stack, 0
	.set _ZN7rocprim17ROCPRIM_400000_NS6detail17trampoline_kernelINS0_14default_configENS1_27upper_bound_config_selectorIilEEZNS1_14transform_implILb0ES3_S5_N6thrust23THRUST_200600_302600_NS6detail15normal_iteratorINS8_7pointerIiNS8_11hip_rocprim3tagENS8_11use_defaultESE_EEEENSA_INSB_IlSD_SE_SE_EEEEZNS1_13binary_searchIS3_S5_NSA_INSB_IiSD_RiSE_EEEESG_SI_NS1_21upper_bound_search_opENS9_16wrapped_functionINS8_7greaterIiEEbEEEE10hipError_tPvRmT1_T2_T3_mmT4_T5_P12ihipStream_tbEUlRKiE_EESS_SW_SX_mSY_S11_bEUlT_E_NS1_11comp_targetILNS1_3genE3ELNS1_11target_archE908ELNS1_3gpuE7ELNS1_3repE0EEENS1_30default_config_static_selectorELNS0_4arch9wavefront6targetE0EEEvSV_.has_recursion, 0
	.set _ZN7rocprim17ROCPRIM_400000_NS6detail17trampoline_kernelINS0_14default_configENS1_27upper_bound_config_selectorIilEEZNS1_14transform_implILb0ES3_S5_N6thrust23THRUST_200600_302600_NS6detail15normal_iteratorINS8_7pointerIiNS8_11hip_rocprim3tagENS8_11use_defaultESE_EEEENSA_INSB_IlSD_SE_SE_EEEEZNS1_13binary_searchIS3_S5_NSA_INSB_IiSD_RiSE_EEEESG_SI_NS1_21upper_bound_search_opENS9_16wrapped_functionINS8_7greaterIiEEbEEEE10hipError_tPvRmT1_T2_T3_mmT4_T5_P12ihipStream_tbEUlRKiE_EESS_SW_SX_mSY_S11_bEUlT_E_NS1_11comp_targetILNS1_3genE3ELNS1_11target_archE908ELNS1_3gpuE7ELNS1_3repE0EEENS1_30default_config_static_selectorELNS0_4arch9wavefront6targetE0EEEvSV_.has_indirect_call, 0
	.section	.AMDGPU.csdata,"",@progbits
; Kernel info:
; codeLenInByte = 0
; TotalNumSgprs: 0
; NumVgprs: 0
; ScratchSize: 0
; MemoryBound: 0
; FloatMode: 240
; IeeeMode: 1
; LDSByteSize: 0 bytes/workgroup (compile time only)
; SGPRBlocks: 0
; VGPRBlocks: 0
; NumSGPRsForWavesPerEU: 1
; NumVGPRsForWavesPerEU: 1
; NamedBarCnt: 0
; Occupancy: 16
; WaveLimiterHint : 0
; COMPUTE_PGM_RSRC2:SCRATCH_EN: 0
; COMPUTE_PGM_RSRC2:USER_SGPR: 2
; COMPUTE_PGM_RSRC2:TRAP_HANDLER: 0
; COMPUTE_PGM_RSRC2:TGID_X_EN: 1
; COMPUTE_PGM_RSRC2:TGID_Y_EN: 0
; COMPUTE_PGM_RSRC2:TGID_Z_EN: 0
; COMPUTE_PGM_RSRC2:TIDIG_COMP_CNT: 0
	.section	.text._ZN7rocprim17ROCPRIM_400000_NS6detail17trampoline_kernelINS0_14default_configENS1_27upper_bound_config_selectorIilEEZNS1_14transform_implILb0ES3_S5_N6thrust23THRUST_200600_302600_NS6detail15normal_iteratorINS8_7pointerIiNS8_11hip_rocprim3tagENS8_11use_defaultESE_EEEENSA_INSB_IlSD_SE_SE_EEEEZNS1_13binary_searchIS3_S5_NSA_INSB_IiSD_RiSE_EEEESG_SI_NS1_21upper_bound_search_opENS9_16wrapped_functionINS8_7greaterIiEEbEEEE10hipError_tPvRmT1_T2_T3_mmT4_T5_P12ihipStream_tbEUlRKiE_EESS_SW_SX_mSY_S11_bEUlT_E_NS1_11comp_targetILNS1_3genE2ELNS1_11target_archE906ELNS1_3gpuE6ELNS1_3repE0EEENS1_30default_config_static_selectorELNS0_4arch9wavefront6targetE0EEEvSV_,"axG",@progbits,_ZN7rocprim17ROCPRIM_400000_NS6detail17trampoline_kernelINS0_14default_configENS1_27upper_bound_config_selectorIilEEZNS1_14transform_implILb0ES3_S5_N6thrust23THRUST_200600_302600_NS6detail15normal_iteratorINS8_7pointerIiNS8_11hip_rocprim3tagENS8_11use_defaultESE_EEEENSA_INSB_IlSD_SE_SE_EEEEZNS1_13binary_searchIS3_S5_NSA_INSB_IiSD_RiSE_EEEESG_SI_NS1_21upper_bound_search_opENS9_16wrapped_functionINS8_7greaterIiEEbEEEE10hipError_tPvRmT1_T2_T3_mmT4_T5_P12ihipStream_tbEUlRKiE_EESS_SW_SX_mSY_S11_bEUlT_E_NS1_11comp_targetILNS1_3genE2ELNS1_11target_archE906ELNS1_3gpuE6ELNS1_3repE0EEENS1_30default_config_static_selectorELNS0_4arch9wavefront6targetE0EEEvSV_,comdat
	.protected	_ZN7rocprim17ROCPRIM_400000_NS6detail17trampoline_kernelINS0_14default_configENS1_27upper_bound_config_selectorIilEEZNS1_14transform_implILb0ES3_S5_N6thrust23THRUST_200600_302600_NS6detail15normal_iteratorINS8_7pointerIiNS8_11hip_rocprim3tagENS8_11use_defaultESE_EEEENSA_INSB_IlSD_SE_SE_EEEEZNS1_13binary_searchIS3_S5_NSA_INSB_IiSD_RiSE_EEEESG_SI_NS1_21upper_bound_search_opENS9_16wrapped_functionINS8_7greaterIiEEbEEEE10hipError_tPvRmT1_T2_T3_mmT4_T5_P12ihipStream_tbEUlRKiE_EESS_SW_SX_mSY_S11_bEUlT_E_NS1_11comp_targetILNS1_3genE2ELNS1_11target_archE906ELNS1_3gpuE6ELNS1_3repE0EEENS1_30default_config_static_selectorELNS0_4arch9wavefront6targetE0EEEvSV_ ; -- Begin function _ZN7rocprim17ROCPRIM_400000_NS6detail17trampoline_kernelINS0_14default_configENS1_27upper_bound_config_selectorIilEEZNS1_14transform_implILb0ES3_S5_N6thrust23THRUST_200600_302600_NS6detail15normal_iteratorINS8_7pointerIiNS8_11hip_rocprim3tagENS8_11use_defaultESE_EEEENSA_INSB_IlSD_SE_SE_EEEEZNS1_13binary_searchIS3_S5_NSA_INSB_IiSD_RiSE_EEEESG_SI_NS1_21upper_bound_search_opENS9_16wrapped_functionINS8_7greaterIiEEbEEEE10hipError_tPvRmT1_T2_T3_mmT4_T5_P12ihipStream_tbEUlRKiE_EESS_SW_SX_mSY_S11_bEUlT_E_NS1_11comp_targetILNS1_3genE2ELNS1_11target_archE906ELNS1_3gpuE6ELNS1_3repE0EEENS1_30default_config_static_selectorELNS0_4arch9wavefront6targetE0EEEvSV_
	.globl	_ZN7rocprim17ROCPRIM_400000_NS6detail17trampoline_kernelINS0_14default_configENS1_27upper_bound_config_selectorIilEEZNS1_14transform_implILb0ES3_S5_N6thrust23THRUST_200600_302600_NS6detail15normal_iteratorINS8_7pointerIiNS8_11hip_rocprim3tagENS8_11use_defaultESE_EEEENSA_INSB_IlSD_SE_SE_EEEEZNS1_13binary_searchIS3_S5_NSA_INSB_IiSD_RiSE_EEEESG_SI_NS1_21upper_bound_search_opENS9_16wrapped_functionINS8_7greaterIiEEbEEEE10hipError_tPvRmT1_T2_T3_mmT4_T5_P12ihipStream_tbEUlRKiE_EESS_SW_SX_mSY_S11_bEUlT_E_NS1_11comp_targetILNS1_3genE2ELNS1_11target_archE906ELNS1_3gpuE6ELNS1_3repE0EEENS1_30default_config_static_selectorELNS0_4arch9wavefront6targetE0EEEvSV_
	.p2align	8
	.type	_ZN7rocprim17ROCPRIM_400000_NS6detail17trampoline_kernelINS0_14default_configENS1_27upper_bound_config_selectorIilEEZNS1_14transform_implILb0ES3_S5_N6thrust23THRUST_200600_302600_NS6detail15normal_iteratorINS8_7pointerIiNS8_11hip_rocprim3tagENS8_11use_defaultESE_EEEENSA_INSB_IlSD_SE_SE_EEEEZNS1_13binary_searchIS3_S5_NSA_INSB_IiSD_RiSE_EEEESG_SI_NS1_21upper_bound_search_opENS9_16wrapped_functionINS8_7greaterIiEEbEEEE10hipError_tPvRmT1_T2_T3_mmT4_T5_P12ihipStream_tbEUlRKiE_EESS_SW_SX_mSY_S11_bEUlT_E_NS1_11comp_targetILNS1_3genE2ELNS1_11target_archE906ELNS1_3gpuE6ELNS1_3repE0EEENS1_30default_config_static_selectorELNS0_4arch9wavefront6targetE0EEEvSV_,@function
_ZN7rocprim17ROCPRIM_400000_NS6detail17trampoline_kernelINS0_14default_configENS1_27upper_bound_config_selectorIilEEZNS1_14transform_implILb0ES3_S5_N6thrust23THRUST_200600_302600_NS6detail15normal_iteratorINS8_7pointerIiNS8_11hip_rocprim3tagENS8_11use_defaultESE_EEEENSA_INSB_IlSD_SE_SE_EEEEZNS1_13binary_searchIS3_S5_NSA_INSB_IiSD_RiSE_EEEESG_SI_NS1_21upper_bound_search_opENS9_16wrapped_functionINS8_7greaterIiEEbEEEE10hipError_tPvRmT1_T2_T3_mmT4_T5_P12ihipStream_tbEUlRKiE_EESS_SW_SX_mSY_S11_bEUlT_E_NS1_11comp_targetILNS1_3genE2ELNS1_11target_archE906ELNS1_3gpuE6ELNS1_3repE0EEENS1_30default_config_static_selectorELNS0_4arch9wavefront6targetE0EEEvSV_: ; @_ZN7rocprim17ROCPRIM_400000_NS6detail17trampoline_kernelINS0_14default_configENS1_27upper_bound_config_selectorIilEEZNS1_14transform_implILb0ES3_S5_N6thrust23THRUST_200600_302600_NS6detail15normal_iteratorINS8_7pointerIiNS8_11hip_rocprim3tagENS8_11use_defaultESE_EEEENSA_INSB_IlSD_SE_SE_EEEEZNS1_13binary_searchIS3_S5_NSA_INSB_IiSD_RiSE_EEEESG_SI_NS1_21upper_bound_search_opENS9_16wrapped_functionINS8_7greaterIiEEbEEEE10hipError_tPvRmT1_T2_T3_mmT4_T5_P12ihipStream_tbEUlRKiE_EESS_SW_SX_mSY_S11_bEUlT_E_NS1_11comp_targetILNS1_3genE2ELNS1_11target_archE906ELNS1_3gpuE6ELNS1_3repE0EEENS1_30default_config_static_selectorELNS0_4arch9wavefront6targetE0EEEvSV_
; %bb.0:
	.section	.rodata,"a",@progbits
	.p2align	6, 0x0
	.amdhsa_kernel _ZN7rocprim17ROCPRIM_400000_NS6detail17trampoline_kernelINS0_14default_configENS1_27upper_bound_config_selectorIilEEZNS1_14transform_implILb0ES3_S5_N6thrust23THRUST_200600_302600_NS6detail15normal_iteratorINS8_7pointerIiNS8_11hip_rocprim3tagENS8_11use_defaultESE_EEEENSA_INSB_IlSD_SE_SE_EEEEZNS1_13binary_searchIS3_S5_NSA_INSB_IiSD_RiSE_EEEESG_SI_NS1_21upper_bound_search_opENS9_16wrapped_functionINS8_7greaterIiEEbEEEE10hipError_tPvRmT1_T2_T3_mmT4_T5_P12ihipStream_tbEUlRKiE_EESS_SW_SX_mSY_S11_bEUlT_E_NS1_11comp_targetILNS1_3genE2ELNS1_11target_archE906ELNS1_3gpuE6ELNS1_3repE0EEENS1_30default_config_static_selectorELNS0_4arch9wavefront6targetE0EEEvSV_
		.amdhsa_group_segment_fixed_size 0
		.amdhsa_private_segment_fixed_size 0
		.amdhsa_kernarg_size 56
		.amdhsa_user_sgpr_count 2
		.amdhsa_user_sgpr_dispatch_ptr 0
		.amdhsa_user_sgpr_queue_ptr 0
		.amdhsa_user_sgpr_kernarg_segment_ptr 1
		.amdhsa_user_sgpr_dispatch_id 0
		.amdhsa_user_sgpr_kernarg_preload_length 0
		.amdhsa_user_sgpr_kernarg_preload_offset 0
		.amdhsa_user_sgpr_private_segment_size 0
		.amdhsa_wavefront_size32 1
		.amdhsa_uses_dynamic_stack 0
		.amdhsa_enable_private_segment 0
		.amdhsa_system_sgpr_workgroup_id_x 1
		.amdhsa_system_sgpr_workgroup_id_y 0
		.amdhsa_system_sgpr_workgroup_id_z 0
		.amdhsa_system_sgpr_workgroup_info 0
		.amdhsa_system_vgpr_workitem_id 0
		.amdhsa_next_free_vgpr 1
		.amdhsa_next_free_sgpr 1
		.amdhsa_named_barrier_count 0
		.amdhsa_reserve_vcc 0
		.amdhsa_float_round_mode_32 0
		.amdhsa_float_round_mode_16_64 0
		.amdhsa_float_denorm_mode_32 3
		.amdhsa_float_denorm_mode_16_64 3
		.amdhsa_fp16_overflow 0
		.amdhsa_memory_ordered 1
		.amdhsa_forward_progress 1
		.amdhsa_inst_pref_size 0
		.amdhsa_round_robin_scheduling 0
		.amdhsa_exception_fp_ieee_invalid_op 0
		.amdhsa_exception_fp_denorm_src 0
		.amdhsa_exception_fp_ieee_div_zero 0
		.amdhsa_exception_fp_ieee_overflow 0
		.amdhsa_exception_fp_ieee_underflow 0
		.amdhsa_exception_fp_ieee_inexact 0
		.amdhsa_exception_int_div_zero 0
	.end_amdhsa_kernel
	.section	.text._ZN7rocprim17ROCPRIM_400000_NS6detail17trampoline_kernelINS0_14default_configENS1_27upper_bound_config_selectorIilEEZNS1_14transform_implILb0ES3_S5_N6thrust23THRUST_200600_302600_NS6detail15normal_iteratorINS8_7pointerIiNS8_11hip_rocprim3tagENS8_11use_defaultESE_EEEENSA_INSB_IlSD_SE_SE_EEEEZNS1_13binary_searchIS3_S5_NSA_INSB_IiSD_RiSE_EEEESG_SI_NS1_21upper_bound_search_opENS9_16wrapped_functionINS8_7greaterIiEEbEEEE10hipError_tPvRmT1_T2_T3_mmT4_T5_P12ihipStream_tbEUlRKiE_EESS_SW_SX_mSY_S11_bEUlT_E_NS1_11comp_targetILNS1_3genE2ELNS1_11target_archE906ELNS1_3gpuE6ELNS1_3repE0EEENS1_30default_config_static_selectorELNS0_4arch9wavefront6targetE0EEEvSV_,"axG",@progbits,_ZN7rocprim17ROCPRIM_400000_NS6detail17trampoline_kernelINS0_14default_configENS1_27upper_bound_config_selectorIilEEZNS1_14transform_implILb0ES3_S5_N6thrust23THRUST_200600_302600_NS6detail15normal_iteratorINS8_7pointerIiNS8_11hip_rocprim3tagENS8_11use_defaultESE_EEEENSA_INSB_IlSD_SE_SE_EEEEZNS1_13binary_searchIS3_S5_NSA_INSB_IiSD_RiSE_EEEESG_SI_NS1_21upper_bound_search_opENS9_16wrapped_functionINS8_7greaterIiEEbEEEE10hipError_tPvRmT1_T2_T3_mmT4_T5_P12ihipStream_tbEUlRKiE_EESS_SW_SX_mSY_S11_bEUlT_E_NS1_11comp_targetILNS1_3genE2ELNS1_11target_archE906ELNS1_3gpuE6ELNS1_3repE0EEENS1_30default_config_static_selectorELNS0_4arch9wavefront6targetE0EEEvSV_,comdat
.Lfunc_end135:
	.size	_ZN7rocprim17ROCPRIM_400000_NS6detail17trampoline_kernelINS0_14default_configENS1_27upper_bound_config_selectorIilEEZNS1_14transform_implILb0ES3_S5_N6thrust23THRUST_200600_302600_NS6detail15normal_iteratorINS8_7pointerIiNS8_11hip_rocprim3tagENS8_11use_defaultESE_EEEENSA_INSB_IlSD_SE_SE_EEEEZNS1_13binary_searchIS3_S5_NSA_INSB_IiSD_RiSE_EEEESG_SI_NS1_21upper_bound_search_opENS9_16wrapped_functionINS8_7greaterIiEEbEEEE10hipError_tPvRmT1_T2_T3_mmT4_T5_P12ihipStream_tbEUlRKiE_EESS_SW_SX_mSY_S11_bEUlT_E_NS1_11comp_targetILNS1_3genE2ELNS1_11target_archE906ELNS1_3gpuE6ELNS1_3repE0EEENS1_30default_config_static_selectorELNS0_4arch9wavefront6targetE0EEEvSV_, .Lfunc_end135-_ZN7rocprim17ROCPRIM_400000_NS6detail17trampoline_kernelINS0_14default_configENS1_27upper_bound_config_selectorIilEEZNS1_14transform_implILb0ES3_S5_N6thrust23THRUST_200600_302600_NS6detail15normal_iteratorINS8_7pointerIiNS8_11hip_rocprim3tagENS8_11use_defaultESE_EEEENSA_INSB_IlSD_SE_SE_EEEEZNS1_13binary_searchIS3_S5_NSA_INSB_IiSD_RiSE_EEEESG_SI_NS1_21upper_bound_search_opENS9_16wrapped_functionINS8_7greaterIiEEbEEEE10hipError_tPvRmT1_T2_T3_mmT4_T5_P12ihipStream_tbEUlRKiE_EESS_SW_SX_mSY_S11_bEUlT_E_NS1_11comp_targetILNS1_3genE2ELNS1_11target_archE906ELNS1_3gpuE6ELNS1_3repE0EEENS1_30default_config_static_selectorELNS0_4arch9wavefront6targetE0EEEvSV_
                                        ; -- End function
	.set _ZN7rocprim17ROCPRIM_400000_NS6detail17trampoline_kernelINS0_14default_configENS1_27upper_bound_config_selectorIilEEZNS1_14transform_implILb0ES3_S5_N6thrust23THRUST_200600_302600_NS6detail15normal_iteratorINS8_7pointerIiNS8_11hip_rocprim3tagENS8_11use_defaultESE_EEEENSA_INSB_IlSD_SE_SE_EEEEZNS1_13binary_searchIS3_S5_NSA_INSB_IiSD_RiSE_EEEESG_SI_NS1_21upper_bound_search_opENS9_16wrapped_functionINS8_7greaterIiEEbEEEE10hipError_tPvRmT1_T2_T3_mmT4_T5_P12ihipStream_tbEUlRKiE_EESS_SW_SX_mSY_S11_bEUlT_E_NS1_11comp_targetILNS1_3genE2ELNS1_11target_archE906ELNS1_3gpuE6ELNS1_3repE0EEENS1_30default_config_static_selectorELNS0_4arch9wavefront6targetE0EEEvSV_.num_vgpr, 0
	.set _ZN7rocprim17ROCPRIM_400000_NS6detail17trampoline_kernelINS0_14default_configENS1_27upper_bound_config_selectorIilEEZNS1_14transform_implILb0ES3_S5_N6thrust23THRUST_200600_302600_NS6detail15normal_iteratorINS8_7pointerIiNS8_11hip_rocprim3tagENS8_11use_defaultESE_EEEENSA_INSB_IlSD_SE_SE_EEEEZNS1_13binary_searchIS3_S5_NSA_INSB_IiSD_RiSE_EEEESG_SI_NS1_21upper_bound_search_opENS9_16wrapped_functionINS8_7greaterIiEEbEEEE10hipError_tPvRmT1_T2_T3_mmT4_T5_P12ihipStream_tbEUlRKiE_EESS_SW_SX_mSY_S11_bEUlT_E_NS1_11comp_targetILNS1_3genE2ELNS1_11target_archE906ELNS1_3gpuE6ELNS1_3repE0EEENS1_30default_config_static_selectorELNS0_4arch9wavefront6targetE0EEEvSV_.num_agpr, 0
	.set _ZN7rocprim17ROCPRIM_400000_NS6detail17trampoline_kernelINS0_14default_configENS1_27upper_bound_config_selectorIilEEZNS1_14transform_implILb0ES3_S5_N6thrust23THRUST_200600_302600_NS6detail15normal_iteratorINS8_7pointerIiNS8_11hip_rocprim3tagENS8_11use_defaultESE_EEEENSA_INSB_IlSD_SE_SE_EEEEZNS1_13binary_searchIS3_S5_NSA_INSB_IiSD_RiSE_EEEESG_SI_NS1_21upper_bound_search_opENS9_16wrapped_functionINS8_7greaterIiEEbEEEE10hipError_tPvRmT1_T2_T3_mmT4_T5_P12ihipStream_tbEUlRKiE_EESS_SW_SX_mSY_S11_bEUlT_E_NS1_11comp_targetILNS1_3genE2ELNS1_11target_archE906ELNS1_3gpuE6ELNS1_3repE0EEENS1_30default_config_static_selectorELNS0_4arch9wavefront6targetE0EEEvSV_.numbered_sgpr, 0
	.set _ZN7rocprim17ROCPRIM_400000_NS6detail17trampoline_kernelINS0_14default_configENS1_27upper_bound_config_selectorIilEEZNS1_14transform_implILb0ES3_S5_N6thrust23THRUST_200600_302600_NS6detail15normal_iteratorINS8_7pointerIiNS8_11hip_rocprim3tagENS8_11use_defaultESE_EEEENSA_INSB_IlSD_SE_SE_EEEEZNS1_13binary_searchIS3_S5_NSA_INSB_IiSD_RiSE_EEEESG_SI_NS1_21upper_bound_search_opENS9_16wrapped_functionINS8_7greaterIiEEbEEEE10hipError_tPvRmT1_T2_T3_mmT4_T5_P12ihipStream_tbEUlRKiE_EESS_SW_SX_mSY_S11_bEUlT_E_NS1_11comp_targetILNS1_3genE2ELNS1_11target_archE906ELNS1_3gpuE6ELNS1_3repE0EEENS1_30default_config_static_selectorELNS0_4arch9wavefront6targetE0EEEvSV_.num_named_barrier, 0
	.set _ZN7rocprim17ROCPRIM_400000_NS6detail17trampoline_kernelINS0_14default_configENS1_27upper_bound_config_selectorIilEEZNS1_14transform_implILb0ES3_S5_N6thrust23THRUST_200600_302600_NS6detail15normal_iteratorINS8_7pointerIiNS8_11hip_rocprim3tagENS8_11use_defaultESE_EEEENSA_INSB_IlSD_SE_SE_EEEEZNS1_13binary_searchIS3_S5_NSA_INSB_IiSD_RiSE_EEEESG_SI_NS1_21upper_bound_search_opENS9_16wrapped_functionINS8_7greaterIiEEbEEEE10hipError_tPvRmT1_T2_T3_mmT4_T5_P12ihipStream_tbEUlRKiE_EESS_SW_SX_mSY_S11_bEUlT_E_NS1_11comp_targetILNS1_3genE2ELNS1_11target_archE906ELNS1_3gpuE6ELNS1_3repE0EEENS1_30default_config_static_selectorELNS0_4arch9wavefront6targetE0EEEvSV_.private_seg_size, 0
	.set _ZN7rocprim17ROCPRIM_400000_NS6detail17trampoline_kernelINS0_14default_configENS1_27upper_bound_config_selectorIilEEZNS1_14transform_implILb0ES3_S5_N6thrust23THRUST_200600_302600_NS6detail15normal_iteratorINS8_7pointerIiNS8_11hip_rocprim3tagENS8_11use_defaultESE_EEEENSA_INSB_IlSD_SE_SE_EEEEZNS1_13binary_searchIS3_S5_NSA_INSB_IiSD_RiSE_EEEESG_SI_NS1_21upper_bound_search_opENS9_16wrapped_functionINS8_7greaterIiEEbEEEE10hipError_tPvRmT1_T2_T3_mmT4_T5_P12ihipStream_tbEUlRKiE_EESS_SW_SX_mSY_S11_bEUlT_E_NS1_11comp_targetILNS1_3genE2ELNS1_11target_archE906ELNS1_3gpuE6ELNS1_3repE0EEENS1_30default_config_static_selectorELNS0_4arch9wavefront6targetE0EEEvSV_.uses_vcc, 0
	.set _ZN7rocprim17ROCPRIM_400000_NS6detail17trampoline_kernelINS0_14default_configENS1_27upper_bound_config_selectorIilEEZNS1_14transform_implILb0ES3_S5_N6thrust23THRUST_200600_302600_NS6detail15normal_iteratorINS8_7pointerIiNS8_11hip_rocprim3tagENS8_11use_defaultESE_EEEENSA_INSB_IlSD_SE_SE_EEEEZNS1_13binary_searchIS3_S5_NSA_INSB_IiSD_RiSE_EEEESG_SI_NS1_21upper_bound_search_opENS9_16wrapped_functionINS8_7greaterIiEEbEEEE10hipError_tPvRmT1_T2_T3_mmT4_T5_P12ihipStream_tbEUlRKiE_EESS_SW_SX_mSY_S11_bEUlT_E_NS1_11comp_targetILNS1_3genE2ELNS1_11target_archE906ELNS1_3gpuE6ELNS1_3repE0EEENS1_30default_config_static_selectorELNS0_4arch9wavefront6targetE0EEEvSV_.uses_flat_scratch, 0
	.set _ZN7rocprim17ROCPRIM_400000_NS6detail17trampoline_kernelINS0_14default_configENS1_27upper_bound_config_selectorIilEEZNS1_14transform_implILb0ES3_S5_N6thrust23THRUST_200600_302600_NS6detail15normal_iteratorINS8_7pointerIiNS8_11hip_rocprim3tagENS8_11use_defaultESE_EEEENSA_INSB_IlSD_SE_SE_EEEEZNS1_13binary_searchIS3_S5_NSA_INSB_IiSD_RiSE_EEEESG_SI_NS1_21upper_bound_search_opENS9_16wrapped_functionINS8_7greaterIiEEbEEEE10hipError_tPvRmT1_T2_T3_mmT4_T5_P12ihipStream_tbEUlRKiE_EESS_SW_SX_mSY_S11_bEUlT_E_NS1_11comp_targetILNS1_3genE2ELNS1_11target_archE906ELNS1_3gpuE6ELNS1_3repE0EEENS1_30default_config_static_selectorELNS0_4arch9wavefront6targetE0EEEvSV_.has_dyn_sized_stack, 0
	.set _ZN7rocprim17ROCPRIM_400000_NS6detail17trampoline_kernelINS0_14default_configENS1_27upper_bound_config_selectorIilEEZNS1_14transform_implILb0ES3_S5_N6thrust23THRUST_200600_302600_NS6detail15normal_iteratorINS8_7pointerIiNS8_11hip_rocprim3tagENS8_11use_defaultESE_EEEENSA_INSB_IlSD_SE_SE_EEEEZNS1_13binary_searchIS3_S5_NSA_INSB_IiSD_RiSE_EEEESG_SI_NS1_21upper_bound_search_opENS9_16wrapped_functionINS8_7greaterIiEEbEEEE10hipError_tPvRmT1_T2_T3_mmT4_T5_P12ihipStream_tbEUlRKiE_EESS_SW_SX_mSY_S11_bEUlT_E_NS1_11comp_targetILNS1_3genE2ELNS1_11target_archE906ELNS1_3gpuE6ELNS1_3repE0EEENS1_30default_config_static_selectorELNS0_4arch9wavefront6targetE0EEEvSV_.has_recursion, 0
	.set _ZN7rocprim17ROCPRIM_400000_NS6detail17trampoline_kernelINS0_14default_configENS1_27upper_bound_config_selectorIilEEZNS1_14transform_implILb0ES3_S5_N6thrust23THRUST_200600_302600_NS6detail15normal_iteratorINS8_7pointerIiNS8_11hip_rocprim3tagENS8_11use_defaultESE_EEEENSA_INSB_IlSD_SE_SE_EEEEZNS1_13binary_searchIS3_S5_NSA_INSB_IiSD_RiSE_EEEESG_SI_NS1_21upper_bound_search_opENS9_16wrapped_functionINS8_7greaterIiEEbEEEE10hipError_tPvRmT1_T2_T3_mmT4_T5_P12ihipStream_tbEUlRKiE_EESS_SW_SX_mSY_S11_bEUlT_E_NS1_11comp_targetILNS1_3genE2ELNS1_11target_archE906ELNS1_3gpuE6ELNS1_3repE0EEENS1_30default_config_static_selectorELNS0_4arch9wavefront6targetE0EEEvSV_.has_indirect_call, 0
	.section	.AMDGPU.csdata,"",@progbits
; Kernel info:
; codeLenInByte = 0
; TotalNumSgprs: 0
; NumVgprs: 0
; ScratchSize: 0
; MemoryBound: 0
; FloatMode: 240
; IeeeMode: 1
; LDSByteSize: 0 bytes/workgroup (compile time only)
; SGPRBlocks: 0
; VGPRBlocks: 0
; NumSGPRsForWavesPerEU: 1
; NumVGPRsForWavesPerEU: 1
; NamedBarCnt: 0
; Occupancy: 16
; WaveLimiterHint : 0
; COMPUTE_PGM_RSRC2:SCRATCH_EN: 0
; COMPUTE_PGM_RSRC2:USER_SGPR: 2
; COMPUTE_PGM_RSRC2:TRAP_HANDLER: 0
; COMPUTE_PGM_RSRC2:TGID_X_EN: 1
; COMPUTE_PGM_RSRC2:TGID_Y_EN: 0
; COMPUTE_PGM_RSRC2:TGID_Z_EN: 0
; COMPUTE_PGM_RSRC2:TIDIG_COMP_CNT: 0
	.section	.text._ZN7rocprim17ROCPRIM_400000_NS6detail17trampoline_kernelINS0_14default_configENS1_27upper_bound_config_selectorIilEEZNS1_14transform_implILb0ES3_S5_N6thrust23THRUST_200600_302600_NS6detail15normal_iteratorINS8_7pointerIiNS8_11hip_rocprim3tagENS8_11use_defaultESE_EEEENSA_INSB_IlSD_SE_SE_EEEEZNS1_13binary_searchIS3_S5_NSA_INSB_IiSD_RiSE_EEEESG_SI_NS1_21upper_bound_search_opENS9_16wrapped_functionINS8_7greaterIiEEbEEEE10hipError_tPvRmT1_T2_T3_mmT4_T5_P12ihipStream_tbEUlRKiE_EESS_SW_SX_mSY_S11_bEUlT_E_NS1_11comp_targetILNS1_3genE10ELNS1_11target_archE1201ELNS1_3gpuE5ELNS1_3repE0EEENS1_30default_config_static_selectorELNS0_4arch9wavefront6targetE0EEEvSV_,"axG",@progbits,_ZN7rocprim17ROCPRIM_400000_NS6detail17trampoline_kernelINS0_14default_configENS1_27upper_bound_config_selectorIilEEZNS1_14transform_implILb0ES3_S5_N6thrust23THRUST_200600_302600_NS6detail15normal_iteratorINS8_7pointerIiNS8_11hip_rocprim3tagENS8_11use_defaultESE_EEEENSA_INSB_IlSD_SE_SE_EEEEZNS1_13binary_searchIS3_S5_NSA_INSB_IiSD_RiSE_EEEESG_SI_NS1_21upper_bound_search_opENS9_16wrapped_functionINS8_7greaterIiEEbEEEE10hipError_tPvRmT1_T2_T3_mmT4_T5_P12ihipStream_tbEUlRKiE_EESS_SW_SX_mSY_S11_bEUlT_E_NS1_11comp_targetILNS1_3genE10ELNS1_11target_archE1201ELNS1_3gpuE5ELNS1_3repE0EEENS1_30default_config_static_selectorELNS0_4arch9wavefront6targetE0EEEvSV_,comdat
	.protected	_ZN7rocprim17ROCPRIM_400000_NS6detail17trampoline_kernelINS0_14default_configENS1_27upper_bound_config_selectorIilEEZNS1_14transform_implILb0ES3_S5_N6thrust23THRUST_200600_302600_NS6detail15normal_iteratorINS8_7pointerIiNS8_11hip_rocprim3tagENS8_11use_defaultESE_EEEENSA_INSB_IlSD_SE_SE_EEEEZNS1_13binary_searchIS3_S5_NSA_INSB_IiSD_RiSE_EEEESG_SI_NS1_21upper_bound_search_opENS9_16wrapped_functionINS8_7greaterIiEEbEEEE10hipError_tPvRmT1_T2_T3_mmT4_T5_P12ihipStream_tbEUlRKiE_EESS_SW_SX_mSY_S11_bEUlT_E_NS1_11comp_targetILNS1_3genE10ELNS1_11target_archE1201ELNS1_3gpuE5ELNS1_3repE0EEENS1_30default_config_static_selectorELNS0_4arch9wavefront6targetE0EEEvSV_ ; -- Begin function _ZN7rocprim17ROCPRIM_400000_NS6detail17trampoline_kernelINS0_14default_configENS1_27upper_bound_config_selectorIilEEZNS1_14transform_implILb0ES3_S5_N6thrust23THRUST_200600_302600_NS6detail15normal_iteratorINS8_7pointerIiNS8_11hip_rocprim3tagENS8_11use_defaultESE_EEEENSA_INSB_IlSD_SE_SE_EEEEZNS1_13binary_searchIS3_S5_NSA_INSB_IiSD_RiSE_EEEESG_SI_NS1_21upper_bound_search_opENS9_16wrapped_functionINS8_7greaterIiEEbEEEE10hipError_tPvRmT1_T2_T3_mmT4_T5_P12ihipStream_tbEUlRKiE_EESS_SW_SX_mSY_S11_bEUlT_E_NS1_11comp_targetILNS1_3genE10ELNS1_11target_archE1201ELNS1_3gpuE5ELNS1_3repE0EEENS1_30default_config_static_selectorELNS0_4arch9wavefront6targetE0EEEvSV_
	.globl	_ZN7rocprim17ROCPRIM_400000_NS6detail17trampoline_kernelINS0_14default_configENS1_27upper_bound_config_selectorIilEEZNS1_14transform_implILb0ES3_S5_N6thrust23THRUST_200600_302600_NS6detail15normal_iteratorINS8_7pointerIiNS8_11hip_rocprim3tagENS8_11use_defaultESE_EEEENSA_INSB_IlSD_SE_SE_EEEEZNS1_13binary_searchIS3_S5_NSA_INSB_IiSD_RiSE_EEEESG_SI_NS1_21upper_bound_search_opENS9_16wrapped_functionINS8_7greaterIiEEbEEEE10hipError_tPvRmT1_T2_T3_mmT4_T5_P12ihipStream_tbEUlRKiE_EESS_SW_SX_mSY_S11_bEUlT_E_NS1_11comp_targetILNS1_3genE10ELNS1_11target_archE1201ELNS1_3gpuE5ELNS1_3repE0EEENS1_30default_config_static_selectorELNS0_4arch9wavefront6targetE0EEEvSV_
	.p2align	8
	.type	_ZN7rocprim17ROCPRIM_400000_NS6detail17trampoline_kernelINS0_14default_configENS1_27upper_bound_config_selectorIilEEZNS1_14transform_implILb0ES3_S5_N6thrust23THRUST_200600_302600_NS6detail15normal_iteratorINS8_7pointerIiNS8_11hip_rocprim3tagENS8_11use_defaultESE_EEEENSA_INSB_IlSD_SE_SE_EEEEZNS1_13binary_searchIS3_S5_NSA_INSB_IiSD_RiSE_EEEESG_SI_NS1_21upper_bound_search_opENS9_16wrapped_functionINS8_7greaterIiEEbEEEE10hipError_tPvRmT1_T2_T3_mmT4_T5_P12ihipStream_tbEUlRKiE_EESS_SW_SX_mSY_S11_bEUlT_E_NS1_11comp_targetILNS1_3genE10ELNS1_11target_archE1201ELNS1_3gpuE5ELNS1_3repE0EEENS1_30default_config_static_selectorELNS0_4arch9wavefront6targetE0EEEvSV_,@function
_ZN7rocprim17ROCPRIM_400000_NS6detail17trampoline_kernelINS0_14default_configENS1_27upper_bound_config_selectorIilEEZNS1_14transform_implILb0ES3_S5_N6thrust23THRUST_200600_302600_NS6detail15normal_iteratorINS8_7pointerIiNS8_11hip_rocprim3tagENS8_11use_defaultESE_EEEENSA_INSB_IlSD_SE_SE_EEEEZNS1_13binary_searchIS3_S5_NSA_INSB_IiSD_RiSE_EEEESG_SI_NS1_21upper_bound_search_opENS9_16wrapped_functionINS8_7greaterIiEEbEEEE10hipError_tPvRmT1_T2_T3_mmT4_T5_P12ihipStream_tbEUlRKiE_EESS_SW_SX_mSY_S11_bEUlT_E_NS1_11comp_targetILNS1_3genE10ELNS1_11target_archE1201ELNS1_3gpuE5ELNS1_3repE0EEENS1_30default_config_static_selectorELNS0_4arch9wavefront6targetE0EEEvSV_: ; @_ZN7rocprim17ROCPRIM_400000_NS6detail17trampoline_kernelINS0_14default_configENS1_27upper_bound_config_selectorIilEEZNS1_14transform_implILb0ES3_S5_N6thrust23THRUST_200600_302600_NS6detail15normal_iteratorINS8_7pointerIiNS8_11hip_rocprim3tagENS8_11use_defaultESE_EEEENSA_INSB_IlSD_SE_SE_EEEEZNS1_13binary_searchIS3_S5_NSA_INSB_IiSD_RiSE_EEEESG_SI_NS1_21upper_bound_search_opENS9_16wrapped_functionINS8_7greaterIiEEbEEEE10hipError_tPvRmT1_T2_T3_mmT4_T5_P12ihipStream_tbEUlRKiE_EESS_SW_SX_mSY_S11_bEUlT_E_NS1_11comp_targetILNS1_3genE10ELNS1_11target_archE1201ELNS1_3gpuE5ELNS1_3repE0EEENS1_30default_config_static_selectorELNS0_4arch9wavefront6targetE0EEEvSV_
; %bb.0:
	.section	.rodata,"a",@progbits
	.p2align	6, 0x0
	.amdhsa_kernel _ZN7rocprim17ROCPRIM_400000_NS6detail17trampoline_kernelINS0_14default_configENS1_27upper_bound_config_selectorIilEEZNS1_14transform_implILb0ES3_S5_N6thrust23THRUST_200600_302600_NS6detail15normal_iteratorINS8_7pointerIiNS8_11hip_rocprim3tagENS8_11use_defaultESE_EEEENSA_INSB_IlSD_SE_SE_EEEEZNS1_13binary_searchIS3_S5_NSA_INSB_IiSD_RiSE_EEEESG_SI_NS1_21upper_bound_search_opENS9_16wrapped_functionINS8_7greaterIiEEbEEEE10hipError_tPvRmT1_T2_T3_mmT4_T5_P12ihipStream_tbEUlRKiE_EESS_SW_SX_mSY_S11_bEUlT_E_NS1_11comp_targetILNS1_3genE10ELNS1_11target_archE1201ELNS1_3gpuE5ELNS1_3repE0EEENS1_30default_config_static_selectorELNS0_4arch9wavefront6targetE0EEEvSV_
		.amdhsa_group_segment_fixed_size 0
		.amdhsa_private_segment_fixed_size 0
		.amdhsa_kernarg_size 56
		.amdhsa_user_sgpr_count 2
		.amdhsa_user_sgpr_dispatch_ptr 0
		.amdhsa_user_sgpr_queue_ptr 0
		.amdhsa_user_sgpr_kernarg_segment_ptr 1
		.amdhsa_user_sgpr_dispatch_id 0
		.amdhsa_user_sgpr_kernarg_preload_length 0
		.amdhsa_user_sgpr_kernarg_preload_offset 0
		.amdhsa_user_sgpr_private_segment_size 0
		.amdhsa_wavefront_size32 1
		.amdhsa_uses_dynamic_stack 0
		.amdhsa_enable_private_segment 0
		.amdhsa_system_sgpr_workgroup_id_x 1
		.amdhsa_system_sgpr_workgroup_id_y 0
		.amdhsa_system_sgpr_workgroup_id_z 0
		.amdhsa_system_sgpr_workgroup_info 0
		.amdhsa_system_vgpr_workitem_id 0
		.amdhsa_next_free_vgpr 1
		.amdhsa_next_free_sgpr 1
		.amdhsa_named_barrier_count 0
		.amdhsa_reserve_vcc 0
		.amdhsa_float_round_mode_32 0
		.amdhsa_float_round_mode_16_64 0
		.amdhsa_float_denorm_mode_32 3
		.amdhsa_float_denorm_mode_16_64 3
		.amdhsa_fp16_overflow 0
		.amdhsa_memory_ordered 1
		.amdhsa_forward_progress 1
		.amdhsa_inst_pref_size 0
		.amdhsa_round_robin_scheduling 0
		.amdhsa_exception_fp_ieee_invalid_op 0
		.amdhsa_exception_fp_denorm_src 0
		.amdhsa_exception_fp_ieee_div_zero 0
		.amdhsa_exception_fp_ieee_overflow 0
		.amdhsa_exception_fp_ieee_underflow 0
		.amdhsa_exception_fp_ieee_inexact 0
		.amdhsa_exception_int_div_zero 0
	.end_amdhsa_kernel
	.section	.text._ZN7rocprim17ROCPRIM_400000_NS6detail17trampoline_kernelINS0_14default_configENS1_27upper_bound_config_selectorIilEEZNS1_14transform_implILb0ES3_S5_N6thrust23THRUST_200600_302600_NS6detail15normal_iteratorINS8_7pointerIiNS8_11hip_rocprim3tagENS8_11use_defaultESE_EEEENSA_INSB_IlSD_SE_SE_EEEEZNS1_13binary_searchIS3_S5_NSA_INSB_IiSD_RiSE_EEEESG_SI_NS1_21upper_bound_search_opENS9_16wrapped_functionINS8_7greaterIiEEbEEEE10hipError_tPvRmT1_T2_T3_mmT4_T5_P12ihipStream_tbEUlRKiE_EESS_SW_SX_mSY_S11_bEUlT_E_NS1_11comp_targetILNS1_3genE10ELNS1_11target_archE1201ELNS1_3gpuE5ELNS1_3repE0EEENS1_30default_config_static_selectorELNS0_4arch9wavefront6targetE0EEEvSV_,"axG",@progbits,_ZN7rocprim17ROCPRIM_400000_NS6detail17trampoline_kernelINS0_14default_configENS1_27upper_bound_config_selectorIilEEZNS1_14transform_implILb0ES3_S5_N6thrust23THRUST_200600_302600_NS6detail15normal_iteratorINS8_7pointerIiNS8_11hip_rocprim3tagENS8_11use_defaultESE_EEEENSA_INSB_IlSD_SE_SE_EEEEZNS1_13binary_searchIS3_S5_NSA_INSB_IiSD_RiSE_EEEESG_SI_NS1_21upper_bound_search_opENS9_16wrapped_functionINS8_7greaterIiEEbEEEE10hipError_tPvRmT1_T2_T3_mmT4_T5_P12ihipStream_tbEUlRKiE_EESS_SW_SX_mSY_S11_bEUlT_E_NS1_11comp_targetILNS1_3genE10ELNS1_11target_archE1201ELNS1_3gpuE5ELNS1_3repE0EEENS1_30default_config_static_selectorELNS0_4arch9wavefront6targetE0EEEvSV_,comdat
.Lfunc_end136:
	.size	_ZN7rocprim17ROCPRIM_400000_NS6detail17trampoline_kernelINS0_14default_configENS1_27upper_bound_config_selectorIilEEZNS1_14transform_implILb0ES3_S5_N6thrust23THRUST_200600_302600_NS6detail15normal_iteratorINS8_7pointerIiNS8_11hip_rocprim3tagENS8_11use_defaultESE_EEEENSA_INSB_IlSD_SE_SE_EEEEZNS1_13binary_searchIS3_S5_NSA_INSB_IiSD_RiSE_EEEESG_SI_NS1_21upper_bound_search_opENS9_16wrapped_functionINS8_7greaterIiEEbEEEE10hipError_tPvRmT1_T2_T3_mmT4_T5_P12ihipStream_tbEUlRKiE_EESS_SW_SX_mSY_S11_bEUlT_E_NS1_11comp_targetILNS1_3genE10ELNS1_11target_archE1201ELNS1_3gpuE5ELNS1_3repE0EEENS1_30default_config_static_selectorELNS0_4arch9wavefront6targetE0EEEvSV_, .Lfunc_end136-_ZN7rocprim17ROCPRIM_400000_NS6detail17trampoline_kernelINS0_14default_configENS1_27upper_bound_config_selectorIilEEZNS1_14transform_implILb0ES3_S5_N6thrust23THRUST_200600_302600_NS6detail15normal_iteratorINS8_7pointerIiNS8_11hip_rocprim3tagENS8_11use_defaultESE_EEEENSA_INSB_IlSD_SE_SE_EEEEZNS1_13binary_searchIS3_S5_NSA_INSB_IiSD_RiSE_EEEESG_SI_NS1_21upper_bound_search_opENS9_16wrapped_functionINS8_7greaterIiEEbEEEE10hipError_tPvRmT1_T2_T3_mmT4_T5_P12ihipStream_tbEUlRKiE_EESS_SW_SX_mSY_S11_bEUlT_E_NS1_11comp_targetILNS1_3genE10ELNS1_11target_archE1201ELNS1_3gpuE5ELNS1_3repE0EEENS1_30default_config_static_selectorELNS0_4arch9wavefront6targetE0EEEvSV_
                                        ; -- End function
	.set _ZN7rocprim17ROCPRIM_400000_NS6detail17trampoline_kernelINS0_14default_configENS1_27upper_bound_config_selectorIilEEZNS1_14transform_implILb0ES3_S5_N6thrust23THRUST_200600_302600_NS6detail15normal_iteratorINS8_7pointerIiNS8_11hip_rocprim3tagENS8_11use_defaultESE_EEEENSA_INSB_IlSD_SE_SE_EEEEZNS1_13binary_searchIS3_S5_NSA_INSB_IiSD_RiSE_EEEESG_SI_NS1_21upper_bound_search_opENS9_16wrapped_functionINS8_7greaterIiEEbEEEE10hipError_tPvRmT1_T2_T3_mmT4_T5_P12ihipStream_tbEUlRKiE_EESS_SW_SX_mSY_S11_bEUlT_E_NS1_11comp_targetILNS1_3genE10ELNS1_11target_archE1201ELNS1_3gpuE5ELNS1_3repE0EEENS1_30default_config_static_selectorELNS0_4arch9wavefront6targetE0EEEvSV_.num_vgpr, 0
	.set _ZN7rocprim17ROCPRIM_400000_NS6detail17trampoline_kernelINS0_14default_configENS1_27upper_bound_config_selectorIilEEZNS1_14transform_implILb0ES3_S5_N6thrust23THRUST_200600_302600_NS6detail15normal_iteratorINS8_7pointerIiNS8_11hip_rocprim3tagENS8_11use_defaultESE_EEEENSA_INSB_IlSD_SE_SE_EEEEZNS1_13binary_searchIS3_S5_NSA_INSB_IiSD_RiSE_EEEESG_SI_NS1_21upper_bound_search_opENS9_16wrapped_functionINS8_7greaterIiEEbEEEE10hipError_tPvRmT1_T2_T3_mmT4_T5_P12ihipStream_tbEUlRKiE_EESS_SW_SX_mSY_S11_bEUlT_E_NS1_11comp_targetILNS1_3genE10ELNS1_11target_archE1201ELNS1_3gpuE5ELNS1_3repE0EEENS1_30default_config_static_selectorELNS0_4arch9wavefront6targetE0EEEvSV_.num_agpr, 0
	.set _ZN7rocprim17ROCPRIM_400000_NS6detail17trampoline_kernelINS0_14default_configENS1_27upper_bound_config_selectorIilEEZNS1_14transform_implILb0ES3_S5_N6thrust23THRUST_200600_302600_NS6detail15normal_iteratorINS8_7pointerIiNS8_11hip_rocprim3tagENS8_11use_defaultESE_EEEENSA_INSB_IlSD_SE_SE_EEEEZNS1_13binary_searchIS3_S5_NSA_INSB_IiSD_RiSE_EEEESG_SI_NS1_21upper_bound_search_opENS9_16wrapped_functionINS8_7greaterIiEEbEEEE10hipError_tPvRmT1_T2_T3_mmT4_T5_P12ihipStream_tbEUlRKiE_EESS_SW_SX_mSY_S11_bEUlT_E_NS1_11comp_targetILNS1_3genE10ELNS1_11target_archE1201ELNS1_3gpuE5ELNS1_3repE0EEENS1_30default_config_static_selectorELNS0_4arch9wavefront6targetE0EEEvSV_.numbered_sgpr, 0
	.set _ZN7rocprim17ROCPRIM_400000_NS6detail17trampoline_kernelINS0_14default_configENS1_27upper_bound_config_selectorIilEEZNS1_14transform_implILb0ES3_S5_N6thrust23THRUST_200600_302600_NS6detail15normal_iteratorINS8_7pointerIiNS8_11hip_rocprim3tagENS8_11use_defaultESE_EEEENSA_INSB_IlSD_SE_SE_EEEEZNS1_13binary_searchIS3_S5_NSA_INSB_IiSD_RiSE_EEEESG_SI_NS1_21upper_bound_search_opENS9_16wrapped_functionINS8_7greaterIiEEbEEEE10hipError_tPvRmT1_T2_T3_mmT4_T5_P12ihipStream_tbEUlRKiE_EESS_SW_SX_mSY_S11_bEUlT_E_NS1_11comp_targetILNS1_3genE10ELNS1_11target_archE1201ELNS1_3gpuE5ELNS1_3repE0EEENS1_30default_config_static_selectorELNS0_4arch9wavefront6targetE0EEEvSV_.num_named_barrier, 0
	.set _ZN7rocprim17ROCPRIM_400000_NS6detail17trampoline_kernelINS0_14default_configENS1_27upper_bound_config_selectorIilEEZNS1_14transform_implILb0ES3_S5_N6thrust23THRUST_200600_302600_NS6detail15normal_iteratorINS8_7pointerIiNS8_11hip_rocprim3tagENS8_11use_defaultESE_EEEENSA_INSB_IlSD_SE_SE_EEEEZNS1_13binary_searchIS3_S5_NSA_INSB_IiSD_RiSE_EEEESG_SI_NS1_21upper_bound_search_opENS9_16wrapped_functionINS8_7greaterIiEEbEEEE10hipError_tPvRmT1_T2_T3_mmT4_T5_P12ihipStream_tbEUlRKiE_EESS_SW_SX_mSY_S11_bEUlT_E_NS1_11comp_targetILNS1_3genE10ELNS1_11target_archE1201ELNS1_3gpuE5ELNS1_3repE0EEENS1_30default_config_static_selectorELNS0_4arch9wavefront6targetE0EEEvSV_.private_seg_size, 0
	.set _ZN7rocprim17ROCPRIM_400000_NS6detail17trampoline_kernelINS0_14default_configENS1_27upper_bound_config_selectorIilEEZNS1_14transform_implILb0ES3_S5_N6thrust23THRUST_200600_302600_NS6detail15normal_iteratorINS8_7pointerIiNS8_11hip_rocprim3tagENS8_11use_defaultESE_EEEENSA_INSB_IlSD_SE_SE_EEEEZNS1_13binary_searchIS3_S5_NSA_INSB_IiSD_RiSE_EEEESG_SI_NS1_21upper_bound_search_opENS9_16wrapped_functionINS8_7greaterIiEEbEEEE10hipError_tPvRmT1_T2_T3_mmT4_T5_P12ihipStream_tbEUlRKiE_EESS_SW_SX_mSY_S11_bEUlT_E_NS1_11comp_targetILNS1_3genE10ELNS1_11target_archE1201ELNS1_3gpuE5ELNS1_3repE0EEENS1_30default_config_static_selectorELNS0_4arch9wavefront6targetE0EEEvSV_.uses_vcc, 0
	.set _ZN7rocprim17ROCPRIM_400000_NS6detail17trampoline_kernelINS0_14default_configENS1_27upper_bound_config_selectorIilEEZNS1_14transform_implILb0ES3_S5_N6thrust23THRUST_200600_302600_NS6detail15normal_iteratorINS8_7pointerIiNS8_11hip_rocprim3tagENS8_11use_defaultESE_EEEENSA_INSB_IlSD_SE_SE_EEEEZNS1_13binary_searchIS3_S5_NSA_INSB_IiSD_RiSE_EEEESG_SI_NS1_21upper_bound_search_opENS9_16wrapped_functionINS8_7greaterIiEEbEEEE10hipError_tPvRmT1_T2_T3_mmT4_T5_P12ihipStream_tbEUlRKiE_EESS_SW_SX_mSY_S11_bEUlT_E_NS1_11comp_targetILNS1_3genE10ELNS1_11target_archE1201ELNS1_3gpuE5ELNS1_3repE0EEENS1_30default_config_static_selectorELNS0_4arch9wavefront6targetE0EEEvSV_.uses_flat_scratch, 0
	.set _ZN7rocprim17ROCPRIM_400000_NS6detail17trampoline_kernelINS0_14default_configENS1_27upper_bound_config_selectorIilEEZNS1_14transform_implILb0ES3_S5_N6thrust23THRUST_200600_302600_NS6detail15normal_iteratorINS8_7pointerIiNS8_11hip_rocprim3tagENS8_11use_defaultESE_EEEENSA_INSB_IlSD_SE_SE_EEEEZNS1_13binary_searchIS3_S5_NSA_INSB_IiSD_RiSE_EEEESG_SI_NS1_21upper_bound_search_opENS9_16wrapped_functionINS8_7greaterIiEEbEEEE10hipError_tPvRmT1_T2_T3_mmT4_T5_P12ihipStream_tbEUlRKiE_EESS_SW_SX_mSY_S11_bEUlT_E_NS1_11comp_targetILNS1_3genE10ELNS1_11target_archE1201ELNS1_3gpuE5ELNS1_3repE0EEENS1_30default_config_static_selectorELNS0_4arch9wavefront6targetE0EEEvSV_.has_dyn_sized_stack, 0
	.set _ZN7rocprim17ROCPRIM_400000_NS6detail17trampoline_kernelINS0_14default_configENS1_27upper_bound_config_selectorIilEEZNS1_14transform_implILb0ES3_S5_N6thrust23THRUST_200600_302600_NS6detail15normal_iteratorINS8_7pointerIiNS8_11hip_rocprim3tagENS8_11use_defaultESE_EEEENSA_INSB_IlSD_SE_SE_EEEEZNS1_13binary_searchIS3_S5_NSA_INSB_IiSD_RiSE_EEEESG_SI_NS1_21upper_bound_search_opENS9_16wrapped_functionINS8_7greaterIiEEbEEEE10hipError_tPvRmT1_T2_T3_mmT4_T5_P12ihipStream_tbEUlRKiE_EESS_SW_SX_mSY_S11_bEUlT_E_NS1_11comp_targetILNS1_3genE10ELNS1_11target_archE1201ELNS1_3gpuE5ELNS1_3repE0EEENS1_30default_config_static_selectorELNS0_4arch9wavefront6targetE0EEEvSV_.has_recursion, 0
	.set _ZN7rocprim17ROCPRIM_400000_NS6detail17trampoline_kernelINS0_14default_configENS1_27upper_bound_config_selectorIilEEZNS1_14transform_implILb0ES3_S5_N6thrust23THRUST_200600_302600_NS6detail15normal_iteratorINS8_7pointerIiNS8_11hip_rocprim3tagENS8_11use_defaultESE_EEEENSA_INSB_IlSD_SE_SE_EEEEZNS1_13binary_searchIS3_S5_NSA_INSB_IiSD_RiSE_EEEESG_SI_NS1_21upper_bound_search_opENS9_16wrapped_functionINS8_7greaterIiEEbEEEE10hipError_tPvRmT1_T2_T3_mmT4_T5_P12ihipStream_tbEUlRKiE_EESS_SW_SX_mSY_S11_bEUlT_E_NS1_11comp_targetILNS1_3genE10ELNS1_11target_archE1201ELNS1_3gpuE5ELNS1_3repE0EEENS1_30default_config_static_selectorELNS0_4arch9wavefront6targetE0EEEvSV_.has_indirect_call, 0
	.section	.AMDGPU.csdata,"",@progbits
; Kernel info:
; codeLenInByte = 0
; TotalNumSgprs: 0
; NumVgprs: 0
; ScratchSize: 0
; MemoryBound: 0
; FloatMode: 240
; IeeeMode: 1
; LDSByteSize: 0 bytes/workgroup (compile time only)
; SGPRBlocks: 0
; VGPRBlocks: 0
; NumSGPRsForWavesPerEU: 1
; NumVGPRsForWavesPerEU: 1
; NamedBarCnt: 0
; Occupancy: 16
; WaveLimiterHint : 0
; COMPUTE_PGM_RSRC2:SCRATCH_EN: 0
; COMPUTE_PGM_RSRC2:USER_SGPR: 2
; COMPUTE_PGM_RSRC2:TRAP_HANDLER: 0
; COMPUTE_PGM_RSRC2:TGID_X_EN: 1
; COMPUTE_PGM_RSRC2:TGID_Y_EN: 0
; COMPUTE_PGM_RSRC2:TGID_Z_EN: 0
; COMPUTE_PGM_RSRC2:TIDIG_COMP_CNT: 0
	.section	.text._ZN7rocprim17ROCPRIM_400000_NS6detail17trampoline_kernelINS0_14default_configENS1_27upper_bound_config_selectorIilEEZNS1_14transform_implILb0ES3_S5_N6thrust23THRUST_200600_302600_NS6detail15normal_iteratorINS8_7pointerIiNS8_11hip_rocprim3tagENS8_11use_defaultESE_EEEENSA_INSB_IlSD_SE_SE_EEEEZNS1_13binary_searchIS3_S5_NSA_INSB_IiSD_RiSE_EEEESG_SI_NS1_21upper_bound_search_opENS9_16wrapped_functionINS8_7greaterIiEEbEEEE10hipError_tPvRmT1_T2_T3_mmT4_T5_P12ihipStream_tbEUlRKiE_EESS_SW_SX_mSY_S11_bEUlT_E_NS1_11comp_targetILNS1_3genE10ELNS1_11target_archE1200ELNS1_3gpuE4ELNS1_3repE0EEENS1_30default_config_static_selectorELNS0_4arch9wavefront6targetE0EEEvSV_,"axG",@progbits,_ZN7rocprim17ROCPRIM_400000_NS6detail17trampoline_kernelINS0_14default_configENS1_27upper_bound_config_selectorIilEEZNS1_14transform_implILb0ES3_S5_N6thrust23THRUST_200600_302600_NS6detail15normal_iteratorINS8_7pointerIiNS8_11hip_rocprim3tagENS8_11use_defaultESE_EEEENSA_INSB_IlSD_SE_SE_EEEEZNS1_13binary_searchIS3_S5_NSA_INSB_IiSD_RiSE_EEEESG_SI_NS1_21upper_bound_search_opENS9_16wrapped_functionINS8_7greaterIiEEbEEEE10hipError_tPvRmT1_T2_T3_mmT4_T5_P12ihipStream_tbEUlRKiE_EESS_SW_SX_mSY_S11_bEUlT_E_NS1_11comp_targetILNS1_3genE10ELNS1_11target_archE1200ELNS1_3gpuE4ELNS1_3repE0EEENS1_30default_config_static_selectorELNS0_4arch9wavefront6targetE0EEEvSV_,comdat
	.protected	_ZN7rocprim17ROCPRIM_400000_NS6detail17trampoline_kernelINS0_14default_configENS1_27upper_bound_config_selectorIilEEZNS1_14transform_implILb0ES3_S5_N6thrust23THRUST_200600_302600_NS6detail15normal_iteratorINS8_7pointerIiNS8_11hip_rocprim3tagENS8_11use_defaultESE_EEEENSA_INSB_IlSD_SE_SE_EEEEZNS1_13binary_searchIS3_S5_NSA_INSB_IiSD_RiSE_EEEESG_SI_NS1_21upper_bound_search_opENS9_16wrapped_functionINS8_7greaterIiEEbEEEE10hipError_tPvRmT1_T2_T3_mmT4_T5_P12ihipStream_tbEUlRKiE_EESS_SW_SX_mSY_S11_bEUlT_E_NS1_11comp_targetILNS1_3genE10ELNS1_11target_archE1200ELNS1_3gpuE4ELNS1_3repE0EEENS1_30default_config_static_selectorELNS0_4arch9wavefront6targetE0EEEvSV_ ; -- Begin function _ZN7rocprim17ROCPRIM_400000_NS6detail17trampoline_kernelINS0_14default_configENS1_27upper_bound_config_selectorIilEEZNS1_14transform_implILb0ES3_S5_N6thrust23THRUST_200600_302600_NS6detail15normal_iteratorINS8_7pointerIiNS8_11hip_rocprim3tagENS8_11use_defaultESE_EEEENSA_INSB_IlSD_SE_SE_EEEEZNS1_13binary_searchIS3_S5_NSA_INSB_IiSD_RiSE_EEEESG_SI_NS1_21upper_bound_search_opENS9_16wrapped_functionINS8_7greaterIiEEbEEEE10hipError_tPvRmT1_T2_T3_mmT4_T5_P12ihipStream_tbEUlRKiE_EESS_SW_SX_mSY_S11_bEUlT_E_NS1_11comp_targetILNS1_3genE10ELNS1_11target_archE1200ELNS1_3gpuE4ELNS1_3repE0EEENS1_30default_config_static_selectorELNS0_4arch9wavefront6targetE0EEEvSV_
	.globl	_ZN7rocprim17ROCPRIM_400000_NS6detail17trampoline_kernelINS0_14default_configENS1_27upper_bound_config_selectorIilEEZNS1_14transform_implILb0ES3_S5_N6thrust23THRUST_200600_302600_NS6detail15normal_iteratorINS8_7pointerIiNS8_11hip_rocprim3tagENS8_11use_defaultESE_EEEENSA_INSB_IlSD_SE_SE_EEEEZNS1_13binary_searchIS3_S5_NSA_INSB_IiSD_RiSE_EEEESG_SI_NS1_21upper_bound_search_opENS9_16wrapped_functionINS8_7greaterIiEEbEEEE10hipError_tPvRmT1_T2_T3_mmT4_T5_P12ihipStream_tbEUlRKiE_EESS_SW_SX_mSY_S11_bEUlT_E_NS1_11comp_targetILNS1_3genE10ELNS1_11target_archE1200ELNS1_3gpuE4ELNS1_3repE0EEENS1_30default_config_static_selectorELNS0_4arch9wavefront6targetE0EEEvSV_
	.p2align	8
	.type	_ZN7rocprim17ROCPRIM_400000_NS6detail17trampoline_kernelINS0_14default_configENS1_27upper_bound_config_selectorIilEEZNS1_14transform_implILb0ES3_S5_N6thrust23THRUST_200600_302600_NS6detail15normal_iteratorINS8_7pointerIiNS8_11hip_rocprim3tagENS8_11use_defaultESE_EEEENSA_INSB_IlSD_SE_SE_EEEEZNS1_13binary_searchIS3_S5_NSA_INSB_IiSD_RiSE_EEEESG_SI_NS1_21upper_bound_search_opENS9_16wrapped_functionINS8_7greaterIiEEbEEEE10hipError_tPvRmT1_T2_T3_mmT4_T5_P12ihipStream_tbEUlRKiE_EESS_SW_SX_mSY_S11_bEUlT_E_NS1_11comp_targetILNS1_3genE10ELNS1_11target_archE1200ELNS1_3gpuE4ELNS1_3repE0EEENS1_30default_config_static_selectorELNS0_4arch9wavefront6targetE0EEEvSV_,@function
_ZN7rocprim17ROCPRIM_400000_NS6detail17trampoline_kernelINS0_14default_configENS1_27upper_bound_config_selectorIilEEZNS1_14transform_implILb0ES3_S5_N6thrust23THRUST_200600_302600_NS6detail15normal_iteratorINS8_7pointerIiNS8_11hip_rocprim3tagENS8_11use_defaultESE_EEEENSA_INSB_IlSD_SE_SE_EEEEZNS1_13binary_searchIS3_S5_NSA_INSB_IiSD_RiSE_EEEESG_SI_NS1_21upper_bound_search_opENS9_16wrapped_functionINS8_7greaterIiEEbEEEE10hipError_tPvRmT1_T2_T3_mmT4_T5_P12ihipStream_tbEUlRKiE_EESS_SW_SX_mSY_S11_bEUlT_E_NS1_11comp_targetILNS1_3genE10ELNS1_11target_archE1200ELNS1_3gpuE4ELNS1_3repE0EEENS1_30default_config_static_selectorELNS0_4arch9wavefront6targetE0EEEvSV_: ; @_ZN7rocprim17ROCPRIM_400000_NS6detail17trampoline_kernelINS0_14default_configENS1_27upper_bound_config_selectorIilEEZNS1_14transform_implILb0ES3_S5_N6thrust23THRUST_200600_302600_NS6detail15normal_iteratorINS8_7pointerIiNS8_11hip_rocprim3tagENS8_11use_defaultESE_EEEENSA_INSB_IlSD_SE_SE_EEEEZNS1_13binary_searchIS3_S5_NSA_INSB_IiSD_RiSE_EEEESG_SI_NS1_21upper_bound_search_opENS9_16wrapped_functionINS8_7greaterIiEEbEEEE10hipError_tPvRmT1_T2_T3_mmT4_T5_P12ihipStream_tbEUlRKiE_EESS_SW_SX_mSY_S11_bEUlT_E_NS1_11comp_targetILNS1_3genE10ELNS1_11target_archE1200ELNS1_3gpuE4ELNS1_3repE0EEENS1_30default_config_static_selectorELNS0_4arch9wavefront6targetE0EEEvSV_
; %bb.0:
	.section	.rodata,"a",@progbits
	.p2align	6, 0x0
	.amdhsa_kernel _ZN7rocprim17ROCPRIM_400000_NS6detail17trampoline_kernelINS0_14default_configENS1_27upper_bound_config_selectorIilEEZNS1_14transform_implILb0ES3_S5_N6thrust23THRUST_200600_302600_NS6detail15normal_iteratorINS8_7pointerIiNS8_11hip_rocprim3tagENS8_11use_defaultESE_EEEENSA_INSB_IlSD_SE_SE_EEEEZNS1_13binary_searchIS3_S5_NSA_INSB_IiSD_RiSE_EEEESG_SI_NS1_21upper_bound_search_opENS9_16wrapped_functionINS8_7greaterIiEEbEEEE10hipError_tPvRmT1_T2_T3_mmT4_T5_P12ihipStream_tbEUlRKiE_EESS_SW_SX_mSY_S11_bEUlT_E_NS1_11comp_targetILNS1_3genE10ELNS1_11target_archE1200ELNS1_3gpuE4ELNS1_3repE0EEENS1_30default_config_static_selectorELNS0_4arch9wavefront6targetE0EEEvSV_
		.amdhsa_group_segment_fixed_size 0
		.amdhsa_private_segment_fixed_size 0
		.amdhsa_kernarg_size 56
		.amdhsa_user_sgpr_count 2
		.amdhsa_user_sgpr_dispatch_ptr 0
		.amdhsa_user_sgpr_queue_ptr 0
		.amdhsa_user_sgpr_kernarg_segment_ptr 1
		.amdhsa_user_sgpr_dispatch_id 0
		.amdhsa_user_sgpr_kernarg_preload_length 0
		.amdhsa_user_sgpr_kernarg_preload_offset 0
		.amdhsa_user_sgpr_private_segment_size 0
		.amdhsa_wavefront_size32 1
		.amdhsa_uses_dynamic_stack 0
		.amdhsa_enable_private_segment 0
		.amdhsa_system_sgpr_workgroup_id_x 1
		.amdhsa_system_sgpr_workgroup_id_y 0
		.amdhsa_system_sgpr_workgroup_id_z 0
		.amdhsa_system_sgpr_workgroup_info 0
		.amdhsa_system_vgpr_workitem_id 0
		.amdhsa_next_free_vgpr 1
		.amdhsa_next_free_sgpr 1
		.amdhsa_named_barrier_count 0
		.amdhsa_reserve_vcc 0
		.amdhsa_float_round_mode_32 0
		.amdhsa_float_round_mode_16_64 0
		.amdhsa_float_denorm_mode_32 3
		.amdhsa_float_denorm_mode_16_64 3
		.amdhsa_fp16_overflow 0
		.amdhsa_memory_ordered 1
		.amdhsa_forward_progress 1
		.amdhsa_inst_pref_size 0
		.amdhsa_round_robin_scheduling 0
		.amdhsa_exception_fp_ieee_invalid_op 0
		.amdhsa_exception_fp_denorm_src 0
		.amdhsa_exception_fp_ieee_div_zero 0
		.amdhsa_exception_fp_ieee_overflow 0
		.amdhsa_exception_fp_ieee_underflow 0
		.amdhsa_exception_fp_ieee_inexact 0
		.amdhsa_exception_int_div_zero 0
	.end_amdhsa_kernel
	.section	.text._ZN7rocprim17ROCPRIM_400000_NS6detail17trampoline_kernelINS0_14default_configENS1_27upper_bound_config_selectorIilEEZNS1_14transform_implILb0ES3_S5_N6thrust23THRUST_200600_302600_NS6detail15normal_iteratorINS8_7pointerIiNS8_11hip_rocprim3tagENS8_11use_defaultESE_EEEENSA_INSB_IlSD_SE_SE_EEEEZNS1_13binary_searchIS3_S5_NSA_INSB_IiSD_RiSE_EEEESG_SI_NS1_21upper_bound_search_opENS9_16wrapped_functionINS8_7greaterIiEEbEEEE10hipError_tPvRmT1_T2_T3_mmT4_T5_P12ihipStream_tbEUlRKiE_EESS_SW_SX_mSY_S11_bEUlT_E_NS1_11comp_targetILNS1_3genE10ELNS1_11target_archE1200ELNS1_3gpuE4ELNS1_3repE0EEENS1_30default_config_static_selectorELNS0_4arch9wavefront6targetE0EEEvSV_,"axG",@progbits,_ZN7rocprim17ROCPRIM_400000_NS6detail17trampoline_kernelINS0_14default_configENS1_27upper_bound_config_selectorIilEEZNS1_14transform_implILb0ES3_S5_N6thrust23THRUST_200600_302600_NS6detail15normal_iteratorINS8_7pointerIiNS8_11hip_rocprim3tagENS8_11use_defaultESE_EEEENSA_INSB_IlSD_SE_SE_EEEEZNS1_13binary_searchIS3_S5_NSA_INSB_IiSD_RiSE_EEEESG_SI_NS1_21upper_bound_search_opENS9_16wrapped_functionINS8_7greaterIiEEbEEEE10hipError_tPvRmT1_T2_T3_mmT4_T5_P12ihipStream_tbEUlRKiE_EESS_SW_SX_mSY_S11_bEUlT_E_NS1_11comp_targetILNS1_3genE10ELNS1_11target_archE1200ELNS1_3gpuE4ELNS1_3repE0EEENS1_30default_config_static_selectorELNS0_4arch9wavefront6targetE0EEEvSV_,comdat
.Lfunc_end137:
	.size	_ZN7rocprim17ROCPRIM_400000_NS6detail17trampoline_kernelINS0_14default_configENS1_27upper_bound_config_selectorIilEEZNS1_14transform_implILb0ES3_S5_N6thrust23THRUST_200600_302600_NS6detail15normal_iteratorINS8_7pointerIiNS8_11hip_rocprim3tagENS8_11use_defaultESE_EEEENSA_INSB_IlSD_SE_SE_EEEEZNS1_13binary_searchIS3_S5_NSA_INSB_IiSD_RiSE_EEEESG_SI_NS1_21upper_bound_search_opENS9_16wrapped_functionINS8_7greaterIiEEbEEEE10hipError_tPvRmT1_T2_T3_mmT4_T5_P12ihipStream_tbEUlRKiE_EESS_SW_SX_mSY_S11_bEUlT_E_NS1_11comp_targetILNS1_3genE10ELNS1_11target_archE1200ELNS1_3gpuE4ELNS1_3repE0EEENS1_30default_config_static_selectorELNS0_4arch9wavefront6targetE0EEEvSV_, .Lfunc_end137-_ZN7rocprim17ROCPRIM_400000_NS6detail17trampoline_kernelINS0_14default_configENS1_27upper_bound_config_selectorIilEEZNS1_14transform_implILb0ES3_S5_N6thrust23THRUST_200600_302600_NS6detail15normal_iteratorINS8_7pointerIiNS8_11hip_rocprim3tagENS8_11use_defaultESE_EEEENSA_INSB_IlSD_SE_SE_EEEEZNS1_13binary_searchIS3_S5_NSA_INSB_IiSD_RiSE_EEEESG_SI_NS1_21upper_bound_search_opENS9_16wrapped_functionINS8_7greaterIiEEbEEEE10hipError_tPvRmT1_T2_T3_mmT4_T5_P12ihipStream_tbEUlRKiE_EESS_SW_SX_mSY_S11_bEUlT_E_NS1_11comp_targetILNS1_3genE10ELNS1_11target_archE1200ELNS1_3gpuE4ELNS1_3repE0EEENS1_30default_config_static_selectorELNS0_4arch9wavefront6targetE0EEEvSV_
                                        ; -- End function
	.set _ZN7rocprim17ROCPRIM_400000_NS6detail17trampoline_kernelINS0_14default_configENS1_27upper_bound_config_selectorIilEEZNS1_14transform_implILb0ES3_S5_N6thrust23THRUST_200600_302600_NS6detail15normal_iteratorINS8_7pointerIiNS8_11hip_rocprim3tagENS8_11use_defaultESE_EEEENSA_INSB_IlSD_SE_SE_EEEEZNS1_13binary_searchIS3_S5_NSA_INSB_IiSD_RiSE_EEEESG_SI_NS1_21upper_bound_search_opENS9_16wrapped_functionINS8_7greaterIiEEbEEEE10hipError_tPvRmT1_T2_T3_mmT4_T5_P12ihipStream_tbEUlRKiE_EESS_SW_SX_mSY_S11_bEUlT_E_NS1_11comp_targetILNS1_3genE10ELNS1_11target_archE1200ELNS1_3gpuE4ELNS1_3repE0EEENS1_30default_config_static_selectorELNS0_4arch9wavefront6targetE0EEEvSV_.num_vgpr, 0
	.set _ZN7rocprim17ROCPRIM_400000_NS6detail17trampoline_kernelINS0_14default_configENS1_27upper_bound_config_selectorIilEEZNS1_14transform_implILb0ES3_S5_N6thrust23THRUST_200600_302600_NS6detail15normal_iteratorINS8_7pointerIiNS8_11hip_rocprim3tagENS8_11use_defaultESE_EEEENSA_INSB_IlSD_SE_SE_EEEEZNS1_13binary_searchIS3_S5_NSA_INSB_IiSD_RiSE_EEEESG_SI_NS1_21upper_bound_search_opENS9_16wrapped_functionINS8_7greaterIiEEbEEEE10hipError_tPvRmT1_T2_T3_mmT4_T5_P12ihipStream_tbEUlRKiE_EESS_SW_SX_mSY_S11_bEUlT_E_NS1_11comp_targetILNS1_3genE10ELNS1_11target_archE1200ELNS1_3gpuE4ELNS1_3repE0EEENS1_30default_config_static_selectorELNS0_4arch9wavefront6targetE0EEEvSV_.num_agpr, 0
	.set _ZN7rocprim17ROCPRIM_400000_NS6detail17trampoline_kernelINS0_14default_configENS1_27upper_bound_config_selectorIilEEZNS1_14transform_implILb0ES3_S5_N6thrust23THRUST_200600_302600_NS6detail15normal_iteratorINS8_7pointerIiNS8_11hip_rocprim3tagENS8_11use_defaultESE_EEEENSA_INSB_IlSD_SE_SE_EEEEZNS1_13binary_searchIS3_S5_NSA_INSB_IiSD_RiSE_EEEESG_SI_NS1_21upper_bound_search_opENS9_16wrapped_functionINS8_7greaterIiEEbEEEE10hipError_tPvRmT1_T2_T3_mmT4_T5_P12ihipStream_tbEUlRKiE_EESS_SW_SX_mSY_S11_bEUlT_E_NS1_11comp_targetILNS1_3genE10ELNS1_11target_archE1200ELNS1_3gpuE4ELNS1_3repE0EEENS1_30default_config_static_selectorELNS0_4arch9wavefront6targetE0EEEvSV_.numbered_sgpr, 0
	.set _ZN7rocprim17ROCPRIM_400000_NS6detail17trampoline_kernelINS0_14default_configENS1_27upper_bound_config_selectorIilEEZNS1_14transform_implILb0ES3_S5_N6thrust23THRUST_200600_302600_NS6detail15normal_iteratorINS8_7pointerIiNS8_11hip_rocprim3tagENS8_11use_defaultESE_EEEENSA_INSB_IlSD_SE_SE_EEEEZNS1_13binary_searchIS3_S5_NSA_INSB_IiSD_RiSE_EEEESG_SI_NS1_21upper_bound_search_opENS9_16wrapped_functionINS8_7greaterIiEEbEEEE10hipError_tPvRmT1_T2_T3_mmT4_T5_P12ihipStream_tbEUlRKiE_EESS_SW_SX_mSY_S11_bEUlT_E_NS1_11comp_targetILNS1_3genE10ELNS1_11target_archE1200ELNS1_3gpuE4ELNS1_3repE0EEENS1_30default_config_static_selectorELNS0_4arch9wavefront6targetE0EEEvSV_.num_named_barrier, 0
	.set _ZN7rocprim17ROCPRIM_400000_NS6detail17trampoline_kernelINS0_14default_configENS1_27upper_bound_config_selectorIilEEZNS1_14transform_implILb0ES3_S5_N6thrust23THRUST_200600_302600_NS6detail15normal_iteratorINS8_7pointerIiNS8_11hip_rocprim3tagENS8_11use_defaultESE_EEEENSA_INSB_IlSD_SE_SE_EEEEZNS1_13binary_searchIS3_S5_NSA_INSB_IiSD_RiSE_EEEESG_SI_NS1_21upper_bound_search_opENS9_16wrapped_functionINS8_7greaterIiEEbEEEE10hipError_tPvRmT1_T2_T3_mmT4_T5_P12ihipStream_tbEUlRKiE_EESS_SW_SX_mSY_S11_bEUlT_E_NS1_11comp_targetILNS1_3genE10ELNS1_11target_archE1200ELNS1_3gpuE4ELNS1_3repE0EEENS1_30default_config_static_selectorELNS0_4arch9wavefront6targetE0EEEvSV_.private_seg_size, 0
	.set _ZN7rocprim17ROCPRIM_400000_NS6detail17trampoline_kernelINS0_14default_configENS1_27upper_bound_config_selectorIilEEZNS1_14transform_implILb0ES3_S5_N6thrust23THRUST_200600_302600_NS6detail15normal_iteratorINS8_7pointerIiNS8_11hip_rocprim3tagENS8_11use_defaultESE_EEEENSA_INSB_IlSD_SE_SE_EEEEZNS1_13binary_searchIS3_S5_NSA_INSB_IiSD_RiSE_EEEESG_SI_NS1_21upper_bound_search_opENS9_16wrapped_functionINS8_7greaterIiEEbEEEE10hipError_tPvRmT1_T2_T3_mmT4_T5_P12ihipStream_tbEUlRKiE_EESS_SW_SX_mSY_S11_bEUlT_E_NS1_11comp_targetILNS1_3genE10ELNS1_11target_archE1200ELNS1_3gpuE4ELNS1_3repE0EEENS1_30default_config_static_selectorELNS0_4arch9wavefront6targetE0EEEvSV_.uses_vcc, 0
	.set _ZN7rocprim17ROCPRIM_400000_NS6detail17trampoline_kernelINS0_14default_configENS1_27upper_bound_config_selectorIilEEZNS1_14transform_implILb0ES3_S5_N6thrust23THRUST_200600_302600_NS6detail15normal_iteratorINS8_7pointerIiNS8_11hip_rocprim3tagENS8_11use_defaultESE_EEEENSA_INSB_IlSD_SE_SE_EEEEZNS1_13binary_searchIS3_S5_NSA_INSB_IiSD_RiSE_EEEESG_SI_NS1_21upper_bound_search_opENS9_16wrapped_functionINS8_7greaterIiEEbEEEE10hipError_tPvRmT1_T2_T3_mmT4_T5_P12ihipStream_tbEUlRKiE_EESS_SW_SX_mSY_S11_bEUlT_E_NS1_11comp_targetILNS1_3genE10ELNS1_11target_archE1200ELNS1_3gpuE4ELNS1_3repE0EEENS1_30default_config_static_selectorELNS0_4arch9wavefront6targetE0EEEvSV_.uses_flat_scratch, 0
	.set _ZN7rocprim17ROCPRIM_400000_NS6detail17trampoline_kernelINS0_14default_configENS1_27upper_bound_config_selectorIilEEZNS1_14transform_implILb0ES3_S5_N6thrust23THRUST_200600_302600_NS6detail15normal_iteratorINS8_7pointerIiNS8_11hip_rocprim3tagENS8_11use_defaultESE_EEEENSA_INSB_IlSD_SE_SE_EEEEZNS1_13binary_searchIS3_S5_NSA_INSB_IiSD_RiSE_EEEESG_SI_NS1_21upper_bound_search_opENS9_16wrapped_functionINS8_7greaterIiEEbEEEE10hipError_tPvRmT1_T2_T3_mmT4_T5_P12ihipStream_tbEUlRKiE_EESS_SW_SX_mSY_S11_bEUlT_E_NS1_11comp_targetILNS1_3genE10ELNS1_11target_archE1200ELNS1_3gpuE4ELNS1_3repE0EEENS1_30default_config_static_selectorELNS0_4arch9wavefront6targetE0EEEvSV_.has_dyn_sized_stack, 0
	.set _ZN7rocprim17ROCPRIM_400000_NS6detail17trampoline_kernelINS0_14default_configENS1_27upper_bound_config_selectorIilEEZNS1_14transform_implILb0ES3_S5_N6thrust23THRUST_200600_302600_NS6detail15normal_iteratorINS8_7pointerIiNS8_11hip_rocprim3tagENS8_11use_defaultESE_EEEENSA_INSB_IlSD_SE_SE_EEEEZNS1_13binary_searchIS3_S5_NSA_INSB_IiSD_RiSE_EEEESG_SI_NS1_21upper_bound_search_opENS9_16wrapped_functionINS8_7greaterIiEEbEEEE10hipError_tPvRmT1_T2_T3_mmT4_T5_P12ihipStream_tbEUlRKiE_EESS_SW_SX_mSY_S11_bEUlT_E_NS1_11comp_targetILNS1_3genE10ELNS1_11target_archE1200ELNS1_3gpuE4ELNS1_3repE0EEENS1_30default_config_static_selectorELNS0_4arch9wavefront6targetE0EEEvSV_.has_recursion, 0
	.set _ZN7rocprim17ROCPRIM_400000_NS6detail17trampoline_kernelINS0_14default_configENS1_27upper_bound_config_selectorIilEEZNS1_14transform_implILb0ES3_S5_N6thrust23THRUST_200600_302600_NS6detail15normal_iteratorINS8_7pointerIiNS8_11hip_rocprim3tagENS8_11use_defaultESE_EEEENSA_INSB_IlSD_SE_SE_EEEEZNS1_13binary_searchIS3_S5_NSA_INSB_IiSD_RiSE_EEEESG_SI_NS1_21upper_bound_search_opENS9_16wrapped_functionINS8_7greaterIiEEbEEEE10hipError_tPvRmT1_T2_T3_mmT4_T5_P12ihipStream_tbEUlRKiE_EESS_SW_SX_mSY_S11_bEUlT_E_NS1_11comp_targetILNS1_3genE10ELNS1_11target_archE1200ELNS1_3gpuE4ELNS1_3repE0EEENS1_30default_config_static_selectorELNS0_4arch9wavefront6targetE0EEEvSV_.has_indirect_call, 0
	.section	.AMDGPU.csdata,"",@progbits
; Kernel info:
; codeLenInByte = 0
; TotalNumSgprs: 0
; NumVgprs: 0
; ScratchSize: 0
; MemoryBound: 0
; FloatMode: 240
; IeeeMode: 1
; LDSByteSize: 0 bytes/workgroup (compile time only)
; SGPRBlocks: 0
; VGPRBlocks: 0
; NumSGPRsForWavesPerEU: 1
; NumVGPRsForWavesPerEU: 1
; NamedBarCnt: 0
; Occupancy: 16
; WaveLimiterHint : 0
; COMPUTE_PGM_RSRC2:SCRATCH_EN: 0
; COMPUTE_PGM_RSRC2:USER_SGPR: 2
; COMPUTE_PGM_RSRC2:TRAP_HANDLER: 0
; COMPUTE_PGM_RSRC2:TGID_X_EN: 1
; COMPUTE_PGM_RSRC2:TGID_Y_EN: 0
; COMPUTE_PGM_RSRC2:TGID_Z_EN: 0
; COMPUTE_PGM_RSRC2:TIDIG_COMP_CNT: 0
	.section	.text._ZN7rocprim17ROCPRIM_400000_NS6detail17trampoline_kernelINS0_14default_configENS1_27upper_bound_config_selectorIilEEZNS1_14transform_implILb0ES3_S5_N6thrust23THRUST_200600_302600_NS6detail15normal_iteratorINS8_7pointerIiNS8_11hip_rocprim3tagENS8_11use_defaultESE_EEEENSA_INSB_IlSD_SE_SE_EEEEZNS1_13binary_searchIS3_S5_NSA_INSB_IiSD_RiSE_EEEESG_SI_NS1_21upper_bound_search_opENS9_16wrapped_functionINS8_7greaterIiEEbEEEE10hipError_tPvRmT1_T2_T3_mmT4_T5_P12ihipStream_tbEUlRKiE_EESS_SW_SX_mSY_S11_bEUlT_E_NS1_11comp_targetILNS1_3genE9ELNS1_11target_archE1100ELNS1_3gpuE3ELNS1_3repE0EEENS1_30default_config_static_selectorELNS0_4arch9wavefront6targetE0EEEvSV_,"axG",@progbits,_ZN7rocprim17ROCPRIM_400000_NS6detail17trampoline_kernelINS0_14default_configENS1_27upper_bound_config_selectorIilEEZNS1_14transform_implILb0ES3_S5_N6thrust23THRUST_200600_302600_NS6detail15normal_iteratorINS8_7pointerIiNS8_11hip_rocprim3tagENS8_11use_defaultESE_EEEENSA_INSB_IlSD_SE_SE_EEEEZNS1_13binary_searchIS3_S5_NSA_INSB_IiSD_RiSE_EEEESG_SI_NS1_21upper_bound_search_opENS9_16wrapped_functionINS8_7greaterIiEEbEEEE10hipError_tPvRmT1_T2_T3_mmT4_T5_P12ihipStream_tbEUlRKiE_EESS_SW_SX_mSY_S11_bEUlT_E_NS1_11comp_targetILNS1_3genE9ELNS1_11target_archE1100ELNS1_3gpuE3ELNS1_3repE0EEENS1_30default_config_static_selectorELNS0_4arch9wavefront6targetE0EEEvSV_,comdat
	.protected	_ZN7rocprim17ROCPRIM_400000_NS6detail17trampoline_kernelINS0_14default_configENS1_27upper_bound_config_selectorIilEEZNS1_14transform_implILb0ES3_S5_N6thrust23THRUST_200600_302600_NS6detail15normal_iteratorINS8_7pointerIiNS8_11hip_rocprim3tagENS8_11use_defaultESE_EEEENSA_INSB_IlSD_SE_SE_EEEEZNS1_13binary_searchIS3_S5_NSA_INSB_IiSD_RiSE_EEEESG_SI_NS1_21upper_bound_search_opENS9_16wrapped_functionINS8_7greaterIiEEbEEEE10hipError_tPvRmT1_T2_T3_mmT4_T5_P12ihipStream_tbEUlRKiE_EESS_SW_SX_mSY_S11_bEUlT_E_NS1_11comp_targetILNS1_3genE9ELNS1_11target_archE1100ELNS1_3gpuE3ELNS1_3repE0EEENS1_30default_config_static_selectorELNS0_4arch9wavefront6targetE0EEEvSV_ ; -- Begin function _ZN7rocprim17ROCPRIM_400000_NS6detail17trampoline_kernelINS0_14default_configENS1_27upper_bound_config_selectorIilEEZNS1_14transform_implILb0ES3_S5_N6thrust23THRUST_200600_302600_NS6detail15normal_iteratorINS8_7pointerIiNS8_11hip_rocprim3tagENS8_11use_defaultESE_EEEENSA_INSB_IlSD_SE_SE_EEEEZNS1_13binary_searchIS3_S5_NSA_INSB_IiSD_RiSE_EEEESG_SI_NS1_21upper_bound_search_opENS9_16wrapped_functionINS8_7greaterIiEEbEEEE10hipError_tPvRmT1_T2_T3_mmT4_T5_P12ihipStream_tbEUlRKiE_EESS_SW_SX_mSY_S11_bEUlT_E_NS1_11comp_targetILNS1_3genE9ELNS1_11target_archE1100ELNS1_3gpuE3ELNS1_3repE0EEENS1_30default_config_static_selectorELNS0_4arch9wavefront6targetE0EEEvSV_
	.globl	_ZN7rocprim17ROCPRIM_400000_NS6detail17trampoline_kernelINS0_14default_configENS1_27upper_bound_config_selectorIilEEZNS1_14transform_implILb0ES3_S5_N6thrust23THRUST_200600_302600_NS6detail15normal_iteratorINS8_7pointerIiNS8_11hip_rocprim3tagENS8_11use_defaultESE_EEEENSA_INSB_IlSD_SE_SE_EEEEZNS1_13binary_searchIS3_S5_NSA_INSB_IiSD_RiSE_EEEESG_SI_NS1_21upper_bound_search_opENS9_16wrapped_functionINS8_7greaterIiEEbEEEE10hipError_tPvRmT1_T2_T3_mmT4_T5_P12ihipStream_tbEUlRKiE_EESS_SW_SX_mSY_S11_bEUlT_E_NS1_11comp_targetILNS1_3genE9ELNS1_11target_archE1100ELNS1_3gpuE3ELNS1_3repE0EEENS1_30default_config_static_selectorELNS0_4arch9wavefront6targetE0EEEvSV_
	.p2align	8
	.type	_ZN7rocprim17ROCPRIM_400000_NS6detail17trampoline_kernelINS0_14default_configENS1_27upper_bound_config_selectorIilEEZNS1_14transform_implILb0ES3_S5_N6thrust23THRUST_200600_302600_NS6detail15normal_iteratorINS8_7pointerIiNS8_11hip_rocprim3tagENS8_11use_defaultESE_EEEENSA_INSB_IlSD_SE_SE_EEEEZNS1_13binary_searchIS3_S5_NSA_INSB_IiSD_RiSE_EEEESG_SI_NS1_21upper_bound_search_opENS9_16wrapped_functionINS8_7greaterIiEEbEEEE10hipError_tPvRmT1_T2_T3_mmT4_T5_P12ihipStream_tbEUlRKiE_EESS_SW_SX_mSY_S11_bEUlT_E_NS1_11comp_targetILNS1_3genE9ELNS1_11target_archE1100ELNS1_3gpuE3ELNS1_3repE0EEENS1_30default_config_static_selectorELNS0_4arch9wavefront6targetE0EEEvSV_,@function
_ZN7rocprim17ROCPRIM_400000_NS6detail17trampoline_kernelINS0_14default_configENS1_27upper_bound_config_selectorIilEEZNS1_14transform_implILb0ES3_S5_N6thrust23THRUST_200600_302600_NS6detail15normal_iteratorINS8_7pointerIiNS8_11hip_rocprim3tagENS8_11use_defaultESE_EEEENSA_INSB_IlSD_SE_SE_EEEEZNS1_13binary_searchIS3_S5_NSA_INSB_IiSD_RiSE_EEEESG_SI_NS1_21upper_bound_search_opENS9_16wrapped_functionINS8_7greaterIiEEbEEEE10hipError_tPvRmT1_T2_T3_mmT4_T5_P12ihipStream_tbEUlRKiE_EESS_SW_SX_mSY_S11_bEUlT_E_NS1_11comp_targetILNS1_3genE9ELNS1_11target_archE1100ELNS1_3gpuE3ELNS1_3repE0EEENS1_30default_config_static_selectorELNS0_4arch9wavefront6targetE0EEEvSV_: ; @_ZN7rocprim17ROCPRIM_400000_NS6detail17trampoline_kernelINS0_14default_configENS1_27upper_bound_config_selectorIilEEZNS1_14transform_implILb0ES3_S5_N6thrust23THRUST_200600_302600_NS6detail15normal_iteratorINS8_7pointerIiNS8_11hip_rocprim3tagENS8_11use_defaultESE_EEEENSA_INSB_IlSD_SE_SE_EEEEZNS1_13binary_searchIS3_S5_NSA_INSB_IiSD_RiSE_EEEESG_SI_NS1_21upper_bound_search_opENS9_16wrapped_functionINS8_7greaterIiEEbEEEE10hipError_tPvRmT1_T2_T3_mmT4_T5_P12ihipStream_tbEUlRKiE_EESS_SW_SX_mSY_S11_bEUlT_E_NS1_11comp_targetILNS1_3genE9ELNS1_11target_archE1100ELNS1_3gpuE3ELNS1_3repE0EEENS1_30default_config_static_selectorELNS0_4arch9wavefront6targetE0EEEvSV_
; %bb.0:
	.section	.rodata,"a",@progbits
	.p2align	6, 0x0
	.amdhsa_kernel _ZN7rocprim17ROCPRIM_400000_NS6detail17trampoline_kernelINS0_14default_configENS1_27upper_bound_config_selectorIilEEZNS1_14transform_implILb0ES3_S5_N6thrust23THRUST_200600_302600_NS6detail15normal_iteratorINS8_7pointerIiNS8_11hip_rocprim3tagENS8_11use_defaultESE_EEEENSA_INSB_IlSD_SE_SE_EEEEZNS1_13binary_searchIS3_S5_NSA_INSB_IiSD_RiSE_EEEESG_SI_NS1_21upper_bound_search_opENS9_16wrapped_functionINS8_7greaterIiEEbEEEE10hipError_tPvRmT1_T2_T3_mmT4_T5_P12ihipStream_tbEUlRKiE_EESS_SW_SX_mSY_S11_bEUlT_E_NS1_11comp_targetILNS1_3genE9ELNS1_11target_archE1100ELNS1_3gpuE3ELNS1_3repE0EEENS1_30default_config_static_selectorELNS0_4arch9wavefront6targetE0EEEvSV_
		.amdhsa_group_segment_fixed_size 0
		.amdhsa_private_segment_fixed_size 0
		.amdhsa_kernarg_size 56
		.amdhsa_user_sgpr_count 2
		.amdhsa_user_sgpr_dispatch_ptr 0
		.amdhsa_user_sgpr_queue_ptr 0
		.amdhsa_user_sgpr_kernarg_segment_ptr 1
		.amdhsa_user_sgpr_dispatch_id 0
		.amdhsa_user_sgpr_kernarg_preload_length 0
		.amdhsa_user_sgpr_kernarg_preload_offset 0
		.amdhsa_user_sgpr_private_segment_size 0
		.amdhsa_wavefront_size32 1
		.amdhsa_uses_dynamic_stack 0
		.amdhsa_enable_private_segment 0
		.amdhsa_system_sgpr_workgroup_id_x 1
		.amdhsa_system_sgpr_workgroup_id_y 0
		.amdhsa_system_sgpr_workgroup_id_z 0
		.amdhsa_system_sgpr_workgroup_info 0
		.amdhsa_system_vgpr_workitem_id 0
		.amdhsa_next_free_vgpr 1
		.amdhsa_next_free_sgpr 1
		.amdhsa_named_barrier_count 0
		.amdhsa_reserve_vcc 0
		.amdhsa_float_round_mode_32 0
		.amdhsa_float_round_mode_16_64 0
		.amdhsa_float_denorm_mode_32 3
		.amdhsa_float_denorm_mode_16_64 3
		.amdhsa_fp16_overflow 0
		.amdhsa_memory_ordered 1
		.amdhsa_forward_progress 1
		.amdhsa_inst_pref_size 0
		.amdhsa_round_robin_scheduling 0
		.amdhsa_exception_fp_ieee_invalid_op 0
		.amdhsa_exception_fp_denorm_src 0
		.amdhsa_exception_fp_ieee_div_zero 0
		.amdhsa_exception_fp_ieee_overflow 0
		.amdhsa_exception_fp_ieee_underflow 0
		.amdhsa_exception_fp_ieee_inexact 0
		.amdhsa_exception_int_div_zero 0
	.end_amdhsa_kernel
	.section	.text._ZN7rocprim17ROCPRIM_400000_NS6detail17trampoline_kernelINS0_14default_configENS1_27upper_bound_config_selectorIilEEZNS1_14transform_implILb0ES3_S5_N6thrust23THRUST_200600_302600_NS6detail15normal_iteratorINS8_7pointerIiNS8_11hip_rocprim3tagENS8_11use_defaultESE_EEEENSA_INSB_IlSD_SE_SE_EEEEZNS1_13binary_searchIS3_S5_NSA_INSB_IiSD_RiSE_EEEESG_SI_NS1_21upper_bound_search_opENS9_16wrapped_functionINS8_7greaterIiEEbEEEE10hipError_tPvRmT1_T2_T3_mmT4_T5_P12ihipStream_tbEUlRKiE_EESS_SW_SX_mSY_S11_bEUlT_E_NS1_11comp_targetILNS1_3genE9ELNS1_11target_archE1100ELNS1_3gpuE3ELNS1_3repE0EEENS1_30default_config_static_selectorELNS0_4arch9wavefront6targetE0EEEvSV_,"axG",@progbits,_ZN7rocprim17ROCPRIM_400000_NS6detail17trampoline_kernelINS0_14default_configENS1_27upper_bound_config_selectorIilEEZNS1_14transform_implILb0ES3_S5_N6thrust23THRUST_200600_302600_NS6detail15normal_iteratorINS8_7pointerIiNS8_11hip_rocprim3tagENS8_11use_defaultESE_EEEENSA_INSB_IlSD_SE_SE_EEEEZNS1_13binary_searchIS3_S5_NSA_INSB_IiSD_RiSE_EEEESG_SI_NS1_21upper_bound_search_opENS9_16wrapped_functionINS8_7greaterIiEEbEEEE10hipError_tPvRmT1_T2_T3_mmT4_T5_P12ihipStream_tbEUlRKiE_EESS_SW_SX_mSY_S11_bEUlT_E_NS1_11comp_targetILNS1_3genE9ELNS1_11target_archE1100ELNS1_3gpuE3ELNS1_3repE0EEENS1_30default_config_static_selectorELNS0_4arch9wavefront6targetE0EEEvSV_,comdat
.Lfunc_end138:
	.size	_ZN7rocprim17ROCPRIM_400000_NS6detail17trampoline_kernelINS0_14default_configENS1_27upper_bound_config_selectorIilEEZNS1_14transform_implILb0ES3_S5_N6thrust23THRUST_200600_302600_NS6detail15normal_iteratorINS8_7pointerIiNS8_11hip_rocprim3tagENS8_11use_defaultESE_EEEENSA_INSB_IlSD_SE_SE_EEEEZNS1_13binary_searchIS3_S5_NSA_INSB_IiSD_RiSE_EEEESG_SI_NS1_21upper_bound_search_opENS9_16wrapped_functionINS8_7greaterIiEEbEEEE10hipError_tPvRmT1_T2_T3_mmT4_T5_P12ihipStream_tbEUlRKiE_EESS_SW_SX_mSY_S11_bEUlT_E_NS1_11comp_targetILNS1_3genE9ELNS1_11target_archE1100ELNS1_3gpuE3ELNS1_3repE0EEENS1_30default_config_static_selectorELNS0_4arch9wavefront6targetE0EEEvSV_, .Lfunc_end138-_ZN7rocprim17ROCPRIM_400000_NS6detail17trampoline_kernelINS0_14default_configENS1_27upper_bound_config_selectorIilEEZNS1_14transform_implILb0ES3_S5_N6thrust23THRUST_200600_302600_NS6detail15normal_iteratorINS8_7pointerIiNS8_11hip_rocprim3tagENS8_11use_defaultESE_EEEENSA_INSB_IlSD_SE_SE_EEEEZNS1_13binary_searchIS3_S5_NSA_INSB_IiSD_RiSE_EEEESG_SI_NS1_21upper_bound_search_opENS9_16wrapped_functionINS8_7greaterIiEEbEEEE10hipError_tPvRmT1_T2_T3_mmT4_T5_P12ihipStream_tbEUlRKiE_EESS_SW_SX_mSY_S11_bEUlT_E_NS1_11comp_targetILNS1_3genE9ELNS1_11target_archE1100ELNS1_3gpuE3ELNS1_3repE0EEENS1_30default_config_static_selectorELNS0_4arch9wavefront6targetE0EEEvSV_
                                        ; -- End function
	.set _ZN7rocprim17ROCPRIM_400000_NS6detail17trampoline_kernelINS0_14default_configENS1_27upper_bound_config_selectorIilEEZNS1_14transform_implILb0ES3_S5_N6thrust23THRUST_200600_302600_NS6detail15normal_iteratorINS8_7pointerIiNS8_11hip_rocprim3tagENS8_11use_defaultESE_EEEENSA_INSB_IlSD_SE_SE_EEEEZNS1_13binary_searchIS3_S5_NSA_INSB_IiSD_RiSE_EEEESG_SI_NS1_21upper_bound_search_opENS9_16wrapped_functionINS8_7greaterIiEEbEEEE10hipError_tPvRmT1_T2_T3_mmT4_T5_P12ihipStream_tbEUlRKiE_EESS_SW_SX_mSY_S11_bEUlT_E_NS1_11comp_targetILNS1_3genE9ELNS1_11target_archE1100ELNS1_3gpuE3ELNS1_3repE0EEENS1_30default_config_static_selectorELNS0_4arch9wavefront6targetE0EEEvSV_.num_vgpr, 0
	.set _ZN7rocprim17ROCPRIM_400000_NS6detail17trampoline_kernelINS0_14default_configENS1_27upper_bound_config_selectorIilEEZNS1_14transform_implILb0ES3_S5_N6thrust23THRUST_200600_302600_NS6detail15normal_iteratorINS8_7pointerIiNS8_11hip_rocprim3tagENS8_11use_defaultESE_EEEENSA_INSB_IlSD_SE_SE_EEEEZNS1_13binary_searchIS3_S5_NSA_INSB_IiSD_RiSE_EEEESG_SI_NS1_21upper_bound_search_opENS9_16wrapped_functionINS8_7greaterIiEEbEEEE10hipError_tPvRmT1_T2_T3_mmT4_T5_P12ihipStream_tbEUlRKiE_EESS_SW_SX_mSY_S11_bEUlT_E_NS1_11comp_targetILNS1_3genE9ELNS1_11target_archE1100ELNS1_3gpuE3ELNS1_3repE0EEENS1_30default_config_static_selectorELNS0_4arch9wavefront6targetE0EEEvSV_.num_agpr, 0
	.set _ZN7rocprim17ROCPRIM_400000_NS6detail17trampoline_kernelINS0_14default_configENS1_27upper_bound_config_selectorIilEEZNS1_14transform_implILb0ES3_S5_N6thrust23THRUST_200600_302600_NS6detail15normal_iteratorINS8_7pointerIiNS8_11hip_rocprim3tagENS8_11use_defaultESE_EEEENSA_INSB_IlSD_SE_SE_EEEEZNS1_13binary_searchIS3_S5_NSA_INSB_IiSD_RiSE_EEEESG_SI_NS1_21upper_bound_search_opENS9_16wrapped_functionINS8_7greaterIiEEbEEEE10hipError_tPvRmT1_T2_T3_mmT4_T5_P12ihipStream_tbEUlRKiE_EESS_SW_SX_mSY_S11_bEUlT_E_NS1_11comp_targetILNS1_3genE9ELNS1_11target_archE1100ELNS1_3gpuE3ELNS1_3repE0EEENS1_30default_config_static_selectorELNS0_4arch9wavefront6targetE0EEEvSV_.numbered_sgpr, 0
	.set _ZN7rocprim17ROCPRIM_400000_NS6detail17trampoline_kernelINS0_14default_configENS1_27upper_bound_config_selectorIilEEZNS1_14transform_implILb0ES3_S5_N6thrust23THRUST_200600_302600_NS6detail15normal_iteratorINS8_7pointerIiNS8_11hip_rocprim3tagENS8_11use_defaultESE_EEEENSA_INSB_IlSD_SE_SE_EEEEZNS1_13binary_searchIS3_S5_NSA_INSB_IiSD_RiSE_EEEESG_SI_NS1_21upper_bound_search_opENS9_16wrapped_functionINS8_7greaterIiEEbEEEE10hipError_tPvRmT1_T2_T3_mmT4_T5_P12ihipStream_tbEUlRKiE_EESS_SW_SX_mSY_S11_bEUlT_E_NS1_11comp_targetILNS1_3genE9ELNS1_11target_archE1100ELNS1_3gpuE3ELNS1_3repE0EEENS1_30default_config_static_selectorELNS0_4arch9wavefront6targetE0EEEvSV_.num_named_barrier, 0
	.set _ZN7rocprim17ROCPRIM_400000_NS6detail17trampoline_kernelINS0_14default_configENS1_27upper_bound_config_selectorIilEEZNS1_14transform_implILb0ES3_S5_N6thrust23THRUST_200600_302600_NS6detail15normal_iteratorINS8_7pointerIiNS8_11hip_rocprim3tagENS8_11use_defaultESE_EEEENSA_INSB_IlSD_SE_SE_EEEEZNS1_13binary_searchIS3_S5_NSA_INSB_IiSD_RiSE_EEEESG_SI_NS1_21upper_bound_search_opENS9_16wrapped_functionINS8_7greaterIiEEbEEEE10hipError_tPvRmT1_T2_T3_mmT4_T5_P12ihipStream_tbEUlRKiE_EESS_SW_SX_mSY_S11_bEUlT_E_NS1_11comp_targetILNS1_3genE9ELNS1_11target_archE1100ELNS1_3gpuE3ELNS1_3repE0EEENS1_30default_config_static_selectorELNS0_4arch9wavefront6targetE0EEEvSV_.private_seg_size, 0
	.set _ZN7rocprim17ROCPRIM_400000_NS6detail17trampoline_kernelINS0_14default_configENS1_27upper_bound_config_selectorIilEEZNS1_14transform_implILb0ES3_S5_N6thrust23THRUST_200600_302600_NS6detail15normal_iteratorINS8_7pointerIiNS8_11hip_rocprim3tagENS8_11use_defaultESE_EEEENSA_INSB_IlSD_SE_SE_EEEEZNS1_13binary_searchIS3_S5_NSA_INSB_IiSD_RiSE_EEEESG_SI_NS1_21upper_bound_search_opENS9_16wrapped_functionINS8_7greaterIiEEbEEEE10hipError_tPvRmT1_T2_T3_mmT4_T5_P12ihipStream_tbEUlRKiE_EESS_SW_SX_mSY_S11_bEUlT_E_NS1_11comp_targetILNS1_3genE9ELNS1_11target_archE1100ELNS1_3gpuE3ELNS1_3repE0EEENS1_30default_config_static_selectorELNS0_4arch9wavefront6targetE0EEEvSV_.uses_vcc, 0
	.set _ZN7rocprim17ROCPRIM_400000_NS6detail17trampoline_kernelINS0_14default_configENS1_27upper_bound_config_selectorIilEEZNS1_14transform_implILb0ES3_S5_N6thrust23THRUST_200600_302600_NS6detail15normal_iteratorINS8_7pointerIiNS8_11hip_rocprim3tagENS8_11use_defaultESE_EEEENSA_INSB_IlSD_SE_SE_EEEEZNS1_13binary_searchIS3_S5_NSA_INSB_IiSD_RiSE_EEEESG_SI_NS1_21upper_bound_search_opENS9_16wrapped_functionINS8_7greaterIiEEbEEEE10hipError_tPvRmT1_T2_T3_mmT4_T5_P12ihipStream_tbEUlRKiE_EESS_SW_SX_mSY_S11_bEUlT_E_NS1_11comp_targetILNS1_3genE9ELNS1_11target_archE1100ELNS1_3gpuE3ELNS1_3repE0EEENS1_30default_config_static_selectorELNS0_4arch9wavefront6targetE0EEEvSV_.uses_flat_scratch, 0
	.set _ZN7rocprim17ROCPRIM_400000_NS6detail17trampoline_kernelINS0_14default_configENS1_27upper_bound_config_selectorIilEEZNS1_14transform_implILb0ES3_S5_N6thrust23THRUST_200600_302600_NS6detail15normal_iteratorINS8_7pointerIiNS8_11hip_rocprim3tagENS8_11use_defaultESE_EEEENSA_INSB_IlSD_SE_SE_EEEEZNS1_13binary_searchIS3_S5_NSA_INSB_IiSD_RiSE_EEEESG_SI_NS1_21upper_bound_search_opENS9_16wrapped_functionINS8_7greaterIiEEbEEEE10hipError_tPvRmT1_T2_T3_mmT4_T5_P12ihipStream_tbEUlRKiE_EESS_SW_SX_mSY_S11_bEUlT_E_NS1_11comp_targetILNS1_3genE9ELNS1_11target_archE1100ELNS1_3gpuE3ELNS1_3repE0EEENS1_30default_config_static_selectorELNS0_4arch9wavefront6targetE0EEEvSV_.has_dyn_sized_stack, 0
	.set _ZN7rocprim17ROCPRIM_400000_NS6detail17trampoline_kernelINS0_14default_configENS1_27upper_bound_config_selectorIilEEZNS1_14transform_implILb0ES3_S5_N6thrust23THRUST_200600_302600_NS6detail15normal_iteratorINS8_7pointerIiNS8_11hip_rocprim3tagENS8_11use_defaultESE_EEEENSA_INSB_IlSD_SE_SE_EEEEZNS1_13binary_searchIS3_S5_NSA_INSB_IiSD_RiSE_EEEESG_SI_NS1_21upper_bound_search_opENS9_16wrapped_functionINS8_7greaterIiEEbEEEE10hipError_tPvRmT1_T2_T3_mmT4_T5_P12ihipStream_tbEUlRKiE_EESS_SW_SX_mSY_S11_bEUlT_E_NS1_11comp_targetILNS1_3genE9ELNS1_11target_archE1100ELNS1_3gpuE3ELNS1_3repE0EEENS1_30default_config_static_selectorELNS0_4arch9wavefront6targetE0EEEvSV_.has_recursion, 0
	.set _ZN7rocprim17ROCPRIM_400000_NS6detail17trampoline_kernelINS0_14default_configENS1_27upper_bound_config_selectorIilEEZNS1_14transform_implILb0ES3_S5_N6thrust23THRUST_200600_302600_NS6detail15normal_iteratorINS8_7pointerIiNS8_11hip_rocprim3tagENS8_11use_defaultESE_EEEENSA_INSB_IlSD_SE_SE_EEEEZNS1_13binary_searchIS3_S5_NSA_INSB_IiSD_RiSE_EEEESG_SI_NS1_21upper_bound_search_opENS9_16wrapped_functionINS8_7greaterIiEEbEEEE10hipError_tPvRmT1_T2_T3_mmT4_T5_P12ihipStream_tbEUlRKiE_EESS_SW_SX_mSY_S11_bEUlT_E_NS1_11comp_targetILNS1_3genE9ELNS1_11target_archE1100ELNS1_3gpuE3ELNS1_3repE0EEENS1_30default_config_static_selectorELNS0_4arch9wavefront6targetE0EEEvSV_.has_indirect_call, 0
	.section	.AMDGPU.csdata,"",@progbits
; Kernel info:
; codeLenInByte = 0
; TotalNumSgprs: 0
; NumVgprs: 0
; ScratchSize: 0
; MemoryBound: 0
; FloatMode: 240
; IeeeMode: 1
; LDSByteSize: 0 bytes/workgroup (compile time only)
; SGPRBlocks: 0
; VGPRBlocks: 0
; NumSGPRsForWavesPerEU: 1
; NumVGPRsForWavesPerEU: 1
; NamedBarCnt: 0
; Occupancy: 16
; WaveLimiterHint : 0
; COMPUTE_PGM_RSRC2:SCRATCH_EN: 0
; COMPUTE_PGM_RSRC2:USER_SGPR: 2
; COMPUTE_PGM_RSRC2:TRAP_HANDLER: 0
; COMPUTE_PGM_RSRC2:TGID_X_EN: 1
; COMPUTE_PGM_RSRC2:TGID_Y_EN: 0
; COMPUTE_PGM_RSRC2:TGID_Z_EN: 0
; COMPUTE_PGM_RSRC2:TIDIG_COMP_CNT: 0
	.section	.text._ZN7rocprim17ROCPRIM_400000_NS6detail17trampoline_kernelINS0_14default_configENS1_27upper_bound_config_selectorIilEEZNS1_14transform_implILb0ES3_S5_N6thrust23THRUST_200600_302600_NS6detail15normal_iteratorINS8_7pointerIiNS8_11hip_rocprim3tagENS8_11use_defaultESE_EEEENSA_INSB_IlSD_SE_SE_EEEEZNS1_13binary_searchIS3_S5_NSA_INSB_IiSD_RiSE_EEEESG_SI_NS1_21upper_bound_search_opENS9_16wrapped_functionINS8_7greaterIiEEbEEEE10hipError_tPvRmT1_T2_T3_mmT4_T5_P12ihipStream_tbEUlRKiE_EESS_SW_SX_mSY_S11_bEUlT_E_NS1_11comp_targetILNS1_3genE8ELNS1_11target_archE1030ELNS1_3gpuE2ELNS1_3repE0EEENS1_30default_config_static_selectorELNS0_4arch9wavefront6targetE0EEEvSV_,"axG",@progbits,_ZN7rocprim17ROCPRIM_400000_NS6detail17trampoline_kernelINS0_14default_configENS1_27upper_bound_config_selectorIilEEZNS1_14transform_implILb0ES3_S5_N6thrust23THRUST_200600_302600_NS6detail15normal_iteratorINS8_7pointerIiNS8_11hip_rocprim3tagENS8_11use_defaultESE_EEEENSA_INSB_IlSD_SE_SE_EEEEZNS1_13binary_searchIS3_S5_NSA_INSB_IiSD_RiSE_EEEESG_SI_NS1_21upper_bound_search_opENS9_16wrapped_functionINS8_7greaterIiEEbEEEE10hipError_tPvRmT1_T2_T3_mmT4_T5_P12ihipStream_tbEUlRKiE_EESS_SW_SX_mSY_S11_bEUlT_E_NS1_11comp_targetILNS1_3genE8ELNS1_11target_archE1030ELNS1_3gpuE2ELNS1_3repE0EEENS1_30default_config_static_selectorELNS0_4arch9wavefront6targetE0EEEvSV_,comdat
	.protected	_ZN7rocprim17ROCPRIM_400000_NS6detail17trampoline_kernelINS0_14default_configENS1_27upper_bound_config_selectorIilEEZNS1_14transform_implILb0ES3_S5_N6thrust23THRUST_200600_302600_NS6detail15normal_iteratorINS8_7pointerIiNS8_11hip_rocprim3tagENS8_11use_defaultESE_EEEENSA_INSB_IlSD_SE_SE_EEEEZNS1_13binary_searchIS3_S5_NSA_INSB_IiSD_RiSE_EEEESG_SI_NS1_21upper_bound_search_opENS9_16wrapped_functionINS8_7greaterIiEEbEEEE10hipError_tPvRmT1_T2_T3_mmT4_T5_P12ihipStream_tbEUlRKiE_EESS_SW_SX_mSY_S11_bEUlT_E_NS1_11comp_targetILNS1_3genE8ELNS1_11target_archE1030ELNS1_3gpuE2ELNS1_3repE0EEENS1_30default_config_static_selectorELNS0_4arch9wavefront6targetE0EEEvSV_ ; -- Begin function _ZN7rocprim17ROCPRIM_400000_NS6detail17trampoline_kernelINS0_14default_configENS1_27upper_bound_config_selectorIilEEZNS1_14transform_implILb0ES3_S5_N6thrust23THRUST_200600_302600_NS6detail15normal_iteratorINS8_7pointerIiNS8_11hip_rocprim3tagENS8_11use_defaultESE_EEEENSA_INSB_IlSD_SE_SE_EEEEZNS1_13binary_searchIS3_S5_NSA_INSB_IiSD_RiSE_EEEESG_SI_NS1_21upper_bound_search_opENS9_16wrapped_functionINS8_7greaterIiEEbEEEE10hipError_tPvRmT1_T2_T3_mmT4_T5_P12ihipStream_tbEUlRKiE_EESS_SW_SX_mSY_S11_bEUlT_E_NS1_11comp_targetILNS1_3genE8ELNS1_11target_archE1030ELNS1_3gpuE2ELNS1_3repE0EEENS1_30default_config_static_selectorELNS0_4arch9wavefront6targetE0EEEvSV_
	.globl	_ZN7rocprim17ROCPRIM_400000_NS6detail17trampoline_kernelINS0_14default_configENS1_27upper_bound_config_selectorIilEEZNS1_14transform_implILb0ES3_S5_N6thrust23THRUST_200600_302600_NS6detail15normal_iteratorINS8_7pointerIiNS8_11hip_rocprim3tagENS8_11use_defaultESE_EEEENSA_INSB_IlSD_SE_SE_EEEEZNS1_13binary_searchIS3_S5_NSA_INSB_IiSD_RiSE_EEEESG_SI_NS1_21upper_bound_search_opENS9_16wrapped_functionINS8_7greaterIiEEbEEEE10hipError_tPvRmT1_T2_T3_mmT4_T5_P12ihipStream_tbEUlRKiE_EESS_SW_SX_mSY_S11_bEUlT_E_NS1_11comp_targetILNS1_3genE8ELNS1_11target_archE1030ELNS1_3gpuE2ELNS1_3repE0EEENS1_30default_config_static_selectorELNS0_4arch9wavefront6targetE0EEEvSV_
	.p2align	8
	.type	_ZN7rocprim17ROCPRIM_400000_NS6detail17trampoline_kernelINS0_14default_configENS1_27upper_bound_config_selectorIilEEZNS1_14transform_implILb0ES3_S5_N6thrust23THRUST_200600_302600_NS6detail15normal_iteratorINS8_7pointerIiNS8_11hip_rocprim3tagENS8_11use_defaultESE_EEEENSA_INSB_IlSD_SE_SE_EEEEZNS1_13binary_searchIS3_S5_NSA_INSB_IiSD_RiSE_EEEESG_SI_NS1_21upper_bound_search_opENS9_16wrapped_functionINS8_7greaterIiEEbEEEE10hipError_tPvRmT1_T2_T3_mmT4_T5_P12ihipStream_tbEUlRKiE_EESS_SW_SX_mSY_S11_bEUlT_E_NS1_11comp_targetILNS1_3genE8ELNS1_11target_archE1030ELNS1_3gpuE2ELNS1_3repE0EEENS1_30default_config_static_selectorELNS0_4arch9wavefront6targetE0EEEvSV_,@function
_ZN7rocprim17ROCPRIM_400000_NS6detail17trampoline_kernelINS0_14default_configENS1_27upper_bound_config_selectorIilEEZNS1_14transform_implILb0ES3_S5_N6thrust23THRUST_200600_302600_NS6detail15normal_iteratorINS8_7pointerIiNS8_11hip_rocprim3tagENS8_11use_defaultESE_EEEENSA_INSB_IlSD_SE_SE_EEEEZNS1_13binary_searchIS3_S5_NSA_INSB_IiSD_RiSE_EEEESG_SI_NS1_21upper_bound_search_opENS9_16wrapped_functionINS8_7greaterIiEEbEEEE10hipError_tPvRmT1_T2_T3_mmT4_T5_P12ihipStream_tbEUlRKiE_EESS_SW_SX_mSY_S11_bEUlT_E_NS1_11comp_targetILNS1_3genE8ELNS1_11target_archE1030ELNS1_3gpuE2ELNS1_3repE0EEENS1_30default_config_static_selectorELNS0_4arch9wavefront6targetE0EEEvSV_: ; @_ZN7rocprim17ROCPRIM_400000_NS6detail17trampoline_kernelINS0_14default_configENS1_27upper_bound_config_selectorIilEEZNS1_14transform_implILb0ES3_S5_N6thrust23THRUST_200600_302600_NS6detail15normal_iteratorINS8_7pointerIiNS8_11hip_rocprim3tagENS8_11use_defaultESE_EEEENSA_INSB_IlSD_SE_SE_EEEEZNS1_13binary_searchIS3_S5_NSA_INSB_IiSD_RiSE_EEEESG_SI_NS1_21upper_bound_search_opENS9_16wrapped_functionINS8_7greaterIiEEbEEEE10hipError_tPvRmT1_T2_T3_mmT4_T5_P12ihipStream_tbEUlRKiE_EESS_SW_SX_mSY_S11_bEUlT_E_NS1_11comp_targetILNS1_3genE8ELNS1_11target_archE1030ELNS1_3gpuE2ELNS1_3repE0EEENS1_30default_config_static_selectorELNS0_4arch9wavefront6targetE0EEEvSV_
; %bb.0:
	.section	.rodata,"a",@progbits
	.p2align	6, 0x0
	.amdhsa_kernel _ZN7rocprim17ROCPRIM_400000_NS6detail17trampoline_kernelINS0_14default_configENS1_27upper_bound_config_selectorIilEEZNS1_14transform_implILb0ES3_S5_N6thrust23THRUST_200600_302600_NS6detail15normal_iteratorINS8_7pointerIiNS8_11hip_rocprim3tagENS8_11use_defaultESE_EEEENSA_INSB_IlSD_SE_SE_EEEEZNS1_13binary_searchIS3_S5_NSA_INSB_IiSD_RiSE_EEEESG_SI_NS1_21upper_bound_search_opENS9_16wrapped_functionINS8_7greaterIiEEbEEEE10hipError_tPvRmT1_T2_T3_mmT4_T5_P12ihipStream_tbEUlRKiE_EESS_SW_SX_mSY_S11_bEUlT_E_NS1_11comp_targetILNS1_3genE8ELNS1_11target_archE1030ELNS1_3gpuE2ELNS1_3repE0EEENS1_30default_config_static_selectorELNS0_4arch9wavefront6targetE0EEEvSV_
		.amdhsa_group_segment_fixed_size 0
		.amdhsa_private_segment_fixed_size 0
		.amdhsa_kernarg_size 56
		.amdhsa_user_sgpr_count 2
		.amdhsa_user_sgpr_dispatch_ptr 0
		.amdhsa_user_sgpr_queue_ptr 0
		.amdhsa_user_sgpr_kernarg_segment_ptr 1
		.amdhsa_user_sgpr_dispatch_id 0
		.amdhsa_user_sgpr_kernarg_preload_length 0
		.amdhsa_user_sgpr_kernarg_preload_offset 0
		.amdhsa_user_sgpr_private_segment_size 0
		.amdhsa_wavefront_size32 1
		.amdhsa_uses_dynamic_stack 0
		.amdhsa_enable_private_segment 0
		.amdhsa_system_sgpr_workgroup_id_x 1
		.amdhsa_system_sgpr_workgroup_id_y 0
		.amdhsa_system_sgpr_workgroup_id_z 0
		.amdhsa_system_sgpr_workgroup_info 0
		.amdhsa_system_vgpr_workitem_id 0
		.amdhsa_next_free_vgpr 1
		.amdhsa_next_free_sgpr 1
		.amdhsa_named_barrier_count 0
		.amdhsa_reserve_vcc 0
		.amdhsa_float_round_mode_32 0
		.amdhsa_float_round_mode_16_64 0
		.amdhsa_float_denorm_mode_32 3
		.amdhsa_float_denorm_mode_16_64 3
		.amdhsa_fp16_overflow 0
		.amdhsa_memory_ordered 1
		.amdhsa_forward_progress 1
		.amdhsa_inst_pref_size 0
		.amdhsa_round_robin_scheduling 0
		.amdhsa_exception_fp_ieee_invalid_op 0
		.amdhsa_exception_fp_denorm_src 0
		.amdhsa_exception_fp_ieee_div_zero 0
		.amdhsa_exception_fp_ieee_overflow 0
		.amdhsa_exception_fp_ieee_underflow 0
		.amdhsa_exception_fp_ieee_inexact 0
		.amdhsa_exception_int_div_zero 0
	.end_amdhsa_kernel
	.section	.text._ZN7rocprim17ROCPRIM_400000_NS6detail17trampoline_kernelINS0_14default_configENS1_27upper_bound_config_selectorIilEEZNS1_14transform_implILb0ES3_S5_N6thrust23THRUST_200600_302600_NS6detail15normal_iteratorINS8_7pointerIiNS8_11hip_rocprim3tagENS8_11use_defaultESE_EEEENSA_INSB_IlSD_SE_SE_EEEEZNS1_13binary_searchIS3_S5_NSA_INSB_IiSD_RiSE_EEEESG_SI_NS1_21upper_bound_search_opENS9_16wrapped_functionINS8_7greaterIiEEbEEEE10hipError_tPvRmT1_T2_T3_mmT4_T5_P12ihipStream_tbEUlRKiE_EESS_SW_SX_mSY_S11_bEUlT_E_NS1_11comp_targetILNS1_3genE8ELNS1_11target_archE1030ELNS1_3gpuE2ELNS1_3repE0EEENS1_30default_config_static_selectorELNS0_4arch9wavefront6targetE0EEEvSV_,"axG",@progbits,_ZN7rocprim17ROCPRIM_400000_NS6detail17trampoline_kernelINS0_14default_configENS1_27upper_bound_config_selectorIilEEZNS1_14transform_implILb0ES3_S5_N6thrust23THRUST_200600_302600_NS6detail15normal_iteratorINS8_7pointerIiNS8_11hip_rocprim3tagENS8_11use_defaultESE_EEEENSA_INSB_IlSD_SE_SE_EEEEZNS1_13binary_searchIS3_S5_NSA_INSB_IiSD_RiSE_EEEESG_SI_NS1_21upper_bound_search_opENS9_16wrapped_functionINS8_7greaterIiEEbEEEE10hipError_tPvRmT1_T2_T3_mmT4_T5_P12ihipStream_tbEUlRKiE_EESS_SW_SX_mSY_S11_bEUlT_E_NS1_11comp_targetILNS1_3genE8ELNS1_11target_archE1030ELNS1_3gpuE2ELNS1_3repE0EEENS1_30default_config_static_selectorELNS0_4arch9wavefront6targetE0EEEvSV_,comdat
.Lfunc_end139:
	.size	_ZN7rocprim17ROCPRIM_400000_NS6detail17trampoline_kernelINS0_14default_configENS1_27upper_bound_config_selectorIilEEZNS1_14transform_implILb0ES3_S5_N6thrust23THRUST_200600_302600_NS6detail15normal_iteratorINS8_7pointerIiNS8_11hip_rocprim3tagENS8_11use_defaultESE_EEEENSA_INSB_IlSD_SE_SE_EEEEZNS1_13binary_searchIS3_S5_NSA_INSB_IiSD_RiSE_EEEESG_SI_NS1_21upper_bound_search_opENS9_16wrapped_functionINS8_7greaterIiEEbEEEE10hipError_tPvRmT1_T2_T3_mmT4_T5_P12ihipStream_tbEUlRKiE_EESS_SW_SX_mSY_S11_bEUlT_E_NS1_11comp_targetILNS1_3genE8ELNS1_11target_archE1030ELNS1_3gpuE2ELNS1_3repE0EEENS1_30default_config_static_selectorELNS0_4arch9wavefront6targetE0EEEvSV_, .Lfunc_end139-_ZN7rocprim17ROCPRIM_400000_NS6detail17trampoline_kernelINS0_14default_configENS1_27upper_bound_config_selectorIilEEZNS1_14transform_implILb0ES3_S5_N6thrust23THRUST_200600_302600_NS6detail15normal_iteratorINS8_7pointerIiNS8_11hip_rocprim3tagENS8_11use_defaultESE_EEEENSA_INSB_IlSD_SE_SE_EEEEZNS1_13binary_searchIS3_S5_NSA_INSB_IiSD_RiSE_EEEESG_SI_NS1_21upper_bound_search_opENS9_16wrapped_functionINS8_7greaterIiEEbEEEE10hipError_tPvRmT1_T2_T3_mmT4_T5_P12ihipStream_tbEUlRKiE_EESS_SW_SX_mSY_S11_bEUlT_E_NS1_11comp_targetILNS1_3genE8ELNS1_11target_archE1030ELNS1_3gpuE2ELNS1_3repE0EEENS1_30default_config_static_selectorELNS0_4arch9wavefront6targetE0EEEvSV_
                                        ; -- End function
	.set _ZN7rocprim17ROCPRIM_400000_NS6detail17trampoline_kernelINS0_14default_configENS1_27upper_bound_config_selectorIilEEZNS1_14transform_implILb0ES3_S5_N6thrust23THRUST_200600_302600_NS6detail15normal_iteratorINS8_7pointerIiNS8_11hip_rocprim3tagENS8_11use_defaultESE_EEEENSA_INSB_IlSD_SE_SE_EEEEZNS1_13binary_searchIS3_S5_NSA_INSB_IiSD_RiSE_EEEESG_SI_NS1_21upper_bound_search_opENS9_16wrapped_functionINS8_7greaterIiEEbEEEE10hipError_tPvRmT1_T2_T3_mmT4_T5_P12ihipStream_tbEUlRKiE_EESS_SW_SX_mSY_S11_bEUlT_E_NS1_11comp_targetILNS1_3genE8ELNS1_11target_archE1030ELNS1_3gpuE2ELNS1_3repE0EEENS1_30default_config_static_selectorELNS0_4arch9wavefront6targetE0EEEvSV_.num_vgpr, 0
	.set _ZN7rocprim17ROCPRIM_400000_NS6detail17trampoline_kernelINS0_14default_configENS1_27upper_bound_config_selectorIilEEZNS1_14transform_implILb0ES3_S5_N6thrust23THRUST_200600_302600_NS6detail15normal_iteratorINS8_7pointerIiNS8_11hip_rocprim3tagENS8_11use_defaultESE_EEEENSA_INSB_IlSD_SE_SE_EEEEZNS1_13binary_searchIS3_S5_NSA_INSB_IiSD_RiSE_EEEESG_SI_NS1_21upper_bound_search_opENS9_16wrapped_functionINS8_7greaterIiEEbEEEE10hipError_tPvRmT1_T2_T3_mmT4_T5_P12ihipStream_tbEUlRKiE_EESS_SW_SX_mSY_S11_bEUlT_E_NS1_11comp_targetILNS1_3genE8ELNS1_11target_archE1030ELNS1_3gpuE2ELNS1_3repE0EEENS1_30default_config_static_selectorELNS0_4arch9wavefront6targetE0EEEvSV_.num_agpr, 0
	.set _ZN7rocprim17ROCPRIM_400000_NS6detail17trampoline_kernelINS0_14default_configENS1_27upper_bound_config_selectorIilEEZNS1_14transform_implILb0ES3_S5_N6thrust23THRUST_200600_302600_NS6detail15normal_iteratorINS8_7pointerIiNS8_11hip_rocprim3tagENS8_11use_defaultESE_EEEENSA_INSB_IlSD_SE_SE_EEEEZNS1_13binary_searchIS3_S5_NSA_INSB_IiSD_RiSE_EEEESG_SI_NS1_21upper_bound_search_opENS9_16wrapped_functionINS8_7greaterIiEEbEEEE10hipError_tPvRmT1_T2_T3_mmT4_T5_P12ihipStream_tbEUlRKiE_EESS_SW_SX_mSY_S11_bEUlT_E_NS1_11comp_targetILNS1_3genE8ELNS1_11target_archE1030ELNS1_3gpuE2ELNS1_3repE0EEENS1_30default_config_static_selectorELNS0_4arch9wavefront6targetE0EEEvSV_.numbered_sgpr, 0
	.set _ZN7rocprim17ROCPRIM_400000_NS6detail17trampoline_kernelINS0_14default_configENS1_27upper_bound_config_selectorIilEEZNS1_14transform_implILb0ES3_S5_N6thrust23THRUST_200600_302600_NS6detail15normal_iteratorINS8_7pointerIiNS8_11hip_rocprim3tagENS8_11use_defaultESE_EEEENSA_INSB_IlSD_SE_SE_EEEEZNS1_13binary_searchIS3_S5_NSA_INSB_IiSD_RiSE_EEEESG_SI_NS1_21upper_bound_search_opENS9_16wrapped_functionINS8_7greaterIiEEbEEEE10hipError_tPvRmT1_T2_T3_mmT4_T5_P12ihipStream_tbEUlRKiE_EESS_SW_SX_mSY_S11_bEUlT_E_NS1_11comp_targetILNS1_3genE8ELNS1_11target_archE1030ELNS1_3gpuE2ELNS1_3repE0EEENS1_30default_config_static_selectorELNS0_4arch9wavefront6targetE0EEEvSV_.num_named_barrier, 0
	.set _ZN7rocprim17ROCPRIM_400000_NS6detail17trampoline_kernelINS0_14default_configENS1_27upper_bound_config_selectorIilEEZNS1_14transform_implILb0ES3_S5_N6thrust23THRUST_200600_302600_NS6detail15normal_iteratorINS8_7pointerIiNS8_11hip_rocprim3tagENS8_11use_defaultESE_EEEENSA_INSB_IlSD_SE_SE_EEEEZNS1_13binary_searchIS3_S5_NSA_INSB_IiSD_RiSE_EEEESG_SI_NS1_21upper_bound_search_opENS9_16wrapped_functionINS8_7greaterIiEEbEEEE10hipError_tPvRmT1_T2_T3_mmT4_T5_P12ihipStream_tbEUlRKiE_EESS_SW_SX_mSY_S11_bEUlT_E_NS1_11comp_targetILNS1_3genE8ELNS1_11target_archE1030ELNS1_3gpuE2ELNS1_3repE0EEENS1_30default_config_static_selectorELNS0_4arch9wavefront6targetE0EEEvSV_.private_seg_size, 0
	.set _ZN7rocprim17ROCPRIM_400000_NS6detail17trampoline_kernelINS0_14default_configENS1_27upper_bound_config_selectorIilEEZNS1_14transform_implILb0ES3_S5_N6thrust23THRUST_200600_302600_NS6detail15normal_iteratorINS8_7pointerIiNS8_11hip_rocprim3tagENS8_11use_defaultESE_EEEENSA_INSB_IlSD_SE_SE_EEEEZNS1_13binary_searchIS3_S5_NSA_INSB_IiSD_RiSE_EEEESG_SI_NS1_21upper_bound_search_opENS9_16wrapped_functionINS8_7greaterIiEEbEEEE10hipError_tPvRmT1_T2_T3_mmT4_T5_P12ihipStream_tbEUlRKiE_EESS_SW_SX_mSY_S11_bEUlT_E_NS1_11comp_targetILNS1_3genE8ELNS1_11target_archE1030ELNS1_3gpuE2ELNS1_3repE0EEENS1_30default_config_static_selectorELNS0_4arch9wavefront6targetE0EEEvSV_.uses_vcc, 0
	.set _ZN7rocprim17ROCPRIM_400000_NS6detail17trampoline_kernelINS0_14default_configENS1_27upper_bound_config_selectorIilEEZNS1_14transform_implILb0ES3_S5_N6thrust23THRUST_200600_302600_NS6detail15normal_iteratorINS8_7pointerIiNS8_11hip_rocprim3tagENS8_11use_defaultESE_EEEENSA_INSB_IlSD_SE_SE_EEEEZNS1_13binary_searchIS3_S5_NSA_INSB_IiSD_RiSE_EEEESG_SI_NS1_21upper_bound_search_opENS9_16wrapped_functionINS8_7greaterIiEEbEEEE10hipError_tPvRmT1_T2_T3_mmT4_T5_P12ihipStream_tbEUlRKiE_EESS_SW_SX_mSY_S11_bEUlT_E_NS1_11comp_targetILNS1_3genE8ELNS1_11target_archE1030ELNS1_3gpuE2ELNS1_3repE0EEENS1_30default_config_static_selectorELNS0_4arch9wavefront6targetE0EEEvSV_.uses_flat_scratch, 0
	.set _ZN7rocprim17ROCPRIM_400000_NS6detail17trampoline_kernelINS0_14default_configENS1_27upper_bound_config_selectorIilEEZNS1_14transform_implILb0ES3_S5_N6thrust23THRUST_200600_302600_NS6detail15normal_iteratorINS8_7pointerIiNS8_11hip_rocprim3tagENS8_11use_defaultESE_EEEENSA_INSB_IlSD_SE_SE_EEEEZNS1_13binary_searchIS3_S5_NSA_INSB_IiSD_RiSE_EEEESG_SI_NS1_21upper_bound_search_opENS9_16wrapped_functionINS8_7greaterIiEEbEEEE10hipError_tPvRmT1_T2_T3_mmT4_T5_P12ihipStream_tbEUlRKiE_EESS_SW_SX_mSY_S11_bEUlT_E_NS1_11comp_targetILNS1_3genE8ELNS1_11target_archE1030ELNS1_3gpuE2ELNS1_3repE0EEENS1_30default_config_static_selectorELNS0_4arch9wavefront6targetE0EEEvSV_.has_dyn_sized_stack, 0
	.set _ZN7rocprim17ROCPRIM_400000_NS6detail17trampoline_kernelINS0_14default_configENS1_27upper_bound_config_selectorIilEEZNS1_14transform_implILb0ES3_S5_N6thrust23THRUST_200600_302600_NS6detail15normal_iteratorINS8_7pointerIiNS8_11hip_rocprim3tagENS8_11use_defaultESE_EEEENSA_INSB_IlSD_SE_SE_EEEEZNS1_13binary_searchIS3_S5_NSA_INSB_IiSD_RiSE_EEEESG_SI_NS1_21upper_bound_search_opENS9_16wrapped_functionINS8_7greaterIiEEbEEEE10hipError_tPvRmT1_T2_T3_mmT4_T5_P12ihipStream_tbEUlRKiE_EESS_SW_SX_mSY_S11_bEUlT_E_NS1_11comp_targetILNS1_3genE8ELNS1_11target_archE1030ELNS1_3gpuE2ELNS1_3repE0EEENS1_30default_config_static_selectorELNS0_4arch9wavefront6targetE0EEEvSV_.has_recursion, 0
	.set _ZN7rocprim17ROCPRIM_400000_NS6detail17trampoline_kernelINS0_14default_configENS1_27upper_bound_config_selectorIilEEZNS1_14transform_implILb0ES3_S5_N6thrust23THRUST_200600_302600_NS6detail15normal_iteratorINS8_7pointerIiNS8_11hip_rocprim3tagENS8_11use_defaultESE_EEEENSA_INSB_IlSD_SE_SE_EEEEZNS1_13binary_searchIS3_S5_NSA_INSB_IiSD_RiSE_EEEESG_SI_NS1_21upper_bound_search_opENS9_16wrapped_functionINS8_7greaterIiEEbEEEE10hipError_tPvRmT1_T2_T3_mmT4_T5_P12ihipStream_tbEUlRKiE_EESS_SW_SX_mSY_S11_bEUlT_E_NS1_11comp_targetILNS1_3genE8ELNS1_11target_archE1030ELNS1_3gpuE2ELNS1_3repE0EEENS1_30default_config_static_selectorELNS0_4arch9wavefront6targetE0EEEvSV_.has_indirect_call, 0
	.section	.AMDGPU.csdata,"",@progbits
; Kernel info:
; codeLenInByte = 0
; TotalNumSgprs: 0
; NumVgprs: 0
; ScratchSize: 0
; MemoryBound: 0
; FloatMode: 240
; IeeeMode: 1
; LDSByteSize: 0 bytes/workgroup (compile time only)
; SGPRBlocks: 0
; VGPRBlocks: 0
; NumSGPRsForWavesPerEU: 1
; NumVGPRsForWavesPerEU: 1
; NamedBarCnt: 0
; Occupancy: 16
; WaveLimiterHint : 0
; COMPUTE_PGM_RSRC2:SCRATCH_EN: 0
; COMPUTE_PGM_RSRC2:USER_SGPR: 2
; COMPUTE_PGM_RSRC2:TRAP_HANDLER: 0
; COMPUTE_PGM_RSRC2:TGID_X_EN: 1
; COMPUTE_PGM_RSRC2:TGID_Y_EN: 0
; COMPUTE_PGM_RSRC2:TGID_Z_EN: 0
; COMPUTE_PGM_RSRC2:TIDIG_COMP_CNT: 0
	.section	.text._ZN7rocprim17ROCPRIM_400000_NS6detail17trampoline_kernelINS0_14default_configENS1_29binary_search_config_selectorIaiEEZNS1_14transform_implILb0ES3_S5_N6thrust23THRUST_200600_302600_NS6detail15normal_iteratorINS8_7pointerIaNS8_11hip_rocprim3tagENS8_11use_defaultESE_EEEENSA_INSB_IiSD_SE_SE_EEEEZNS1_13binary_searchIS3_S5_NSA_INS8_10device_ptrIaEEEESG_SI_NS1_16binary_search_opENS9_16wrapped_functionINS8_7greaterIaEEbEEEE10hipError_tPvRmT1_T2_T3_mmT4_T5_P12ihipStream_tbEUlRKaE_EESS_SW_SX_mSY_S11_bEUlT_E_NS1_11comp_targetILNS1_3genE0ELNS1_11target_archE4294967295ELNS1_3gpuE0ELNS1_3repE0EEENS1_30default_config_static_selectorELNS0_4arch9wavefront6targetE0EEEvSV_,"axG",@progbits,_ZN7rocprim17ROCPRIM_400000_NS6detail17trampoline_kernelINS0_14default_configENS1_29binary_search_config_selectorIaiEEZNS1_14transform_implILb0ES3_S5_N6thrust23THRUST_200600_302600_NS6detail15normal_iteratorINS8_7pointerIaNS8_11hip_rocprim3tagENS8_11use_defaultESE_EEEENSA_INSB_IiSD_SE_SE_EEEEZNS1_13binary_searchIS3_S5_NSA_INS8_10device_ptrIaEEEESG_SI_NS1_16binary_search_opENS9_16wrapped_functionINS8_7greaterIaEEbEEEE10hipError_tPvRmT1_T2_T3_mmT4_T5_P12ihipStream_tbEUlRKaE_EESS_SW_SX_mSY_S11_bEUlT_E_NS1_11comp_targetILNS1_3genE0ELNS1_11target_archE4294967295ELNS1_3gpuE0ELNS1_3repE0EEENS1_30default_config_static_selectorELNS0_4arch9wavefront6targetE0EEEvSV_,comdat
	.protected	_ZN7rocprim17ROCPRIM_400000_NS6detail17trampoline_kernelINS0_14default_configENS1_29binary_search_config_selectorIaiEEZNS1_14transform_implILb0ES3_S5_N6thrust23THRUST_200600_302600_NS6detail15normal_iteratorINS8_7pointerIaNS8_11hip_rocprim3tagENS8_11use_defaultESE_EEEENSA_INSB_IiSD_SE_SE_EEEEZNS1_13binary_searchIS3_S5_NSA_INS8_10device_ptrIaEEEESG_SI_NS1_16binary_search_opENS9_16wrapped_functionINS8_7greaterIaEEbEEEE10hipError_tPvRmT1_T2_T3_mmT4_T5_P12ihipStream_tbEUlRKaE_EESS_SW_SX_mSY_S11_bEUlT_E_NS1_11comp_targetILNS1_3genE0ELNS1_11target_archE4294967295ELNS1_3gpuE0ELNS1_3repE0EEENS1_30default_config_static_selectorELNS0_4arch9wavefront6targetE0EEEvSV_ ; -- Begin function _ZN7rocprim17ROCPRIM_400000_NS6detail17trampoline_kernelINS0_14default_configENS1_29binary_search_config_selectorIaiEEZNS1_14transform_implILb0ES3_S5_N6thrust23THRUST_200600_302600_NS6detail15normal_iteratorINS8_7pointerIaNS8_11hip_rocprim3tagENS8_11use_defaultESE_EEEENSA_INSB_IiSD_SE_SE_EEEEZNS1_13binary_searchIS3_S5_NSA_INS8_10device_ptrIaEEEESG_SI_NS1_16binary_search_opENS9_16wrapped_functionINS8_7greaterIaEEbEEEE10hipError_tPvRmT1_T2_T3_mmT4_T5_P12ihipStream_tbEUlRKaE_EESS_SW_SX_mSY_S11_bEUlT_E_NS1_11comp_targetILNS1_3genE0ELNS1_11target_archE4294967295ELNS1_3gpuE0ELNS1_3repE0EEENS1_30default_config_static_selectorELNS0_4arch9wavefront6targetE0EEEvSV_
	.globl	_ZN7rocprim17ROCPRIM_400000_NS6detail17trampoline_kernelINS0_14default_configENS1_29binary_search_config_selectorIaiEEZNS1_14transform_implILb0ES3_S5_N6thrust23THRUST_200600_302600_NS6detail15normal_iteratorINS8_7pointerIaNS8_11hip_rocprim3tagENS8_11use_defaultESE_EEEENSA_INSB_IiSD_SE_SE_EEEEZNS1_13binary_searchIS3_S5_NSA_INS8_10device_ptrIaEEEESG_SI_NS1_16binary_search_opENS9_16wrapped_functionINS8_7greaterIaEEbEEEE10hipError_tPvRmT1_T2_T3_mmT4_T5_P12ihipStream_tbEUlRKaE_EESS_SW_SX_mSY_S11_bEUlT_E_NS1_11comp_targetILNS1_3genE0ELNS1_11target_archE4294967295ELNS1_3gpuE0ELNS1_3repE0EEENS1_30default_config_static_selectorELNS0_4arch9wavefront6targetE0EEEvSV_
	.p2align	8
	.type	_ZN7rocprim17ROCPRIM_400000_NS6detail17trampoline_kernelINS0_14default_configENS1_29binary_search_config_selectorIaiEEZNS1_14transform_implILb0ES3_S5_N6thrust23THRUST_200600_302600_NS6detail15normal_iteratorINS8_7pointerIaNS8_11hip_rocprim3tagENS8_11use_defaultESE_EEEENSA_INSB_IiSD_SE_SE_EEEEZNS1_13binary_searchIS3_S5_NSA_INS8_10device_ptrIaEEEESG_SI_NS1_16binary_search_opENS9_16wrapped_functionINS8_7greaterIaEEbEEEE10hipError_tPvRmT1_T2_T3_mmT4_T5_P12ihipStream_tbEUlRKaE_EESS_SW_SX_mSY_S11_bEUlT_E_NS1_11comp_targetILNS1_3genE0ELNS1_11target_archE4294967295ELNS1_3gpuE0ELNS1_3repE0EEENS1_30default_config_static_selectorELNS0_4arch9wavefront6targetE0EEEvSV_,@function
_ZN7rocprim17ROCPRIM_400000_NS6detail17trampoline_kernelINS0_14default_configENS1_29binary_search_config_selectorIaiEEZNS1_14transform_implILb0ES3_S5_N6thrust23THRUST_200600_302600_NS6detail15normal_iteratorINS8_7pointerIaNS8_11hip_rocprim3tagENS8_11use_defaultESE_EEEENSA_INSB_IiSD_SE_SE_EEEEZNS1_13binary_searchIS3_S5_NSA_INS8_10device_ptrIaEEEESG_SI_NS1_16binary_search_opENS9_16wrapped_functionINS8_7greaterIaEEbEEEE10hipError_tPvRmT1_T2_T3_mmT4_T5_P12ihipStream_tbEUlRKaE_EESS_SW_SX_mSY_S11_bEUlT_E_NS1_11comp_targetILNS1_3genE0ELNS1_11target_archE4294967295ELNS1_3gpuE0ELNS1_3repE0EEENS1_30default_config_static_selectorELNS0_4arch9wavefront6targetE0EEEvSV_: ; @_ZN7rocprim17ROCPRIM_400000_NS6detail17trampoline_kernelINS0_14default_configENS1_29binary_search_config_selectorIaiEEZNS1_14transform_implILb0ES3_S5_N6thrust23THRUST_200600_302600_NS6detail15normal_iteratorINS8_7pointerIaNS8_11hip_rocprim3tagENS8_11use_defaultESE_EEEENSA_INSB_IiSD_SE_SE_EEEEZNS1_13binary_searchIS3_S5_NSA_INS8_10device_ptrIaEEEESG_SI_NS1_16binary_search_opENS9_16wrapped_functionINS8_7greaterIaEEbEEEE10hipError_tPvRmT1_T2_T3_mmT4_T5_P12ihipStream_tbEUlRKaE_EESS_SW_SX_mSY_S11_bEUlT_E_NS1_11comp_targetILNS1_3genE0ELNS1_11target_archE4294967295ELNS1_3gpuE0ELNS1_3repE0EEENS1_30default_config_static_selectorELNS0_4arch9wavefront6targetE0EEEvSV_
; %bb.0:
	s_clause 0x3
	s_load_b128 s[4:7], s[0:1], 0x0
	s_load_b32 s2, s[0:1], 0x38
	s_load_b64 s[12:13], s[0:1], 0x28
	s_load_b128 s[8:11], s[0:1], 0x18
	s_bfe_u32 s3, ttmp6, 0x4000c
	s_and_b32 s14, ttmp6, 15
	s_add_co_i32 s3, s3, 1
	s_getreg_b32 s15, hwreg(HW_REG_IB_STS2, 6, 4)
	s_mul_i32 s3, ttmp9, s3
	s_mov_b32 s16, -1
	s_add_co_i32 s14, s14, s3
	s_cmp_eq_u32 s15, 0
	s_mov_b32 s3, 0
	s_cselect_b32 s14, ttmp9, s14
	s_wait_kmcnt 0x0
	s_add_nc_u64 s[4:5], s[4:5], s[6:7]
	s_add_co_i32 s15, s2, -1
	s_lshl_b32 s2, s14, 7
	s_cmp_lg_u32 s14, s15
	s_cbranch_scc0 .LBB140_6
; %bb.1:
	s_add_nc_u64 s[14:15], s[4:5], s[2:3]
	v_mov_b64_e32 v[2:3], 0
	flat_load_i8 v6, v0, s[14:15]
	v_mov_b32_e32 v1, 0
	s_cmp_eq_u64 s[12:13], 0
	s_cbranch_scc1 .LBB140_5
; %bb.2:
	v_mov_b64_e32 v[4:5], s[12:13]
	s_wait_xcnt 0x0
	s_mov_b32 s14, 0
.LBB140_3:                              ; =>This Inner Loop Header: Depth=1
	s_delay_alu instid0(VALU_DEP_1) | instskip(NEXT) | instid1(VALU_DEP_1)
	v_sub_nc_u64_e32 v[8:9], v[4:5], v[2:3]
	v_lshrrev_b64 v[10:11], 1, v[8:9]
	v_lshrrev_b64 v[8:9], 6, v[8:9]
	s_delay_alu instid0(VALU_DEP_2) | instskip(NEXT) | instid1(VALU_DEP_1)
	v_add_nc_u64_e32 v[10:11], v[10:11], v[2:3]
	v_add_nc_u64_e32 v[8:9], v[10:11], v[8:9]
	s_delay_alu instid0(VALU_DEP_1)
	v_add_nc_u64_e32 v[10:11], s[10:11], v[8:9]
	global_load_i8 v7, v[10:11], off
	s_wait_xcnt 0x0
	v_add_nc_u64_e32 v[10:11], 1, v[8:9]
	s_wait_loadcnt_dscnt 0x0
	v_cmp_gt_i16_e32 vcc_lo, v7, v6
	v_dual_cndmask_b32 v5, v9, v5 :: v_dual_cndmask_b32 v4, v8, v4
	s_delay_alu instid0(VALU_DEP_3) | instskip(NEXT) | instid1(VALU_DEP_1)
	v_dual_cndmask_b32 v3, v3, v11 :: v_dual_cndmask_b32 v2, v2, v10
	v_cmp_ge_u64_e32 vcc_lo, v[2:3], v[4:5]
	s_or_b32 s14, vcc_lo, s14
	s_delay_alu instid0(SALU_CYCLE_1)
	s_and_not1_b32 exec_lo, exec_lo, s14
	s_cbranch_execnz .LBB140_3
; %bb.4:
	s_or_b32 exec_lo, exec_lo, s14
.LBB140_5:
	s_wait_xcnt 0x0
	v_cmp_eq_u64_e64 s14, s[12:13], v[2:3]
	v_cmp_ne_u64_e64 s15, s[12:13], v[2:3]
	s_branch .LBB140_14
.LBB140_6:
	s_mov_b32 s15, s3
	s_mov_b32 s14, s3
                                        ; implicit-def: $vgpr6
                                        ; implicit-def: $vgpr2_vgpr3
	s_and_b32 vcc_lo, exec_lo, s16
	s_cbranch_vccz .LBB140_14
; %bb.7:
	s_load_b32 s0, s[0:1], 0x10
	s_wait_xcnt 0x0
	s_mov_b32 s1, exec_lo
                                        ; implicit-def: $vgpr6
                                        ; implicit-def: $vgpr2_vgpr3
	s_wait_kmcnt 0x0
	s_sub_co_i32 s0, s0, s2
	s_delay_alu instid0(SALU_CYCLE_1)
	v_cmpx_gt_u32_e64 s0, v0
	s_cbranch_execz .LBB140_13
; %bb.8:
	s_add_nc_u64 s[4:5], s[4:5], s[2:3]
	v_mov_b64_e32 v[2:3], 0
	s_wait_loadcnt_dscnt 0x0
	flat_load_i8 v6, v0, s[4:5]
	v_mov_b32_e32 v1, 0
	s_cmp_eq_u64 s[12:13], 0
	s_cbranch_scc1 .LBB140_12
; %bb.9:
	v_mov_b64_e32 v[4:5], s[12:13]
	s_mov_b32 s0, 0
.LBB140_10:                             ; =>This Inner Loop Header: Depth=1
	s_delay_alu instid0(VALU_DEP_1) | instskip(NEXT) | instid1(VALU_DEP_1)
	v_sub_nc_u64_e32 v[8:9], v[4:5], v[2:3]
	v_lshrrev_b64 v[10:11], 1, v[8:9]
	v_lshrrev_b64 v[8:9], 6, v[8:9]
	s_delay_alu instid0(VALU_DEP_2) | instskip(NEXT) | instid1(VALU_DEP_1)
	v_add_nc_u64_e32 v[10:11], v[10:11], v[2:3]
	v_add_nc_u64_e32 v[8:9], v[10:11], v[8:9]
	s_delay_alu instid0(VALU_DEP_1)
	v_add_nc_u64_e32 v[10:11], s[10:11], v[8:9]
	global_load_i8 v7, v[10:11], off
	s_wait_xcnt 0x0
	v_add_nc_u64_e32 v[10:11], 1, v[8:9]
	s_wait_loadcnt_dscnt 0x0
	v_cmp_gt_i16_e32 vcc_lo, v7, v6
	v_dual_cndmask_b32 v5, v9, v5 :: v_dual_cndmask_b32 v4, v8, v4
	s_delay_alu instid0(VALU_DEP_3) | instskip(NEXT) | instid1(VALU_DEP_1)
	v_dual_cndmask_b32 v3, v3, v11 :: v_dual_cndmask_b32 v2, v2, v10
	v_cmp_ge_u64_e32 vcc_lo, v[2:3], v[4:5]
	s_or_b32 s0, vcc_lo, s0
	s_delay_alu instid0(SALU_CYCLE_1)
	s_and_not1_b32 exec_lo, exec_lo, s0
	s_cbranch_execnz .LBB140_10
; %bb.11:
	s_or_b32 exec_lo, exec_lo, s0
.LBB140_12:
	v_cmp_eq_u64_e32 vcc_lo, s[12:13], v[2:3]
	v_cmp_ne_u64_e64 s0, s[12:13], v[2:3]
	s_wait_xcnt 0x0
	s_and_not1_b32 s4, s14, exec_lo
	s_and_not1_b32 s5, s15, exec_lo
	s_and_b32 s12, vcc_lo, exec_lo
	s_and_b32 s0, s0, exec_lo
	s_or_b32 s14, s4, s12
	s_or_b32 s15, s5, s0
.LBB140_13:
	s_or_b32 exec_lo, exec_lo, s1
.LBB140_14:
	v_mov_b32_e32 v4, 0
	s_delay_alu instid0(VALU_DEP_2)
	s_and_saveexec_b32 s0, s15
	s_cbranch_execnz .LBB140_17
; %bb.15:
	s_or_b32 exec_lo, exec_lo, s0
	s_and_saveexec_b32 s0, s14
	s_cbranch_execnz .LBB140_18
.LBB140_16:
	s_endpgm
.LBB140_17:
	v_add_nc_u64_e32 v[2:3], s[10:11], v[2:3]
	s_or_b32 s14, s14, exec_lo
	global_load_i8 v2, v[2:3], off
	s_wait_loadcnt_dscnt 0x100
	s_wait_xcnt 0x0
	v_bfe_i32 v3, v6, 0, 8
	s_wait_loadcnt 0x0
	s_delay_alu instid0(VALU_DEP_1)
	v_cmp_le_i16_e32 vcc_lo, v3, v2
	v_cndmask_b32_e64 v4, 0, 1, vcc_lo
	s_or_b32 exec_lo, exec_lo, s0
	s_and_saveexec_b32 s0, s14
	s_cbranch_execz .LBB140_16
.LBB140_18:
	s_lshl_b64 s[0:1], s[6:7], 2
	s_lshl_b64 s[2:3], s[2:3], 2
	s_add_nc_u64 s[0:1], s[8:9], s[0:1]
	s_delay_alu instid0(SALU_CYCLE_1) | instskip(NEXT) | instid1(SALU_CYCLE_1)
	s_add_nc_u64 s[0:1], s[0:1], s[2:3]
	v_lshl_add_u64 v[0:1], v[0:1], 2, s[0:1]
	flat_store_b32 v[0:1], v4
	s_endpgm
	.section	.rodata,"a",@progbits
	.p2align	6, 0x0
	.amdhsa_kernel _ZN7rocprim17ROCPRIM_400000_NS6detail17trampoline_kernelINS0_14default_configENS1_29binary_search_config_selectorIaiEEZNS1_14transform_implILb0ES3_S5_N6thrust23THRUST_200600_302600_NS6detail15normal_iteratorINS8_7pointerIaNS8_11hip_rocprim3tagENS8_11use_defaultESE_EEEENSA_INSB_IiSD_SE_SE_EEEEZNS1_13binary_searchIS3_S5_NSA_INS8_10device_ptrIaEEEESG_SI_NS1_16binary_search_opENS9_16wrapped_functionINS8_7greaterIaEEbEEEE10hipError_tPvRmT1_T2_T3_mmT4_T5_P12ihipStream_tbEUlRKaE_EESS_SW_SX_mSY_S11_bEUlT_E_NS1_11comp_targetILNS1_3genE0ELNS1_11target_archE4294967295ELNS1_3gpuE0ELNS1_3repE0EEENS1_30default_config_static_selectorELNS0_4arch9wavefront6targetE0EEEvSV_
		.amdhsa_group_segment_fixed_size 0
		.amdhsa_private_segment_fixed_size 0
		.amdhsa_kernarg_size 312
		.amdhsa_user_sgpr_count 2
		.amdhsa_user_sgpr_dispatch_ptr 0
		.amdhsa_user_sgpr_queue_ptr 0
		.amdhsa_user_sgpr_kernarg_segment_ptr 1
		.amdhsa_user_sgpr_dispatch_id 0
		.amdhsa_user_sgpr_kernarg_preload_length 0
		.amdhsa_user_sgpr_kernarg_preload_offset 0
		.amdhsa_user_sgpr_private_segment_size 0
		.amdhsa_wavefront_size32 1
		.amdhsa_uses_dynamic_stack 0
		.amdhsa_enable_private_segment 0
		.amdhsa_system_sgpr_workgroup_id_x 1
		.amdhsa_system_sgpr_workgroup_id_y 0
		.amdhsa_system_sgpr_workgroup_id_z 0
		.amdhsa_system_sgpr_workgroup_info 0
		.amdhsa_system_vgpr_workitem_id 0
		.amdhsa_next_free_vgpr 12
		.amdhsa_next_free_sgpr 17
		.amdhsa_named_barrier_count 0
		.amdhsa_reserve_vcc 1
		.amdhsa_float_round_mode_32 0
		.amdhsa_float_round_mode_16_64 0
		.amdhsa_float_denorm_mode_32 3
		.amdhsa_float_denorm_mode_16_64 3
		.amdhsa_fp16_overflow 0
		.amdhsa_memory_ordered 1
		.amdhsa_forward_progress 1
		.amdhsa_inst_pref_size 6
		.amdhsa_round_robin_scheduling 0
		.amdhsa_exception_fp_ieee_invalid_op 0
		.amdhsa_exception_fp_denorm_src 0
		.amdhsa_exception_fp_ieee_div_zero 0
		.amdhsa_exception_fp_ieee_overflow 0
		.amdhsa_exception_fp_ieee_underflow 0
		.amdhsa_exception_fp_ieee_inexact 0
		.amdhsa_exception_int_div_zero 0
	.end_amdhsa_kernel
	.section	.text._ZN7rocprim17ROCPRIM_400000_NS6detail17trampoline_kernelINS0_14default_configENS1_29binary_search_config_selectorIaiEEZNS1_14transform_implILb0ES3_S5_N6thrust23THRUST_200600_302600_NS6detail15normal_iteratorINS8_7pointerIaNS8_11hip_rocprim3tagENS8_11use_defaultESE_EEEENSA_INSB_IiSD_SE_SE_EEEEZNS1_13binary_searchIS3_S5_NSA_INS8_10device_ptrIaEEEESG_SI_NS1_16binary_search_opENS9_16wrapped_functionINS8_7greaterIaEEbEEEE10hipError_tPvRmT1_T2_T3_mmT4_T5_P12ihipStream_tbEUlRKaE_EESS_SW_SX_mSY_S11_bEUlT_E_NS1_11comp_targetILNS1_3genE0ELNS1_11target_archE4294967295ELNS1_3gpuE0ELNS1_3repE0EEENS1_30default_config_static_selectorELNS0_4arch9wavefront6targetE0EEEvSV_,"axG",@progbits,_ZN7rocprim17ROCPRIM_400000_NS6detail17trampoline_kernelINS0_14default_configENS1_29binary_search_config_selectorIaiEEZNS1_14transform_implILb0ES3_S5_N6thrust23THRUST_200600_302600_NS6detail15normal_iteratorINS8_7pointerIaNS8_11hip_rocprim3tagENS8_11use_defaultESE_EEEENSA_INSB_IiSD_SE_SE_EEEEZNS1_13binary_searchIS3_S5_NSA_INS8_10device_ptrIaEEEESG_SI_NS1_16binary_search_opENS9_16wrapped_functionINS8_7greaterIaEEbEEEE10hipError_tPvRmT1_T2_T3_mmT4_T5_P12ihipStream_tbEUlRKaE_EESS_SW_SX_mSY_S11_bEUlT_E_NS1_11comp_targetILNS1_3genE0ELNS1_11target_archE4294967295ELNS1_3gpuE0ELNS1_3repE0EEENS1_30default_config_static_selectorELNS0_4arch9wavefront6targetE0EEEvSV_,comdat
.Lfunc_end140:
	.size	_ZN7rocprim17ROCPRIM_400000_NS6detail17trampoline_kernelINS0_14default_configENS1_29binary_search_config_selectorIaiEEZNS1_14transform_implILb0ES3_S5_N6thrust23THRUST_200600_302600_NS6detail15normal_iteratorINS8_7pointerIaNS8_11hip_rocprim3tagENS8_11use_defaultESE_EEEENSA_INSB_IiSD_SE_SE_EEEEZNS1_13binary_searchIS3_S5_NSA_INS8_10device_ptrIaEEEESG_SI_NS1_16binary_search_opENS9_16wrapped_functionINS8_7greaterIaEEbEEEE10hipError_tPvRmT1_T2_T3_mmT4_T5_P12ihipStream_tbEUlRKaE_EESS_SW_SX_mSY_S11_bEUlT_E_NS1_11comp_targetILNS1_3genE0ELNS1_11target_archE4294967295ELNS1_3gpuE0ELNS1_3repE0EEENS1_30default_config_static_selectorELNS0_4arch9wavefront6targetE0EEEvSV_, .Lfunc_end140-_ZN7rocprim17ROCPRIM_400000_NS6detail17trampoline_kernelINS0_14default_configENS1_29binary_search_config_selectorIaiEEZNS1_14transform_implILb0ES3_S5_N6thrust23THRUST_200600_302600_NS6detail15normal_iteratorINS8_7pointerIaNS8_11hip_rocprim3tagENS8_11use_defaultESE_EEEENSA_INSB_IiSD_SE_SE_EEEEZNS1_13binary_searchIS3_S5_NSA_INS8_10device_ptrIaEEEESG_SI_NS1_16binary_search_opENS9_16wrapped_functionINS8_7greaterIaEEbEEEE10hipError_tPvRmT1_T2_T3_mmT4_T5_P12ihipStream_tbEUlRKaE_EESS_SW_SX_mSY_S11_bEUlT_E_NS1_11comp_targetILNS1_3genE0ELNS1_11target_archE4294967295ELNS1_3gpuE0ELNS1_3repE0EEENS1_30default_config_static_selectorELNS0_4arch9wavefront6targetE0EEEvSV_
                                        ; -- End function
	.set _ZN7rocprim17ROCPRIM_400000_NS6detail17trampoline_kernelINS0_14default_configENS1_29binary_search_config_selectorIaiEEZNS1_14transform_implILb0ES3_S5_N6thrust23THRUST_200600_302600_NS6detail15normal_iteratorINS8_7pointerIaNS8_11hip_rocprim3tagENS8_11use_defaultESE_EEEENSA_INSB_IiSD_SE_SE_EEEEZNS1_13binary_searchIS3_S5_NSA_INS8_10device_ptrIaEEEESG_SI_NS1_16binary_search_opENS9_16wrapped_functionINS8_7greaterIaEEbEEEE10hipError_tPvRmT1_T2_T3_mmT4_T5_P12ihipStream_tbEUlRKaE_EESS_SW_SX_mSY_S11_bEUlT_E_NS1_11comp_targetILNS1_3genE0ELNS1_11target_archE4294967295ELNS1_3gpuE0ELNS1_3repE0EEENS1_30default_config_static_selectorELNS0_4arch9wavefront6targetE0EEEvSV_.num_vgpr, 12
	.set _ZN7rocprim17ROCPRIM_400000_NS6detail17trampoline_kernelINS0_14default_configENS1_29binary_search_config_selectorIaiEEZNS1_14transform_implILb0ES3_S5_N6thrust23THRUST_200600_302600_NS6detail15normal_iteratorINS8_7pointerIaNS8_11hip_rocprim3tagENS8_11use_defaultESE_EEEENSA_INSB_IiSD_SE_SE_EEEEZNS1_13binary_searchIS3_S5_NSA_INS8_10device_ptrIaEEEESG_SI_NS1_16binary_search_opENS9_16wrapped_functionINS8_7greaterIaEEbEEEE10hipError_tPvRmT1_T2_T3_mmT4_T5_P12ihipStream_tbEUlRKaE_EESS_SW_SX_mSY_S11_bEUlT_E_NS1_11comp_targetILNS1_3genE0ELNS1_11target_archE4294967295ELNS1_3gpuE0ELNS1_3repE0EEENS1_30default_config_static_selectorELNS0_4arch9wavefront6targetE0EEEvSV_.num_agpr, 0
	.set _ZN7rocprim17ROCPRIM_400000_NS6detail17trampoline_kernelINS0_14default_configENS1_29binary_search_config_selectorIaiEEZNS1_14transform_implILb0ES3_S5_N6thrust23THRUST_200600_302600_NS6detail15normal_iteratorINS8_7pointerIaNS8_11hip_rocprim3tagENS8_11use_defaultESE_EEEENSA_INSB_IiSD_SE_SE_EEEEZNS1_13binary_searchIS3_S5_NSA_INS8_10device_ptrIaEEEESG_SI_NS1_16binary_search_opENS9_16wrapped_functionINS8_7greaterIaEEbEEEE10hipError_tPvRmT1_T2_T3_mmT4_T5_P12ihipStream_tbEUlRKaE_EESS_SW_SX_mSY_S11_bEUlT_E_NS1_11comp_targetILNS1_3genE0ELNS1_11target_archE4294967295ELNS1_3gpuE0ELNS1_3repE0EEENS1_30default_config_static_selectorELNS0_4arch9wavefront6targetE0EEEvSV_.numbered_sgpr, 17
	.set _ZN7rocprim17ROCPRIM_400000_NS6detail17trampoline_kernelINS0_14default_configENS1_29binary_search_config_selectorIaiEEZNS1_14transform_implILb0ES3_S5_N6thrust23THRUST_200600_302600_NS6detail15normal_iteratorINS8_7pointerIaNS8_11hip_rocprim3tagENS8_11use_defaultESE_EEEENSA_INSB_IiSD_SE_SE_EEEEZNS1_13binary_searchIS3_S5_NSA_INS8_10device_ptrIaEEEESG_SI_NS1_16binary_search_opENS9_16wrapped_functionINS8_7greaterIaEEbEEEE10hipError_tPvRmT1_T2_T3_mmT4_T5_P12ihipStream_tbEUlRKaE_EESS_SW_SX_mSY_S11_bEUlT_E_NS1_11comp_targetILNS1_3genE0ELNS1_11target_archE4294967295ELNS1_3gpuE0ELNS1_3repE0EEENS1_30default_config_static_selectorELNS0_4arch9wavefront6targetE0EEEvSV_.num_named_barrier, 0
	.set _ZN7rocprim17ROCPRIM_400000_NS6detail17trampoline_kernelINS0_14default_configENS1_29binary_search_config_selectorIaiEEZNS1_14transform_implILb0ES3_S5_N6thrust23THRUST_200600_302600_NS6detail15normal_iteratorINS8_7pointerIaNS8_11hip_rocprim3tagENS8_11use_defaultESE_EEEENSA_INSB_IiSD_SE_SE_EEEEZNS1_13binary_searchIS3_S5_NSA_INS8_10device_ptrIaEEEESG_SI_NS1_16binary_search_opENS9_16wrapped_functionINS8_7greaterIaEEbEEEE10hipError_tPvRmT1_T2_T3_mmT4_T5_P12ihipStream_tbEUlRKaE_EESS_SW_SX_mSY_S11_bEUlT_E_NS1_11comp_targetILNS1_3genE0ELNS1_11target_archE4294967295ELNS1_3gpuE0ELNS1_3repE0EEENS1_30default_config_static_selectorELNS0_4arch9wavefront6targetE0EEEvSV_.private_seg_size, 0
	.set _ZN7rocprim17ROCPRIM_400000_NS6detail17trampoline_kernelINS0_14default_configENS1_29binary_search_config_selectorIaiEEZNS1_14transform_implILb0ES3_S5_N6thrust23THRUST_200600_302600_NS6detail15normal_iteratorINS8_7pointerIaNS8_11hip_rocprim3tagENS8_11use_defaultESE_EEEENSA_INSB_IiSD_SE_SE_EEEEZNS1_13binary_searchIS3_S5_NSA_INS8_10device_ptrIaEEEESG_SI_NS1_16binary_search_opENS9_16wrapped_functionINS8_7greaterIaEEbEEEE10hipError_tPvRmT1_T2_T3_mmT4_T5_P12ihipStream_tbEUlRKaE_EESS_SW_SX_mSY_S11_bEUlT_E_NS1_11comp_targetILNS1_3genE0ELNS1_11target_archE4294967295ELNS1_3gpuE0ELNS1_3repE0EEENS1_30default_config_static_selectorELNS0_4arch9wavefront6targetE0EEEvSV_.uses_vcc, 1
	.set _ZN7rocprim17ROCPRIM_400000_NS6detail17trampoline_kernelINS0_14default_configENS1_29binary_search_config_selectorIaiEEZNS1_14transform_implILb0ES3_S5_N6thrust23THRUST_200600_302600_NS6detail15normal_iteratorINS8_7pointerIaNS8_11hip_rocprim3tagENS8_11use_defaultESE_EEEENSA_INSB_IiSD_SE_SE_EEEEZNS1_13binary_searchIS3_S5_NSA_INS8_10device_ptrIaEEEESG_SI_NS1_16binary_search_opENS9_16wrapped_functionINS8_7greaterIaEEbEEEE10hipError_tPvRmT1_T2_T3_mmT4_T5_P12ihipStream_tbEUlRKaE_EESS_SW_SX_mSY_S11_bEUlT_E_NS1_11comp_targetILNS1_3genE0ELNS1_11target_archE4294967295ELNS1_3gpuE0ELNS1_3repE0EEENS1_30default_config_static_selectorELNS0_4arch9wavefront6targetE0EEEvSV_.uses_flat_scratch, 0
	.set _ZN7rocprim17ROCPRIM_400000_NS6detail17trampoline_kernelINS0_14default_configENS1_29binary_search_config_selectorIaiEEZNS1_14transform_implILb0ES3_S5_N6thrust23THRUST_200600_302600_NS6detail15normal_iteratorINS8_7pointerIaNS8_11hip_rocprim3tagENS8_11use_defaultESE_EEEENSA_INSB_IiSD_SE_SE_EEEEZNS1_13binary_searchIS3_S5_NSA_INS8_10device_ptrIaEEEESG_SI_NS1_16binary_search_opENS9_16wrapped_functionINS8_7greaterIaEEbEEEE10hipError_tPvRmT1_T2_T3_mmT4_T5_P12ihipStream_tbEUlRKaE_EESS_SW_SX_mSY_S11_bEUlT_E_NS1_11comp_targetILNS1_3genE0ELNS1_11target_archE4294967295ELNS1_3gpuE0ELNS1_3repE0EEENS1_30default_config_static_selectorELNS0_4arch9wavefront6targetE0EEEvSV_.has_dyn_sized_stack, 0
	.set _ZN7rocprim17ROCPRIM_400000_NS6detail17trampoline_kernelINS0_14default_configENS1_29binary_search_config_selectorIaiEEZNS1_14transform_implILb0ES3_S5_N6thrust23THRUST_200600_302600_NS6detail15normal_iteratorINS8_7pointerIaNS8_11hip_rocprim3tagENS8_11use_defaultESE_EEEENSA_INSB_IiSD_SE_SE_EEEEZNS1_13binary_searchIS3_S5_NSA_INS8_10device_ptrIaEEEESG_SI_NS1_16binary_search_opENS9_16wrapped_functionINS8_7greaterIaEEbEEEE10hipError_tPvRmT1_T2_T3_mmT4_T5_P12ihipStream_tbEUlRKaE_EESS_SW_SX_mSY_S11_bEUlT_E_NS1_11comp_targetILNS1_3genE0ELNS1_11target_archE4294967295ELNS1_3gpuE0ELNS1_3repE0EEENS1_30default_config_static_selectorELNS0_4arch9wavefront6targetE0EEEvSV_.has_recursion, 0
	.set _ZN7rocprim17ROCPRIM_400000_NS6detail17trampoline_kernelINS0_14default_configENS1_29binary_search_config_selectorIaiEEZNS1_14transform_implILb0ES3_S5_N6thrust23THRUST_200600_302600_NS6detail15normal_iteratorINS8_7pointerIaNS8_11hip_rocprim3tagENS8_11use_defaultESE_EEEENSA_INSB_IiSD_SE_SE_EEEEZNS1_13binary_searchIS3_S5_NSA_INS8_10device_ptrIaEEEESG_SI_NS1_16binary_search_opENS9_16wrapped_functionINS8_7greaterIaEEbEEEE10hipError_tPvRmT1_T2_T3_mmT4_T5_P12ihipStream_tbEUlRKaE_EESS_SW_SX_mSY_S11_bEUlT_E_NS1_11comp_targetILNS1_3genE0ELNS1_11target_archE4294967295ELNS1_3gpuE0ELNS1_3repE0EEENS1_30default_config_static_selectorELNS0_4arch9wavefront6targetE0EEEvSV_.has_indirect_call, 0
	.section	.AMDGPU.csdata,"",@progbits
; Kernel info:
; codeLenInByte = 692
; TotalNumSgprs: 19
; NumVgprs: 12
; ScratchSize: 0
; MemoryBound: 0
; FloatMode: 240
; IeeeMode: 1
; LDSByteSize: 0 bytes/workgroup (compile time only)
; SGPRBlocks: 0
; VGPRBlocks: 0
; NumSGPRsForWavesPerEU: 19
; NumVGPRsForWavesPerEU: 12
; NamedBarCnt: 0
; Occupancy: 16
; WaveLimiterHint : 0
; COMPUTE_PGM_RSRC2:SCRATCH_EN: 0
; COMPUTE_PGM_RSRC2:USER_SGPR: 2
; COMPUTE_PGM_RSRC2:TRAP_HANDLER: 0
; COMPUTE_PGM_RSRC2:TGID_X_EN: 1
; COMPUTE_PGM_RSRC2:TGID_Y_EN: 0
; COMPUTE_PGM_RSRC2:TGID_Z_EN: 0
; COMPUTE_PGM_RSRC2:TIDIG_COMP_CNT: 0
	.section	.text._ZN7rocprim17ROCPRIM_400000_NS6detail17trampoline_kernelINS0_14default_configENS1_29binary_search_config_selectorIaiEEZNS1_14transform_implILb0ES3_S5_N6thrust23THRUST_200600_302600_NS6detail15normal_iteratorINS8_7pointerIaNS8_11hip_rocprim3tagENS8_11use_defaultESE_EEEENSA_INSB_IiSD_SE_SE_EEEEZNS1_13binary_searchIS3_S5_NSA_INS8_10device_ptrIaEEEESG_SI_NS1_16binary_search_opENS9_16wrapped_functionINS8_7greaterIaEEbEEEE10hipError_tPvRmT1_T2_T3_mmT4_T5_P12ihipStream_tbEUlRKaE_EESS_SW_SX_mSY_S11_bEUlT_E_NS1_11comp_targetILNS1_3genE5ELNS1_11target_archE942ELNS1_3gpuE9ELNS1_3repE0EEENS1_30default_config_static_selectorELNS0_4arch9wavefront6targetE0EEEvSV_,"axG",@progbits,_ZN7rocprim17ROCPRIM_400000_NS6detail17trampoline_kernelINS0_14default_configENS1_29binary_search_config_selectorIaiEEZNS1_14transform_implILb0ES3_S5_N6thrust23THRUST_200600_302600_NS6detail15normal_iteratorINS8_7pointerIaNS8_11hip_rocprim3tagENS8_11use_defaultESE_EEEENSA_INSB_IiSD_SE_SE_EEEEZNS1_13binary_searchIS3_S5_NSA_INS8_10device_ptrIaEEEESG_SI_NS1_16binary_search_opENS9_16wrapped_functionINS8_7greaterIaEEbEEEE10hipError_tPvRmT1_T2_T3_mmT4_T5_P12ihipStream_tbEUlRKaE_EESS_SW_SX_mSY_S11_bEUlT_E_NS1_11comp_targetILNS1_3genE5ELNS1_11target_archE942ELNS1_3gpuE9ELNS1_3repE0EEENS1_30default_config_static_selectorELNS0_4arch9wavefront6targetE0EEEvSV_,comdat
	.protected	_ZN7rocprim17ROCPRIM_400000_NS6detail17trampoline_kernelINS0_14default_configENS1_29binary_search_config_selectorIaiEEZNS1_14transform_implILb0ES3_S5_N6thrust23THRUST_200600_302600_NS6detail15normal_iteratorINS8_7pointerIaNS8_11hip_rocprim3tagENS8_11use_defaultESE_EEEENSA_INSB_IiSD_SE_SE_EEEEZNS1_13binary_searchIS3_S5_NSA_INS8_10device_ptrIaEEEESG_SI_NS1_16binary_search_opENS9_16wrapped_functionINS8_7greaterIaEEbEEEE10hipError_tPvRmT1_T2_T3_mmT4_T5_P12ihipStream_tbEUlRKaE_EESS_SW_SX_mSY_S11_bEUlT_E_NS1_11comp_targetILNS1_3genE5ELNS1_11target_archE942ELNS1_3gpuE9ELNS1_3repE0EEENS1_30default_config_static_selectorELNS0_4arch9wavefront6targetE0EEEvSV_ ; -- Begin function _ZN7rocprim17ROCPRIM_400000_NS6detail17trampoline_kernelINS0_14default_configENS1_29binary_search_config_selectorIaiEEZNS1_14transform_implILb0ES3_S5_N6thrust23THRUST_200600_302600_NS6detail15normal_iteratorINS8_7pointerIaNS8_11hip_rocprim3tagENS8_11use_defaultESE_EEEENSA_INSB_IiSD_SE_SE_EEEEZNS1_13binary_searchIS3_S5_NSA_INS8_10device_ptrIaEEEESG_SI_NS1_16binary_search_opENS9_16wrapped_functionINS8_7greaterIaEEbEEEE10hipError_tPvRmT1_T2_T3_mmT4_T5_P12ihipStream_tbEUlRKaE_EESS_SW_SX_mSY_S11_bEUlT_E_NS1_11comp_targetILNS1_3genE5ELNS1_11target_archE942ELNS1_3gpuE9ELNS1_3repE0EEENS1_30default_config_static_selectorELNS0_4arch9wavefront6targetE0EEEvSV_
	.globl	_ZN7rocprim17ROCPRIM_400000_NS6detail17trampoline_kernelINS0_14default_configENS1_29binary_search_config_selectorIaiEEZNS1_14transform_implILb0ES3_S5_N6thrust23THRUST_200600_302600_NS6detail15normal_iteratorINS8_7pointerIaNS8_11hip_rocprim3tagENS8_11use_defaultESE_EEEENSA_INSB_IiSD_SE_SE_EEEEZNS1_13binary_searchIS3_S5_NSA_INS8_10device_ptrIaEEEESG_SI_NS1_16binary_search_opENS9_16wrapped_functionINS8_7greaterIaEEbEEEE10hipError_tPvRmT1_T2_T3_mmT4_T5_P12ihipStream_tbEUlRKaE_EESS_SW_SX_mSY_S11_bEUlT_E_NS1_11comp_targetILNS1_3genE5ELNS1_11target_archE942ELNS1_3gpuE9ELNS1_3repE0EEENS1_30default_config_static_selectorELNS0_4arch9wavefront6targetE0EEEvSV_
	.p2align	8
	.type	_ZN7rocprim17ROCPRIM_400000_NS6detail17trampoline_kernelINS0_14default_configENS1_29binary_search_config_selectorIaiEEZNS1_14transform_implILb0ES3_S5_N6thrust23THRUST_200600_302600_NS6detail15normal_iteratorINS8_7pointerIaNS8_11hip_rocprim3tagENS8_11use_defaultESE_EEEENSA_INSB_IiSD_SE_SE_EEEEZNS1_13binary_searchIS3_S5_NSA_INS8_10device_ptrIaEEEESG_SI_NS1_16binary_search_opENS9_16wrapped_functionINS8_7greaterIaEEbEEEE10hipError_tPvRmT1_T2_T3_mmT4_T5_P12ihipStream_tbEUlRKaE_EESS_SW_SX_mSY_S11_bEUlT_E_NS1_11comp_targetILNS1_3genE5ELNS1_11target_archE942ELNS1_3gpuE9ELNS1_3repE0EEENS1_30default_config_static_selectorELNS0_4arch9wavefront6targetE0EEEvSV_,@function
_ZN7rocprim17ROCPRIM_400000_NS6detail17trampoline_kernelINS0_14default_configENS1_29binary_search_config_selectorIaiEEZNS1_14transform_implILb0ES3_S5_N6thrust23THRUST_200600_302600_NS6detail15normal_iteratorINS8_7pointerIaNS8_11hip_rocprim3tagENS8_11use_defaultESE_EEEENSA_INSB_IiSD_SE_SE_EEEEZNS1_13binary_searchIS3_S5_NSA_INS8_10device_ptrIaEEEESG_SI_NS1_16binary_search_opENS9_16wrapped_functionINS8_7greaterIaEEbEEEE10hipError_tPvRmT1_T2_T3_mmT4_T5_P12ihipStream_tbEUlRKaE_EESS_SW_SX_mSY_S11_bEUlT_E_NS1_11comp_targetILNS1_3genE5ELNS1_11target_archE942ELNS1_3gpuE9ELNS1_3repE0EEENS1_30default_config_static_selectorELNS0_4arch9wavefront6targetE0EEEvSV_: ; @_ZN7rocprim17ROCPRIM_400000_NS6detail17trampoline_kernelINS0_14default_configENS1_29binary_search_config_selectorIaiEEZNS1_14transform_implILb0ES3_S5_N6thrust23THRUST_200600_302600_NS6detail15normal_iteratorINS8_7pointerIaNS8_11hip_rocprim3tagENS8_11use_defaultESE_EEEENSA_INSB_IiSD_SE_SE_EEEEZNS1_13binary_searchIS3_S5_NSA_INS8_10device_ptrIaEEEESG_SI_NS1_16binary_search_opENS9_16wrapped_functionINS8_7greaterIaEEbEEEE10hipError_tPvRmT1_T2_T3_mmT4_T5_P12ihipStream_tbEUlRKaE_EESS_SW_SX_mSY_S11_bEUlT_E_NS1_11comp_targetILNS1_3genE5ELNS1_11target_archE942ELNS1_3gpuE9ELNS1_3repE0EEENS1_30default_config_static_selectorELNS0_4arch9wavefront6targetE0EEEvSV_
; %bb.0:
	.section	.rodata,"a",@progbits
	.p2align	6, 0x0
	.amdhsa_kernel _ZN7rocprim17ROCPRIM_400000_NS6detail17trampoline_kernelINS0_14default_configENS1_29binary_search_config_selectorIaiEEZNS1_14transform_implILb0ES3_S5_N6thrust23THRUST_200600_302600_NS6detail15normal_iteratorINS8_7pointerIaNS8_11hip_rocprim3tagENS8_11use_defaultESE_EEEENSA_INSB_IiSD_SE_SE_EEEEZNS1_13binary_searchIS3_S5_NSA_INS8_10device_ptrIaEEEESG_SI_NS1_16binary_search_opENS9_16wrapped_functionINS8_7greaterIaEEbEEEE10hipError_tPvRmT1_T2_T3_mmT4_T5_P12ihipStream_tbEUlRKaE_EESS_SW_SX_mSY_S11_bEUlT_E_NS1_11comp_targetILNS1_3genE5ELNS1_11target_archE942ELNS1_3gpuE9ELNS1_3repE0EEENS1_30default_config_static_selectorELNS0_4arch9wavefront6targetE0EEEvSV_
		.amdhsa_group_segment_fixed_size 0
		.amdhsa_private_segment_fixed_size 0
		.amdhsa_kernarg_size 56
		.amdhsa_user_sgpr_count 2
		.amdhsa_user_sgpr_dispatch_ptr 0
		.amdhsa_user_sgpr_queue_ptr 0
		.amdhsa_user_sgpr_kernarg_segment_ptr 1
		.amdhsa_user_sgpr_dispatch_id 0
		.amdhsa_user_sgpr_kernarg_preload_length 0
		.amdhsa_user_sgpr_kernarg_preload_offset 0
		.amdhsa_user_sgpr_private_segment_size 0
		.amdhsa_wavefront_size32 1
		.amdhsa_uses_dynamic_stack 0
		.amdhsa_enable_private_segment 0
		.amdhsa_system_sgpr_workgroup_id_x 1
		.amdhsa_system_sgpr_workgroup_id_y 0
		.amdhsa_system_sgpr_workgroup_id_z 0
		.amdhsa_system_sgpr_workgroup_info 0
		.amdhsa_system_vgpr_workitem_id 0
		.amdhsa_next_free_vgpr 1
		.amdhsa_next_free_sgpr 1
		.amdhsa_named_barrier_count 0
		.amdhsa_reserve_vcc 0
		.amdhsa_float_round_mode_32 0
		.amdhsa_float_round_mode_16_64 0
		.amdhsa_float_denorm_mode_32 3
		.amdhsa_float_denorm_mode_16_64 3
		.amdhsa_fp16_overflow 0
		.amdhsa_memory_ordered 1
		.amdhsa_forward_progress 1
		.amdhsa_inst_pref_size 0
		.amdhsa_round_robin_scheduling 0
		.amdhsa_exception_fp_ieee_invalid_op 0
		.amdhsa_exception_fp_denorm_src 0
		.amdhsa_exception_fp_ieee_div_zero 0
		.amdhsa_exception_fp_ieee_overflow 0
		.amdhsa_exception_fp_ieee_underflow 0
		.amdhsa_exception_fp_ieee_inexact 0
		.amdhsa_exception_int_div_zero 0
	.end_amdhsa_kernel
	.section	.text._ZN7rocprim17ROCPRIM_400000_NS6detail17trampoline_kernelINS0_14default_configENS1_29binary_search_config_selectorIaiEEZNS1_14transform_implILb0ES3_S5_N6thrust23THRUST_200600_302600_NS6detail15normal_iteratorINS8_7pointerIaNS8_11hip_rocprim3tagENS8_11use_defaultESE_EEEENSA_INSB_IiSD_SE_SE_EEEEZNS1_13binary_searchIS3_S5_NSA_INS8_10device_ptrIaEEEESG_SI_NS1_16binary_search_opENS9_16wrapped_functionINS8_7greaterIaEEbEEEE10hipError_tPvRmT1_T2_T3_mmT4_T5_P12ihipStream_tbEUlRKaE_EESS_SW_SX_mSY_S11_bEUlT_E_NS1_11comp_targetILNS1_3genE5ELNS1_11target_archE942ELNS1_3gpuE9ELNS1_3repE0EEENS1_30default_config_static_selectorELNS0_4arch9wavefront6targetE0EEEvSV_,"axG",@progbits,_ZN7rocprim17ROCPRIM_400000_NS6detail17trampoline_kernelINS0_14default_configENS1_29binary_search_config_selectorIaiEEZNS1_14transform_implILb0ES3_S5_N6thrust23THRUST_200600_302600_NS6detail15normal_iteratorINS8_7pointerIaNS8_11hip_rocprim3tagENS8_11use_defaultESE_EEEENSA_INSB_IiSD_SE_SE_EEEEZNS1_13binary_searchIS3_S5_NSA_INS8_10device_ptrIaEEEESG_SI_NS1_16binary_search_opENS9_16wrapped_functionINS8_7greaterIaEEbEEEE10hipError_tPvRmT1_T2_T3_mmT4_T5_P12ihipStream_tbEUlRKaE_EESS_SW_SX_mSY_S11_bEUlT_E_NS1_11comp_targetILNS1_3genE5ELNS1_11target_archE942ELNS1_3gpuE9ELNS1_3repE0EEENS1_30default_config_static_selectorELNS0_4arch9wavefront6targetE0EEEvSV_,comdat
.Lfunc_end141:
	.size	_ZN7rocprim17ROCPRIM_400000_NS6detail17trampoline_kernelINS0_14default_configENS1_29binary_search_config_selectorIaiEEZNS1_14transform_implILb0ES3_S5_N6thrust23THRUST_200600_302600_NS6detail15normal_iteratorINS8_7pointerIaNS8_11hip_rocprim3tagENS8_11use_defaultESE_EEEENSA_INSB_IiSD_SE_SE_EEEEZNS1_13binary_searchIS3_S5_NSA_INS8_10device_ptrIaEEEESG_SI_NS1_16binary_search_opENS9_16wrapped_functionINS8_7greaterIaEEbEEEE10hipError_tPvRmT1_T2_T3_mmT4_T5_P12ihipStream_tbEUlRKaE_EESS_SW_SX_mSY_S11_bEUlT_E_NS1_11comp_targetILNS1_3genE5ELNS1_11target_archE942ELNS1_3gpuE9ELNS1_3repE0EEENS1_30default_config_static_selectorELNS0_4arch9wavefront6targetE0EEEvSV_, .Lfunc_end141-_ZN7rocprim17ROCPRIM_400000_NS6detail17trampoline_kernelINS0_14default_configENS1_29binary_search_config_selectorIaiEEZNS1_14transform_implILb0ES3_S5_N6thrust23THRUST_200600_302600_NS6detail15normal_iteratorINS8_7pointerIaNS8_11hip_rocprim3tagENS8_11use_defaultESE_EEEENSA_INSB_IiSD_SE_SE_EEEEZNS1_13binary_searchIS3_S5_NSA_INS8_10device_ptrIaEEEESG_SI_NS1_16binary_search_opENS9_16wrapped_functionINS8_7greaterIaEEbEEEE10hipError_tPvRmT1_T2_T3_mmT4_T5_P12ihipStream_tbEUlRKaE_EESS_SW_SX_mSY_S11_bEUlT_E_NS1_11comp_targetILNS1_3genE5ELNS1_11target_archE942ELNS1_3gpuE9ELNS1_3repE0EEENS1_30default_config_static_selectorELNS0_4arch9wavefront6targetE0EEEvSV_
                                        ; -- End function
	.set _ZN7rocprim17ROCPRIM_400000_NS6detail17trampoline_kernelINS0_14default_configENS1_29binary_search_config_selectorIaiEEZNS1_14transform_implILb0ES3_S5_N6thrust23THRUST_200600_302600_NS6detail15normal_iteratorINS8_7pointerIaNS8_11hip_rocprim3tagENS8_11use_defaultESE_EEEENSA_INSB_IiSD_SE_SE_EEEEZNS1_13binary_searchIS3_S5_NSA_INS8_10device_ptrIaEEEESG_SI_NS1_16binary_search_opENS9_16wrapped_functionINS8_7greaterIaEEbEEEE10hipError_tPvRmT1_T2_T3_mmT4_T5_P12ihipStream_tbEUlRKaE_EESS_SW_SX_mSY_S11_bEUlT_E_NS1_11comp_targetILNS1_3genE5ELNS1_11target_archE942ELNS1_3gpuE9ELNS1_3repE0EEENS1_30default_config_static_selectorELNS0_4arch9wavefront6targetE0EEEvSV_.num_vgpr, 0
	.set _ZN7rocprim17ROCPRIM_400000_NS6detail17trampoline_kernelINS0_14default_configENS1_29binary_search_config_selectorIaiEEZNS1_14transform_implILb0ES3_S5_N6thrust23THRUST_200600_302600_NS6detail15normal_iteratorINS8_7pointerIaNS8_11hip_rocprim3tagENS8_11use_defaultESE_EEEENSA_INSB_IiSD_SE_SE_EEEEZNS1_13binary_searchIS3_S5_NSA_INS8_10device_ptrIaEEEESG_SI_NS1_16binary_search_opENS9_16wrapped_functionINS8_7greaterIaEEbEEEE10hipError_tPvRmT1_T2_T3_mmT4_T5_P12ihipStream_tbEUlRKaE_EESS_SW_SX_mSY_S11_bEUlT_E_NS1_11comp_targetILNS1_3genE5ELNS1_11target_archE942ELNS1_3gpuE9ELNS1_3repE0EEENS1_30default_config_static_selectorELNS0_4arch9wavefront6targetE0EEEvSV_.num_agpr, 0
	.set _ZN7rocprim17ROCPRIM_400000_NS6detail17trampoline_kernelINS0_14default_configENS1_29binary_search_config_selectorIaiEEZNS1_14transform_implILb0ES3_S5_N6thrust23THRUST_200600_302600_NS6detail15normal_iteratorINS8_7pointerIaNS8_11hip_rocprim3tagENS8_11use_defaultESE_EEEENSA_INSB_IiSD_SE_SE_EEEEZNS1_13binary_searchIS3_S5_NSA_INS8_10device_ptrIaEEEESG_SI_NS1_16binary_search_opENS9_16wrapped_functionINS8_7greaterIaEEbEEEE10hipError_tPvRmT1_T2_T3_mmT4_T5_P12ihipStream_tbEUlRKaE_EESS_SW_SX_mSY_S11_bEUlT_E_NS1_11comp_targetILNS1_3genE5ELNS1_11target_archE942ELNS1_3gpuE9ELNS1_3repE0EEENS1_30default_config_static_selectorELNS0_4arch9wavefront6targetE0EEEvSV_.numbered_sgpr, 0
	.set _ZN7rocprim17ROCPRIM_400000_NS6detail17trampoline_kernelINS0_14default_configENS1_29binary_search_config_selectorIaiEEZNS1_14transform_implILb0ES3_S5_N6thrust23THRUST_200600_302600_NS6detail15normal_iteratorINS8_7pointerIaNS8_11hip_rocprim3tagENS8_11use_defaultESE_EEEENSA_INSB_IiSD_SE_SE_EEEEZNS1_13binary_searchIS3_S5_NSA_INS8_10device_ptrIaEEEESG_SI_NS1_16binary_search_opENS9_16wrapped_functionINS8_7greaterIaEEbEEEE10hipError_tPvRmT1_T2_T3_mmT4_T5_P12ihipStream_tbEUlRKaE_EESS_SW_SX_mSY_S11_bEUlT_E_NS1_11comp_targetILNS1_3genE5ELNS1_11target_archE942ELNS1_3gpuE9ELNS1_3repE0EEENS1_30default_config_static_selectorELNS0_4arch9wavefront6targetE0EEEvSV_.num_named_barrier, 0
	.set _ZN7rocprim17ROCPRIM_400000_NS6detail17trampoline_kernelINS0_14default_configENS1_29binary_search_config_selectorIaiEEZNS1_14transform_implILb0ES3_S5_N6thrust23THRUST_200600_302600_NS6detail15normal_iteratorINS8_7pointerIaNS8_11hip_rocprim3tagENS8_11use_defaultESE_EEEENSA_INSB_IiSD_SE_SE_EEEEZNS1_13binary_searchIS3_S5_NSA_INS8_10device_ptrIaEEEESG_SI_NS1_16binary_search_opENS9_16wrapped_functionINS8_7greaterIaEEbEEEE10hipError_tPvRmT1_T2_T3_mmT4_T5_P12ihipStream_tbEUlRKaE_EESS_SW_SX_mSY_S11_bEUlT_E_NS1_11comp_targetILNS1_3genE5ELNS1_11target_archE942ELNS1_3gpuE9ELNS1_3repE0EEENS1_30default_config_static_selectorELNS0_4arch9wavefront6targetE0EEEvSV_.private_seg_size, 0
	.set _ZN7rocprim17ROCPRIM_400000_NS6detail17trampoline_kernelINS0_14default_configENS1_29binary_search_config_selectorIaiEEZNS1_14transform_implILb0ES3_S5_N6thrust23THRUST_200600_302600_NS6detail15normal_iteratorINS8_7pointerIaNS8_11hip_rocprim3tagENS8_11use_defaultESE_EEEENSA_INSB_IiSD_SE_SE_EEEEZNS1_13binary_searchIS3_S5_NSA_INS8_10device_ptrIaEEEESG_SI_NS1_16binary_search_opENS9_16wrapped_functionINS8_7greaterIaEEbEEEE10hipError_tPvRmT1_T2_T3_mmT4_T5_P12ihipStream_tbEUlRKaE_EESS_SW_SX_mSY_S11_bEUlT_E_NS1_11comp_targetILNS1_3genE5ELNS1_11target_archE942ELNS1_3gpuE9ELNS1_3repE0EEENS1_30default_config_static_selectorELNS0_4arch9wavefront6targetE0EEEvSV_.uses_vcc, 0
	.set _ZN7rocprim17ROCPRIM_400000_NS6detail17trampoline_kernelINS0_14default_configENS1_29binary_search_config_selectorIaiEEZNS1_14transform_implILb0ES3_S5_N6thrust23THRUST_200600_302600_NS6detail15normal_iteratorINS8_7pointerIaNS8_11hip_rocprim3tagENS8_11use_defaultESE_EEEENSA_INSB_IiSD_SE_SE_EEEEZNS1_13binary_searchIS3_S5_NSA_INS8_10device_ptrIaEEEESG_SI_NS1_16binary_search_opENS9_16wrapped_functionINS8_7greaterIaEEbEEEE10hipError_tPvRmT1_T2_T3_mmT4_T5_P12ihipStream_tbEUlRKaE_EESS_SW_SX_mSY_S11_bEUlT_E_NS1_11comp_targetILNS1_3genE5ELNS1_11target_archE942ELNS1_3gpuE9ELNS1_3repE0EEENS1_30default_config_static_selectorELNS0_4arch9wavefront6targetE0EEEvSV_.uses_flat_scratch, 0
	.set _ZN7rocprim17ROCPRIM_400000_NS6detail17trampoline_kernelINS0_14default_configENS1_29binary_search_config_selectorIaiEEZNS1_14transform_implILb0ES3_S5_N6thrust23THRUST_200600_302600_NS6detail15normal_iteratorINS8_7pointerIaNS8_11hip_rocprim3tagENS8_11use_defaultESE_EEEENSA_INSB_IiSD_SE_SE_EEEEZNS1_13binary_searchIS3_S5_NSA_INS8_10device_ptrIaEEEESG_SI_NS1_16binary_search_opENS9_16wrapped_functionINS8_7greaterIaEEbEEEE10hipError_tPvRmT1_T2_T3_mmT4_T5_P12ihipStream_tbEUlRKaE_EESS_SW_SX_mSY_S11_bEUlT_E_NS1_11comp_targetILNS1_3genE5ELNS1_11target_archE942ELNS1_3gpuE9ELNS1_3repE0EEENS1_30default_config_static_selectorELNS0_4arch9wavefront6targetE0EEEvSV_.has_dyn_sized_stack, 0
	.set _ZN7rocprim17ROCPRIM_400000_NS6detail17trampoline_kernelINS0_14default_configENS1_29binary_search_config_selectorIaiEEZNS1_14transform_implILb0ES3_S5_N6thrust23THRUST_200600_302600_NS6detail15normal_iteratorINS8_7pointerIaNS8_11hip_rocprim3tagENS8_11use_defaultESE_EEEENSA_INSB_IiSD_SE_SE_EEEEZNS1_13binary_searchIS3_S5_NSA_INS8_10device_ptrIaEEEESG_SI_NS1_16binary_search_opENS9_16wrapped_functionINS8_7greaterIaEEbEEEE10hipError_tPvRmT1_T2_T3_mmT4_T5_P12ihipStream_tbEUlRKaE_EESS_SW_SX_mSY_S11_bEUlT_E_NS1_11comp_targetILNS1_3genE5ELNS1_11target_archE942ELNS1_3gpuE9ELNS1_3repE0EEENS1_30default_config_static_selectorELNS0_4arch9wavefront6targetE0EEEvSV_.has_recursion, 0
	.set _ZN7rocprim17ROCPRIM_400000_NS6detail17trampoline_kernelINS0_14default_configENS1_29binary_search_config_selectorIaiEEZNS1_14transform_implILb0ES3_S5_N6thrust23THRUST_200600_302600_NS6detail15normal_iteratorINS8_7pointerIaNS8_11hip_rocprim3tagENS8_11use_defaultESE_EEEENSA_INSB_IiSD_SE_SE_EEEEZNS1_13binary_searchIS3_S5_NSA_INS8_10device_ptrIaEEEESG_SI_NS1_16binary_search_opENS9_16wrapped_functionINS8_7greaterIaEEbEEEE10hipError_tPvRmT1_T2_T3_mmT4_T5_P12ihipStream_tbEUlRKaE_EESS_SW_SX_mSY_S11_bEUlT_E_NS1_11comp_targetILNS1_3genE5ELNS1_11target_archE942ELNS1_3gpuE9ELNS1_3repE0EEENS1_30default_config_static_selectorELNS0_4arch9wavefront6targetE0EEEvSV_.has_indirect_call, 0
	.section	.AMDGPU.csdata,"",@progbits
; Kernel info:
; codeLenInByte = 0
; TotalNumSgprs: 0
; NumVgprs: 0
; ScratchSize: 0
; MemoryBound: 0
; FloatMode: 240
; IeeeMode: 1
; LDSByteSize: 0 bytes/workgroup (compile time only)
; SGPRBlocks: 0
; VGPRBlocks: 0
; NumSGPRsForWavesPerEU: 1
; NumVGPRsForWavesPerEU: 1
; NamedBarCnt: 0
; Occupancy: 16
; WaveLimiterHint : 0
; COMPUTE_PGM_RSRC2:SCRATCH_EN: 0
; COMPUTE_PGM_RSRC2:USER_SGPR: 2
; COMPUTE_PGM_RSRC2:TRAP_HANDLER: 0
; COMPUTE_PGM_RSRC2:TGID_X_EN: 1
; COMPUTE_PGM_RSRC2:TGID_Y_EN: 0
; COMPUTE_PGM_RSRC2:TGID_Z_EN: 0
; COMPUTE_PGM_RSRC2:TIDIG_COMP_CNT: 0
	.section	.text._ZN7rocprim17ROCPRIM_400000_NS6detail17trampoline_kernelINS0_14default_configENS1_29binary_search_config_selectorIaiEEZNS1_14transform_implILb0ES3_S5_N6thrust23THRUST_200600_302600_NS6detail15normal_iteratorINS8_7pointerIaNS8_11hip_rocprim3tagENS8_11use_defaultESE_EEEENSA_INSB_IiSD_SE_SE_EEEEZNS1_13binary_searchIS3_S5_NSA_INS8_10device_ptrIaEEEESG_SI_NS1_16binary_search_opENS9_16wrapped_functionINS8_7greaterIaEEbEEEE10hipError_tPvRmT1_T2_T3_mmT4_T5_P12ihipStream_tbEUlRKaE_EESS_SW_SX_mSY_S11_bEUlT_E_NS1_11comp_targetILNS1_3genE4ELNS1_11target_archE910ELNS1_3gpuE8ELNS1_3repE0EEENS1_30default_config_static_selectorELNS0_4arch9wavefront6targetE0EEEvSV_,"axG",@progbits,_ZN7rocprim17ROCPRIM_400000_NS6detail17trampoline_kernelINS0_14default_configENS1_29binary_search_config_selectorIaiEEZNS1_14transform_implILb0ES3_S5_N6thrust23THRUST_200600_302600_NS6detail15normal_iteratorINS8_7pointerIaNS8_11hip_rocprim3tagENS8_11use_defaultESE_EEEENSA_INSB_IiSD_SE_SE_EEEEZNS1_13binary_searchIS3_S5_NSA_INS8_10device_ptrIaEEEESG_SI_NS1_16binary_search_opENS9_16wrapped_functionINS8_7greaterIaEEbEEEE10hipError_tPvRmT1_T2_T3_mmT4_T5_P12ihipStream_tbEUlRKaE_EESS_SW_SX_mSY_S11_bEUlT_E_NS1_11comp_targetILNS1_3genE4ELNS1_11target_archE910ELNS1_3gpuE8ELNS1_3repE0EEENS1_30default_config_static_selectorELNS0_4arch9wavefront6targetE0EEEvSV_,comdat
	.protected	_ZN7rocprim17ROCPRIM_400000_NS6detail17trampoline_kernelINS0_14default_configENS1_29binary_search_config_selectorIaiEEZNS1_14transform_implILb0ES3_S5_N6thrust23THRUST_200600_302600_NS6detail15normal_iteratorINS8_7pointerIaNS8_11hip_rocprim3tagENS8_11use_defaultESE_EEEENSA_INSB_IiSD_SE_SE_EEEEZNS1_13binary_searchIS3_S5_NSA_INS8_10device_ptrIaEEEESG_SI_NS1_16binary_search_opENS9_16wrapped_functionINS8_7greaterIaEEbEEEE10hipError_tPvRmT1_T2_T3_mmT4_T5_P12ihipStream_tbEUlRKaE_EESS_SW_SX_mSY_S11_bEUlT_E_NS1_11comp_targetILNS1_3genE4ELNS1_11target_archE910ELNS1_3gpuE8ELNS1_3repE0EEENS1_30default_config_static_selectorELNS0_4arch9wavefront6targetE0EEEvSV_ ; -- Begin function _ZN7rocprim17ROCPRIM_400000_NS6detail17trampoline_kernelINS0_14default_configENS1_29binary_search_config_selectorIaiEEZNS1_14transform_implILb0ES3_S5_N6thrust23THRUST_200600_302600_NS6detail15normal_iteratorINS8_7pointerIaNS8_11hip_rocprim3tagENS8_11use_defaultESE_EEEENSA_INSB_IiSD_SE_SE_EEEEZNS1_13binary_searchIS3_S5_NSA_INS8_10device_ptrIaEEEESG_SI_NS1_16binary_search_opENS9_16wrapped_functionINS8_7greaterIaEEbEEEE10hipError_tPvRmT1_T2_T3_mmT4_T5_P12ihipStream_tbEUlRKaE_EESS_SW_SX_mSY_S11_bEUlT_E_NS1_11comp_targetILNS1_3genE4ELNS1_11target_archE910ELNS1_3gpuE8ELNS1_3repE0EEENS1_30default_config_static_selectorELNS0_4arch9wavefront6targetE0EEEvSV_
	.globl	_ZN7rocprim17ROCPRIM_400000_NS6detail17trampoline_kernelINS0_14default_configENS1_29binary_search_config_selectorIaiEEZNS1_14transform_implILb0ES3_S5_N6thrust23THRUST_200600_302600_NS6detail15normal_iteratorINS8_7pointerIaNS8_11hip_rocprim3tagENS8_11use_defaultESE_EEEENSA_INSB_IiSD_SE_SE_EEEEZNS1_13binary_searchIS3_S5_NSA_INS8_10device_ptrIaEEEESG_SI_NS1_16binary_search_opENS9_16wrapped_functionINS8_7greaterIaEEbEEEE10hipError_tPvRmT1_T2_T3_mmT4_T5_P12ihipStream_tbEUlRKaE_EESS_SW_SX_mSY_S11_bEUlT_E_NS1_11comp_targetILNS1_3genE4ELNS1_11target_archE910ELNS1_3gpuE8ELNS1_3repE0EEENS1_30default_config_static_selectorELNS0_4arch9wavefront6targetE0EEEvSV_
	.p2align	8
	.type	_ZN7rocprim17ROCPRIM_400000_NS6detail17trampoline_kernelINS0_14default_configENS1_29binary_search_config_selectorIaiEEZNS1_14transform_implILb0ES3_S5_N6thrust23THRUST_200600_302600_NS6detail15normal_iteratorINS8_7pointerIaNS8_11hip_rocprim3tagENS8_11use_defaultESE_EEEENSA_INSB_IiSD_SE_SE_EEEEZNS1_13binary_searchIS3_S5_NSA_INS8_10device_ptrIaEEEESG_SI_NS1_16binary_search_opENS9_16wrapped_functionINS8_7greaterIaEEbEEEE10hipError_tPvRmT1_T2_T3_mmT4_T5_P12ihipStream_tbEUlRKaE_EESS_SW_SX_mSY_S11_bEUlT_E_NS1_11comp_targetILNS1_3genE4ELNS1_11target_archE910ELNS1_3gpuE8ELNS1_3repE0EEENS1_30default_config_static_selectorELNS0_4arch9wavefront6targetE0EEEvSV_,@function
_ZN7rocprim17ROCPRIM_400000_NS6detail17trampoline_kernelINS0_14default_configENS1_29binary_search_config_selectorIaiEEZNS1_14transform_implILb0ES3_S5_N6thrust23THRUST_200600_302600_NS6detail15normal_iteratorINS8_7pointerIaNS8_11hip_rocprim3tagENS8_11use_defaultESE_EEEENSA_INSB_IiSD_SE_SE_EEEEZNS1_13binary_searchIS3_S5_NSA_INS8_10device_ptrIaEEEESG_SI_NS1_16binary_search_opENS9_16wrapped_functionINS8_7greaterIaEEbEEEE10hipError_tPvRmT1_T2_T3_mmT4_T5_P12ihipStream_tbEUlRKaE_EESS_SW_SX_mSY_S11_bEUlT_E_NS1_11comp_targetILNS1_3genE4ELNS1_11target_archE910ELNS1_3gpuE8ELNS1_3repE0EEENS1_30default_config_static_selectorELNS0_4arch9wavefront6targetE0EEEvSV_: ; @_ZN7rocprim17ROCPRIM_400000_NS6detail17trampoline_kernelINS0_14default_configENS1_29binary_search_config_selectorIaiEEZNS1_14transform_implILb0ES3_S5_N6thrust23THRUST_200600_302600_NS6detail15normal_iteratorINS8_7pointerIaNS8_11hip_rocprim3tagENS8_11use_defaultESE_EEEENSA_INSB_IiSD_SE_SE_EEEEZNS1_13binary_searchIS3_S5_NSA_INS8_10device_ptrIaEEEESG_SI_NS1_16binary_search_opENS9_16wrapped_functionINS8_7greaterIaEEbEEEE10hipError_tPvRmT1_T2_T3_mmT4_T5_P12ihipStream_tbEUlRKaE_EESS_SW_SX_mSY_S11_bEUlT_E_NS1_11comp_targetILNS1_3genE4ELNS1_11target_archE910ELNS1_3gpuE8ELNS1_3repE0EEENS1_30default_config_static_selectorELNS0_4arch9wavefront6targetE0EEEvSV_
; %bb.0:
	.section	.rodata,"a",@progbits
	.p2align	6, 0x0
	.amdhsa_kernel _ZN7rocprim17ROCPRIM_400000_NS6detail17trampoline_kernelINS0_14default_configENS1_29binary_search_config_selectorIaiEEZNS1_14transform_implILb0ES3_S5_N6thrust23THRUST_200600_302600_NS6detail15normal_iteratorINS8_7pointerIaNS8_11hip_rocprim3tagENS8_11use_defaultESE_EEEENSA_INSB_IiSD_SE_SE_EEEEZNS1_13binary_searchIS3_S5_NSA_INS8_10device_ptrIaEEEESG_SI_NS1_16binary_search_opENS9_16wrapped_functionINS8_7greaterIaEEbEEEE10hipError_tPvRmT1_T2_T3_mmT4_T5_P12ihipStream_tbEUlRKaE_EESS_SW_SX_mSY_S11_bEUlT_E_NS1_11comp_targetILNS1_3genE4ELNS1_11target_archE910ELNS1_3gpuE8ELNS1_3repE0EEENS1_30default_config_static_selectorELNS0_4arch9wavefront6targetE0EEEvSV_
		.amdhsa_group_segment_fixed_size 0
		.amdhsa_private_segment_fixed_size 0
		.amdhsa_kernarg_size 56
		.amdhsa_user_sgpr_count 2
		.amdhsa_user_sgpr_dispatch_ptr 0
		.amdhsa_user_sgpr_queue_ptr 0
		.amdhsa_user_sgpr_kernarg_segment_ptr 1
		.amdhsa_user_sgpr_dispatch_id 0
		.amdhsa_user_sgpr_kernarg_preload_length 0
		.amdhsa_user_sgpr_kernarg_preload_offset 0
		.amdhsa_user_sgpr_private_segment_size 0
		.amdhsa_wavefront_size32 1
		.amdhsa_uses_dynamic_stack 0
		.amdhsa_enable_private_segment 0
		.amdhsa_system_sgpr_workgroup_id_x 1
		.amdhsa_system_sgpr_workgroup_id_y 0
		.amdhsa_system_sgpr_workgroup_id_z 0
		.amdhsa_system_sgpr_workgroup_info 0
		.amdhsa_system_vgpr_workitem_id 0
		.amdhsa_next_free_vgpr 1
		.amdhsa_next_free_sgpr 1
		.amdhsa_named_barrier_count 0
		.amdhsa_reserve_vcc 0
		.amdhsa_float_round_mode_32 0
		.amdhsa_float_round_mode_16_64 0
		.amdhsa_float_denorm_mode_32 3
		.amdhsa_float_denorm_mode_16_64 3
		.amdhsa_fp16_overflow 0
		.amdhsa_memory_ordered 1
		.amdhsa_forward_progress 1
		.amdhsa_inst_pref_size 0
		.amdhsa_round_robin_scheduling 0
		.amdhsa_exception_fp_ieee_invalid_op 0
		.amdhsa_exception_fp_denorm_src 0
		.amdhsa_exception_fp_ieee_div_zero 0
		.amdhsa_exception_fp_ieee_overflow 0
		.amdhsa_exception_fp_ieee_underflow 0
		.amdhsa_exception_fp_ieee_inexact 0
		.amdhsa_exception_int_div_zero 0
	.end_amdhsa_kernel
	.section	.text._ZN7rocprim17ROCPRIM_400000_NS6detail17trampoline_kernelINS0_14default_configENS1_29binary_search_config_selectorIaiEEZNS1_14transform_implILb0ES3_S5_N6thrust23THRUST_200600_302600_NS6detail15normal_iteratorINS8_7pointerIaNS8_11hip_rocprim3tagENS8_11use_defaultESE_EEEENSA_INSB_IiSD_SE_SE_EEEEZNS1_13binary_searchIS3_S5_NSA_INS8_10device_ptrIaEEEESG_SI_NS1_16binary_search_opENS9_16wrapped_functionINS8_7greaterIaEEbEEEE10hipError_tPvRmT1_T2_T3_mmT4_T5_P12ihipStream_tbEUlRKaE_EESS_SW_SX_mSY_S11_bEUlT_E_NS1_11comp_targetILNS1_3genE4ELNS1_11target_archE910ELNS1_3gpuE8ELNS1_3repE0EEENS1_30default_config_static_selectorELNS0_4arch9wavefront6targetE0EEEvSV_,"axG",@progbits,_ZN7rocprim17ROCPRIM_400000_NS6detail17trampoline_kernelINS0_14default_configENS1_29binary_search_config_selectorIaiEEZNS1_14transform_implILb0ES3_S5_N6thrust23THRUST_200600_302600_NS6detail15normal_iteratorINS8_7pointerIaNS8_11hip_rocprim3tagENS8_11use_defaultESE_EEEENSA_INSB_IiSD_SE_SE_EEEEZNS1_13binary_searchIS3_S5_NSA_INS8_10device_ptrIaEEEESG_SI_NS1_16binary_search_opENS9_16wrapped_functionINS8_7greaterIaEEbEEEE10hipError_tPvRmT1_T2_T3_mmT4_T5_P12ihipStream_tbEUlRKaE_EESS_SW_SX_mSY_S11_bEUlT_E_NS1_11comp_targetILNS1_3genE4ELNS1_11target_archE910ELNS1_3gpuE8ELNS1_3repE0EEENS1_30default_config_static_selectorELNS0_4arch9wavefront6targetE0EEEvSV_,comdat
.Lfunc_end142:
	.size	_ZN7rocprim17ROCPRIM_400000_NS6detail17trampoline_kernelINS0_14default_configENS1_29binary_search_config_selectorIaiEEZNS1_14transform_implILb0ES3_S5_N6thrust23THRUST_200600_302600_NS6detail15normal_iteratorINS8_7pointerIaNS8_11hip_rocprim3tagENS8_11use_defaultESE_EEEENSA_INSB_IiSD_SE_SE_EEEEZNS1_13binary_searchIS3_S5_NSA_INS8_10device_ptrIaEEEESG_SI_NS1_16binary_search_opENS9_16wrapped_functionINS8_7greaterIaEEbEEEE10hipError_tPvRmT1_T2_T3_mmT4_T5_P12ihipStream_tbEUlRKaE_EESS_SW_SX_mSY_S11_bEUlT_E_NS1_11comp_targetILNS1_3genE4ELNS1_11target_archE910ELNS1_3gpuE8ELNS1_3repE0EEENS1_30default_config_static_selectorELNS0_4arch9wavefront6targetE0EEEvSV_, .Lfunc_end142-_ZN7rocprim17ROCPRIM_400000_NS6detail17trampoline_kernelINS0_14default_configENS1_29binary_search_config_selectorIaiEEZNS1_14transform_implILb0ES3_S5_N6thrust23THRUST_200600_302600_NS6detail15normal_iteratorINS8_7pointerIaNS8_11hip_rocprim3tagENS8_11use_defaultESE_EEEENSA_INSB_IiSD_SE_SE_EEEEZNS1_13binary_searchIS3_S5_NSA_INS8_10device_ptrIaEEEESG_SI_NS1_16binary_search_opENS9_16wrapped_functionINS8_7greaterIaEEbEEEE10hipError_tPvRmT1_T2_T3_mmT4_T5_P12ihipStream_tbEUlRKaE_EESS_SW_SX_mSY_S11_bEUlT_E_NS1_11comp_targetILNS1_3genE4ELNS1_11target_archE910ELNS1_3gpuE8ELNS1_3repE0EEENS1_30default_config_static_selectorELNS0_4arch9wavefront6targetE0EEEvSV_
                                        ; -- End function
	.set _ZN7rocprim17ROCPRIM_400000_NS6detail17trampoline_kernelINS0_14default_configENS1_29binary_search_config_selectorIaiEEZNS1_14transform_implILb0ES3_S5_N6thrust23THRUST_200600_302600_NS6detail15normal_iteratorINS8_7pointerIaNS8_11hip_rocprim3tagENS8_11use_defaultESE_EEEENSA_INSB_IiSD_SE_SE_EEEEZNS1_13binary_searchIS3_S5_NSA_INS8_10device_ptrIaEEEESG_SI_NS1_16binary_search_opENS9_16wrapped_functionINS8_7greaterIaEEbEEEE10hipError_tPvRmT1_T2_T3_mmT4_T5_P12ihipStream_tbEUlRKaE_EESS_SW_SX_mSY_S11_bEUlT_E_NS1_11comp_targetILNS1_3genE4ELNS1_11target_archE910ELNS1_3gpuE8ELNS1_3repE0EEENS1_30default_config_static_selectorELNS0_4arch9wavefront6targetE0EEEvSV_.num_vgpr, 0
	.set _ZN7rocprim17ROCPRIM_400000_NS6detail17trampoline_kernelINS0_14default_configENS1_29binary_search_config_selectorIaiEEZNS1_14transform_implILb0ES3_S5_N6thrust23THRUST_200600_302600_NS6detail15normal_iteratorINS8_7pointerIaNS8_11hip_rocprim3tagENS8_11use_defaultESE_EEEENSA_INSB_IiSD_SE_SE_EEEEZNS1_13binary_searchIS3_S5_NSA_INS8_10device_ptrIaEEEESG_SI_NS1_16binary_search_opENS9_16wrapped_functionINS8_7greaterIaEEbEEEE10hipError_tPvRmT1_T2_T3_mmT4_T5_P12ihipStream_tbEUlRKaE_EESS_SW_SX_mSY_S11_bEUlT_E_NS1_11comp_targetILNS1_3genE4ELNS1_11target_archE910ELNS1_3gpuE8ELNS1_3repE0EEENS1_30default_config_static_selectorELNS0_4arch9wavefront6targetE0EEEvSV_.num_agpr, 0
	.set _ZN7rocprim17ROCPRIM_400000_NS6detail17trampoline_kernelINS0_14default_configENS1_29binary_search_config_selectorIaiEEZNS1_14transform_implILb0ES3_S5_N6thrust23THRUST_200600_302600_NS6detail15normal_iteratorINS8_7pointerIaNS8_11hip_rocprim3tagENS8_11use_defaultESE_EEEENSA_INSB_IiSD_SE_SE_EEEEZNS1_13binary_searchIS3_S5_NSA_INS8_10device_ptrIaEEEESG_SI_NS1_16binary_search_opENS9_16wrapped_functionINS8_7greaterIaEEbEEEE10hipError_tPvRmT1_T2_T3_mmT4_T5_P12ihipStream_tbEUlRKaE_EESS_SW_SX_mSY_S11_bEUlT_E_NS1_11comp_targetILNS1_3genE4ELNS1_11target_archE910ELNS1_3gpuE8ELNS1_3repE0EEENS1_30default_config_static_selectorELNS0_4arch9wavefront6targetE0EEEvSV_.numbered_sgpr, 0
	.set _ZN7rocprim17ROCPRIM_400000_NS6detail17trampoline_kernelINS0_14default_configENS1_29binary_search_config_selectorIaiEEZNS1_14transform_implILb0ES3_S5_N6thrust23THRUST_200600_302600_NS6detail15normal_iteratorINS8_7pointerIaNS8_11hip_rocprim3tagENS8_11use_defaultESE_EEEENSA_INSB_IiSD_SE_SE_EEEEZNS1_13binary_searchIS3_S5_NSA_INS8_10device_ptrIaEEEESG_SI_NS1_16binary_search_opENS9_16wrapped_functionINS8_7greaterIaEEbEEEE10hipError_tPvRmT1_T2_T3_mmT4_T5_P12ihipStream_tbEUlRKaE_EESS_SW_SX_mSY_S11_bEUlT_E_NS1_11comp_targetILNS1_3genE4ELNS1_11target_archE910ELNS1_3gpuE8ELNS1_3repE0EEENS1_30default_config_static_selectorELNS0_4arch9wavefront6targetE0EEEvSV_.num_named_barrier, 0
	.set _ZN7rocprim17ROCPRIM_400000_NS6detail17trampoline_kernelINS0_14default_configENS1_29binary_search_config_selectorIaiEEZNS1_14transform_implILb0ES3_S5_N6thrust23THRUST_200600_302600_NS6detail15normal_iteratorINS8_7pointerIaNS8_11hip_rocprim3tagENS8_11use_defaultESE_EEEENSA_INSB_IiSD_SE_SE_EEEEZNS1_13binary_searchIS3_S5_NSA_INS8_10device_ptrIaEEEESG_SI_NS1_16binary_search_opENS9_16wrapped_functionINS8_7greaterIaEEbEEEE10hipError_tPvRmT1_T2_T3_mmT4_T5_P12ihipStream_tbEUlRKaE_EESS_SW_SX_mSY_S11_bEUlT_E_NS1_11comp_targetILNS1_3genE4ELNS1_11target_archE910ELNS1_3gpuE8ELNS1_3repE0EEENS1_30default_config_static_selectorELNS0_4arch9wavefront6targetE0EEEvSV_.private_seg_size, 0
	.set _ZN7rocprim17ROCPRIM_400000_NS6detail17trampoline_kernelINS0_14default_configENS1_29binary_search_config_selectorIaiEEZNS1_14transform_implILb0ES3_S5_N6thrust23THRUST_200600_302600_NS6detail15normal_iteratorINS8_7pointerIaNS8_11hip_rocprim3tagENS8_11use_defaultESE_EEEENSA_INSB_IiSD_SE_SE_EEEEZNS1_13binary_searchIS3_S5_NSA_INS8_10device_ptrIaEEEESG_SI_NS1_16binary_search_opENS9_16wrapped_functionINS8_7greaterIaEEbEEEE10hipError_tPvRmT1_T2_T3_mmT4_T5_P12ihipStream_tbEUlRKaE_EESS_SW_SX_mSY_S11_bEUlT_E_NS1_11comp_targetILNS1_3genE4ELNS1_11target_archE910ELNS1_3gpuE8ELNS1_3repE0EEENS1_30default_config_static_selectorELNS0_4arch9wavefront6targetE0EEEvSV_.uses_vcc, 0
	.set _ZN7rocprim17ROCPRIM_400000_NS6detail17trampoline_kernelINS0_14default_configENS1_29binary_search_config_selectorIaiEEZNS1_14transform_implILb0ES3_S5_N6thrust23THRUST_200600_302600_NS6detail15normal_iteratorINS8_7pointerIaNS8_11hip_rocprim3tagENS8_11use_defaultESE_EEEENSA_INSB_IiSD_SE_SE_EEEEZNS1_13binary_searchIS3_S5_NSA_INS8_10device_ptrIaEEEESG_SI_NS1_16binary_search_opENS9_16wrapped_functionINS8_7greaterIaEEbEEEE10hipError_tPvRmT1_T2_T3_mmT4_T5_P12ihipStream_tbEUlRKaE_EESS_SW_SX_mSY_S11_bEUlT_E_NS1_11comp_targetILNS1_3genE4ELNS1_11target_archE910ELNS1_3gpuE8ELNS1_3repE0EEENS1_30default_config_static_selectorELNS0_4arch9wavefront6targetE0EEEvSV_.uses_flat_scratch, 0
	.set _ZN7rocprim17ROCPRIM_400000_NS6detail17trampoline_kernelINS0_14default_configENS1_29binary_search_config_selectorIaiEEZNS1_14transform_implILb0ES3_S5_N6thrust23THRUST_200600_302600_NS6detail15normal_iteratorINS8_7pointerIaNS8_11hip_rocprim3tagENS8_11use_defaultESE_EEEENSA_INSB_IiSD_SE_SE_EEEEZNS1_13binary_searchIS3_S5_NSA_INS8_10device_ptrIaEEEESG_SI_NS1_16binary_search_opENS9_16wrapped_functionINS8_7greaterIaEEbEEEE10hipError_tPvRmT1_T2_T3_mmT4_T5_P12ihipStream_tbEUlRKaE_EESS_SW_SX_mSY_S11_bEUlT_E_NS1_11comp_targetILNS1_3genE4ELNS1_11target_archE910ELNS1_3gpuE8ELNS1_3repE0EEENS1_30default_config_static_selectorELNS0_4arch9wavefront6targetE0EEEvSV_.has_dyn_sized_stack, 0
	.set _ZN7rocprim17ROCPRIM_400000_NS6detail17trampoline_kernelINS0_14default_configENS1_29binary_search_config_selectorIaiEEZNS1_14transform_implILb0ES3_S5_N6thrust23THRUST_200600_302600_NS6detail15normal_iteratorINS8_7pointerIaNS8_11hip_rocprim3tagENS8_11use_defaultESE_EEEENSA_INSB_IiSD_SE_SE_EEEEZNS1_13binary_searchIS3_S5_NSA_INS8_10device_ptrIaEEEESG_SI_NS1_16binary_search_opENS9_16wrapped_functionINS8_7greaterIaEEbEEEE10hipError_tPvRmT1_T2_T3_mmT4_T5_P12ihipStream_tbEUlRKaE_EESS_SW_SX_mSY_S11_bEUlT_E_NS1_11comp_targetILNS1_3genE4ELNS1_11target_archE910ELNS1_3gpuE8ELNS1_3repE0EEENS1_30default_config_static_selectorELNS0_4arch9wavefront6targetE0EEEvSV_.has_recursion, 0
	.set _ZN7rocprim17ROCPRIM_400000_NS6detail17trampoline_kernelINS0_14default_configENS1_29binary_search_config_selectorIaiEEZNS1_14transform_implILb0ES3_S5_N6thrust23THRUST_200600_302600_NS6detail15normal_iteratorINS8_7pointerIaNS8_11hip_rocprim3tagENS8_11use_defaultESE_EEEENSA_INSB_IiSD_SE_SE_EEEEZNS1_13binary_searchIS3_S5_NSA_INS8_10device_ptrIaEEEESG_SI_NS1_16binary_search_opENS9_16wrapped_functionINS8_7greaterIaEEbEEEE10hipError_tPvRmT1_T2_T3_mmT4_T5_P12ihipStream_tbEUlRKaE_EESS_SW_SX_mSY_S11_bEUlT_E_NS1_11comp_targetILNS1_3genE4ELNS1_11target_archE910ELNS1_3gpuE8ELNS1_3repE0EEENS1_30default_config_static_selectorELNS0_4arch9wavefront6targetE0EEEvSV_.has_indirect_call, 0
	.section	.AMDGPU.csdata,"",@progbits
; Kernel info:
; codeLenInByte = 0
; TotalNumSgprs: 0
; NumVgprs: 0
; ScratchSize: 0
; MemoryBound: 0
; FloatMode: 240
; IeeeMode: 1
; LDSByteSize: 0 bytes/workgroup (compile time only)
; SGPRBlocks: 0
; VGPRBlocks: 0
; NumSGPRsForWavesPerEU: 1
; NumVGPRsForWavesPerEU: 1
; NamedBarCnt: 0
; Occupancy: 16
; WaveLimiterHint : 0
; COMPUTE_PGM_RSRC2:SCRATCH_EN: 0
; COMPUTE_PGM_RSRC2:USER_SGPR: 2
; COMPUTE_PGM_RSRC2:TRAP_HANDLER: 0
; COMPUTE_PGM_RSRC2:TGID_X_EN: 1
; COMPUTE_PGM_RSRC2:TGID_Y_EN: 0
; COMPUTE_PGM_RSRC2:TGID_Z_EN: 0
; COMPUTE_PGM_RSRC2:TIDIG_COMP_CNT: 0
	.section	.text._ZN7rocprim17ROCPRIM_400000_NS6detail17trampoline_kernelINS0_14default_configENS1_29binary_search_config_selectorIaiEEZNS1_14transform_implILb0ES3_S5_N6thrust23THRUST_200600_302600_NS6detail15normal_iteratorINS8_7pointerIaNS8_11hip_rocprim3tagENS8_11use_defaultESE_EEEENSA_INSB_IiSD_SE_SE_EEEEZNS1_13binary_searchIS3_S5_NSA_INS8_10device_ptrIaEEEESG_SI_NS1_16binary_search_opENS9_16wrapped_functionINS8_7greaterIaEEbEEEE10hipError_tPvRmT1_T2_T3_mmT4_T5_P12ihipStream_tbEUlRKaE_EESS_SW_SX_mSY_S11_bEUlT_E_NS1_11comp_targetILNS1_3genE3ELNS1_11target_archE908ELNS1_3gpuE7ELNS1_3repE0EEENS1_30default_config_static_selectorELNS0_4arch9wavefront6targetE0EEEvSV_,"axG",@progbits,_ZN7rocprim17ROCPRIM_400000_NS6detail17trampoline_kernelINS0_14default_configENS1_29binary_search_config_selectorIaiEEZNS1_14transform_implILb0ES3_S5_N6thrust23THRUST_200600_302600_NS6detail15normal_iteratorINS8_7pointerIaNS8_11hip_rocprim3tagENS8_11use_defaultESE_EEEENSA_INSB_IiSD_SE_SE_EEEEZNS1_13binary_searchIS3_S5_NSA_INS8_10device_ptrIaEEEESG_SI_NS1_16binary_search_opENS9_16wrapped_functionINS8_7greaterIaEEbEEEE10hipError_tPvRmT1_T2_T3_mmT4_T5_P12ihipStream_tbEUlRKaE_EESS_SW_SX_mSY_S11_bEUlT_E_NS1_11comp_targetILNS1_3genE3ELNS1_11target_archE908ELNS1_3gpuE7ELNS1_3repE0EEENS1_30default_config_static_selectorELNS0_4arch9wavefront6targetE0EEEvSV_,comdat
	.protected	_ZN7rocprim17ROCPRIM_400000_NS6detail17trampoline_kernelINS0_14default_configENS1_29binary_search_config_selectorIaiEEZNS1_14transform_implILb0ES3_S5_N6thrust23THRUST_200600_302600_NS6detail15normal_iteratorINS8_7pointerIaNS8_11hip_rocprim3tagENS8_11use_defaultESE_EEEENSA_INSB_IiSD_SE_SE_EEEEZNS1_13binary_searchIS3_S5_NSA_INS8_10device_ptrIaEEEESG_SI_NS1_16binary_search_opENS9_16wrapped_functionINS8_7greaterIaEEbEEEE10hipError_tPvRmT1_T2_T3_mmT4_T5_P12ihipStream_tbEUlRKaE_EESS_SW_SX_mSY_S11_bEUlT_E_NS1_11comp_targetILNS1_3genE3ELNS1_11target_archE908ELNS1_3gpuE7ELNS1_3repE0EEENS1_30default_config_static_selectorELNS0_4arch9wavefront6targetE0EEEvSV_ ; -- Begin function _ZN7rocprim17ROCPRIM_400000_NS6detail17trampoline_kernelINS0_14default_configENS1_29binary_search_config_selectorIaiEEZNS1_14transform_implILb0ES3_S5_N6thrust23THRUST_200600_302600_NS6detail15normal_iteratorINS8_7pointerIaNS8_11hip_rocprim3tagENS8_11use_defaultESE_EEEENSA_INSB_IiSD_SE_SE_EEEEZNS1_13binary_searchIS3_S5_NSA_INS8_10device_ptrIaEEEESG_SI_NS1_16binary_search_opENS9_16wrapped_functionINS8_7greaterIaEEbEEEE10hipError_tPvRmT1_T2_T3_mmT4_T5_P12ihipStream_tbEUlRKaE_EESS_SW_SX_mSY_S11_bEUlT_E_NS1_11comp_targetILNS1_3genE3ELNS1_11target_archE908ELNS1_3gpuE7ELNS1_3repE0EEENS1_30default_config_static_selectorELNS0_4arch9wavefront6targetE0EEEvSV_
	.globl	_ZN7rocprim17ROCPRIM_400000_NS6detail17trampoline_kernelINS0_14default_configENS1_29binary_search_config_selectorIaiEEZNS1_14transform_implILb0ES3_S5_N6thrust23THRUST_200600_302600_NS6detail15normal_iteratorINS8_7pointerIaNS8_11hip_rocprim3tagENS8_11use_defaultESE_EEEENSA_INSB_IiSD_SE_SE_EEEEZNS1_13binary_searchIS3_S5_NSA_INS8_10device_ptrIaEEEESG_SI_NS1_16binary_search_opENS9_16wrapped_functionINS8_7greaterIaEEbEEEE10hipError_tPvRmT1_T2_T3_mmT4_T5_P12ihipStream_tbEUlRKaE_EESS_SW_SX_mSY_S11_bEUlT_E_NS1_11comp_targetILNS1_3genE3ELNS1_11target_archE908ELNS1_3gpuE7ELNS1_3repE0EEENS1_30default_config_static_selectorELNS0_4arch9wavefront6targetE0EEEvSV_
	.p2align	8
	.type	_ZN7rocprim17ROCPRIM_400000_NS6detail17trampoline_kernelINS0_14default_configENS1_29binary_search_config_selectorIaiEEZNS1_14transform_implILb0ES3_S5_N6thrust23THRUST_200600_302600_NS6detail15normal_iteratorINS8_7pointerIaNS8_11hip_rocprim3tagENS8_11use_defaultESE_EEEENSA_INSB_IiSD_SE_SE_EEEEZNS1_13binary_searchIS3_S5_NSA_INS8_10device_ptrIaEEEESG_SI_NS1_16binary_search_opENS9_16wrapped_functionINS8_7greaterIaEEbEEEE10hipError_tPvRmT1_T2_T3_mmT4_T5_P12ihipStream_tbEUlRKaE_EESS_SW_SX_mSY_S11_bEUlT_E_NS1_11comp_targetILNS1_3genE3ELNS1_11target_archE908ELNS1_3gpuE7ELNS1_3repE0EEENS1_30default_config_static_selectorELNS0_4arch9wavefront6targetE0EEEvSV_,@function
_ZN7rocprim17ROCPRIM_400000_NS6detail17trampoline_kernelINS0_14default_configENS1_29binary_search_config_selectorIaiEEZNS1_14transform_implILb0ES3_S5_N6thrust23THRUST_200600_302600_NS6detail15normal_iteratorINS8_7pointerIaNS8_11hip_rocprim3tagENS8_11use_defaultESE_EEEENSA_INSB_IiSD_SE_SE_EEEEZNS1_13binary_searchIS3_S5_NSA_INS8_10device_ptrIaEEEESG_SI_NS1_16binary_search_opENS9_16wrapped_functionINS8_7greaterIaEEbEEEE10hipError_tPvRmT1_T2_T3_mmT4_T5_P12ihipStream_tbEUlRKaE_EESS_SW_SX_mSY_S11_bEUlT_E_NS1_11comp_targetILNS1_3genE3ELNS1_11target_archE908ELNS1_3gpuE7ELNS1_3repE0EEENS1_30default_config_static_selectorELNS0_4arch9wavefront6targetE0EEEvSV_: ; @_ZN7rocprim17ROCPRIM_400000_NS6detail17trampoline_kernelINS0_14default_configENS1_29binary_search_config_selectorIaiEEZNS1_14transform_implILb0ES3_S5_N6thrust23THRUST_200600_302600_NS6detail15normal_iteratorINS8_7pointerIaNS8_11hip_rocprim3tagENS8_11use_defaultESE_EEEENSA_INSB_IiSD_SE_SE_EEEEZNS1_13binary_searchIS3_S5_NSA_INS8_10device_ptrIaEEEESG_SI_NS1_16binary_search_opENS9_16wrapped_functionINS8_7greaterIaEEbEEEE10hipError_tPvRmT1_T2_T3_mmT4_T5_P12ihipStream_tbEUlRKaE_EESS_SW_SX_mSY_S11_bEUlT_E_NS1_11comp_targetILNS1_3genE3ELNS1_11target_archE908ELNS1_3gpuE7ELNS1_3repE0EEENS1_30default_config_static_selectorELNS0_4arch9wavefront6targetE0EEEvSV_
; %bb.0:
	.section	.rodata,"a",@progbits
	.p2align	6, 0x0
	.amdhsa_kernel _ZN7rocprim17ROCPRIM_400000_NS6detail17trampoline_kernelINS0_14default_configENS1_29binary_search_config_selectorIaiEEZNS1_14transform_implILb0ES3_S5_N6thrust23THRUST_200600_302600_NS6detail15normal_iteratorINS8_7pointerIaNS8_11hip_rocprim3tagENS8_11use_defaultESE_EEEENSA_INSB_IiSD_SE_SE_EEEEZNS1_13binary_searchIS3_S5_NSA_INS8_10device_ptrIaEEEESG_SI_NS1_16binary_search_opENS9_16wrapped_functionINS8_7greaterIaEEbEEEE10hipError_tPvRmT1_T2_T3_mmT4_T5_P12ihipStream_tbEUlRKaE_EESS_SW_SX_mSY_S11_bEUlT_E_NS1_11comp_targetILNS1_3genE3ELNS1_11target_archE908ELNS1_3gpuE7ELNS1_3repE0EEENS1_30default_config_static_selectorELNS0_4arch9wavefront6targetE0EEEvSV_
		.amdhsa_group_segment_fixed_size 0
		.amdhsa_private_segment_fixed_size 0
		.amdhsa_kernarg_size 56
		.amdhsa_user_sgpr_count 2
		.amdhsa_user_sgpr_dispatch_ptr 0
		.amdhsa_user_sgpr_queue_ptr 0
		.amdhsa_user_sgpr_kernarg_segment_ptr 1
		.amdhsa_user_sgpr_dispatch_id 0
		.amdhsa_user_sgpr_kernarg_preload_length 0
		.amdhsa_user_sgpr_kernarg_preload_offset 0
		.amdhsa_user_sgpr_private_segment_size 0
		.amdhsa_wavefront_size32 1
		.amdhsa_uses_dynamic_stack 0
		.amdhsa_enable_private_segment 0
		.amdhsa_system_sgpr_workgroup_id_x 1
		.amdhsa_system_sgpr_workgroup_id_y 0
		.amdhsa_system_sgpr_workgroup_id_z 0
		.amdhsa_system_sgpr_workgroup_info 0
		.amdhsa_system_vgpr_workitem_id 0
		.amdhsa_next_free_vgpr 1
		.amdhsa_next_free_sgpr 1
		.amdhsa_named_barrier_count 0
		.amdhsa_reserve_vcc 0
		.amdhsa_float_round_mode_32 0
		.amdhsa_float_round_mode_16_64 0
		.amdhsa_float_denorm_mode_32 3
		.amdhsa_float_denorm_mode_16_64 3
		.amdhsa_fp16_overflow 0
		.amdhsa_memory_ordered 1
		.amdhsa_forward_progress 1
		.amdhsa_inst_pref_size 0
		.amdhsa_round_robin_scheduling 0
		.amdhsa_exception_fp_ieee_invalid_op 0
		.amdhsa_exception_fp_denorm_src 0
		.amdhsa_exception_fp_ieee_div_zero 0
		.amdhsa_exception_fp_ieee_overflow 0
		.amdhsa_exception_fp_ieee_underflow 0
		.amdhsa_exception_fp_ieee_inexact 0
		.amdhsa_exception_int_div_zero 0
	.end_amdhsa_kernel
	.section	.text._ZN7rocprim17ROCPRIM_400000_NS6detail17trampoline_kernelINS0_14default_configENS1_29binary_search_config_selectorIaiEEZNS1_14transform_implILb0ES3_S5_N6thrust23THRUST_200600_302600_NS6detail15normal_iteratorINS8_7pointerIaNS8_11hip_rocprim3tagENS8_11use_defaultESE_EEEENSA_INSB_IiSD_SE_SE_EEEEZNS1_13binary_searchIS3_S5_NSA_INS8_10device_ptrIaEEEESG_SI_NS1_16binary_search_opENS9_16wrapped_functionINS8_7greaterIaEEbEEEE10hipError_tPvRmT1_T2_T3_mmT4_T5_P12ihipStream_tbEUlRKaE_EESS_SW_SX_mSY_S11_bEUlT_E_NS1_11comp_targetILNS1_3genE3ELNS1_11target_archE908ELNS1_3gpuE7ELNS1_3repE0EEENS1_30default_config_static_selectorELNS0_4arch9wavefront6targetE0EEEvSV_,"axG",@progbits,_ZN7rocprim17ROCPRIM_400000_NS6detail17trampoline_kernelINS0_14default_configENS1_29binary_search_config_selectorIaiEEZNS1_14transform_implILb0ES3_S5_N6thrust23THRUST_200600_302600_NS6detail15normal_iteratorINS8_7pointerIaNS8_11hip_rocprim3tagENS8_11use_defaultESE_EEEENSA_INSB_IiSD_SE_SE_EEEEZNS1_13binary_searchIS3_S5_NSA_INS8_10device_ptrIaEEEESG_SI_NS1_16binary_search_opENS9_16wrapped_functionINS8_7greaterIaEEbEEEE10hipError_tPvRmT1_T2_T3_mmT4_T5_P12ihipStream_tbEUlRKaE_EESS_SW_SX_mSY_S11_bEUlT_E_NS1_11comp_targetILNS1_3genE3ELNS1_11target_archE908ELNS1_3gpuE7ELNS1_3repE0EEENS1_30default_config_static_selectorELNS0_4arch9wavefront6targetE0EEEvSV_,comdat
.Lfunc_end143:
	.size	_ZN7rocprim17ROCPRIM_400000_NS6detail17trampoline_kernelINS0_14default_configENS1_29binary_search_config_selectorIaiEEZNS1_14transform_implILb0ES3_S5_N6thrust23THRUST_200600_302600_NS6detail15normal_iteratorINS8_7pointerIaNS8_11hip_rocprim3tagENS8_11use_defaultESE_EEEENSA_INSB_IiSD_SE_SE_EEEEZNS1_13binary_searchIS3_S5_NSA_INS8_10device_ptrIaEEEESG_SI_NS1_16binary_search_opENS9_16wrapped_functionINS8_7greaterIaEEbEEEE10hipError_tPvRmT1_T2_T3_mmT4_T5_P12ihipStream_tbEUlRKaE_EESS_SW_SX_mSY_S11_bEUlT_E_NS1_11comp_targetILNS1_3genE3ELNS1_11target_archE908ELNS1_3gpuE7ELNS1_3repE0EEENS1_30default_config_static_selectorELNS0_4arch9wavefront6targetE0EEEvSV_, .Lfunc_end143-_ZN7rocprim17ROCPRIM_400000_NS6detail17trampoline_kernelINS0_14default_configENS1_29binary_search_config_selectorIaiEEZNS1_14transform_implILb0ES3_S5_N6thrust23THRUST_200600_302600_NS6detail15normal_iteratorINS8_7pointerIaNS8_11hip_rocprim3tagENS8_11use_defaultESE_EEEENSA_INSB_IiSD_SE_SE_EEEEZNS1_13binary_searchIS3_S5_NSA_INS8_10device_ptrIaEEEESG_SI_NS1_16binary_search_opENS9_16wrapped_functionINS8_7greaterIaEEbEEEE10hipError_tPvRmT1_T2_T3_mmT4_T5_P12ihipStream_tbEUlRKaE_EESS_SW_SX_mSY_S11_bEUlT_E_NS1_11comp_targetILNS1_3genE3ELNS1_11target_archE908ELNS1_3gpuE7ELNS1_3repE0EEENS1_30default_config_static_selectorELNS0_4arch9wavefront6targetE0EEEvSV_
                                        ; -- End function
	.set _ZN7rocprim17ROCPRIM_400000_NS6detail17trampoline_kernelINS0_14default_configENS1_29binary_search_config_selectorIaiEEZNS1_14transform_implILb0ES3_S5_N6thrust23THRUST_200600_302600_NS6detail15normal_iteratorINS8_7pointerIaNS8_11hip_rocprim3tagENS8_11use_defaultESE_EEEENSA_INSB_IiSD_SE_SE_EEEEZNS1_13binary_searchIS3_S5_NSA_INS8_10device_ptrIaEEEESG_SI_NS1_16binary_search_opENS9_16wrapped_functionINS8_7greaterIaEEbEEEE10hipError_tPvRmT1_T2_T3_mmT4_T5_P12ihipStream_tbEUlRKaE_EESS_SW_SX_mSY_S11_bEUlT_E_NS1_11comp_targetILNS1_3genE3ELNS1_11target_archE908ELNS1_3gpuE7ELNS1_3repE0EEENS1_30default_config_static_selectorELNS0_4arch9wavefront6targetE0EEEvSV_.num_vgpr, 0
	.set _ZN7rocprim17ROCPRIM_400000_NS6detail17trampoline_kernelINS0_14default_configENS1_29binary_search_config_selectorIaiEEZNS1_14transform_implILb0ES3_S5_N6thrust23THRUST_200600_302600_NS6detail15normal_iteratorINS8_7pointerIaNS8_11hip_rocprim3tagENS8_11use_defaultESE_EEEENSA_INSB_IiSD_SE_SE_EEEEZNS1_13binary_searchIS3_S5_NSA_INS8_10device_ptrIaEEEESG_SI_NS1_16binary_search_opENS9_16wrapped_functionINS8_7greaterIaEEbEEEE10hipError_tPvRmT1_T2_T3_mmT4_T5_P12ihipStream_tbEUlRKaE_EESS_SW_SX_mSY_S11_bEUlT_E_NS1_11comp_targetILNS1_3genE3ELNS1_11target_archE908ELNS1_3gpuE7ELNS1_3repE0EEENS1_30default_config_static_selectorELNS0_4arch9wavefront6targetE0EEEvSV_.num_agpr, 0
	.set _ZN7rocprim17ROCPRIM_400000_NS6detail17trampoline_kernelINS0_14default_configENS1_29binary_search_config_selectorIaiEEZNS1_14transform_implILb0ES3_S5_N6thrust23THRUST_200600_302600_NS6detail15normal_iteratorINS8_7pointerIaNS8_11hip_rocprim3tagENS8_11use_defaultESE_EEEENSA_INSB_IiSD_SE_SE_EEEEZNS1_13binary_searchIS3_S5_NSA_INS8_10device_ptrIaEEEESG_SI_NS1_16binary_search_opENS9_16wrapped_functionINS8_7greaterIaEEbEEEE10hipError_tPvRmT1_T2_T3_mmT4_T5_P12ihipStream_tbEUlRKaE_EESS_SW_SX_mSY_S11_bEUlT_E_NS1_11comp_targetILNS1_3genE3ELNS1_11target_archE908ELNS1_3gpuE7ELNS1_3repE0EEENS1_30default_config_static_selectorELNS0_4arch9wavefront6targetE0EEEvSV_.numbered_sgpr, 0
	.set _ZN7rocprim17ROCPRIM_400000_NS6detail17trampoline_kernelINS0_14default_configENS1_29binary_search_config_selectorIaiEEZNS1_14transform_implILb0ES3_S5_N6thrust23THRUST_200600_302600_NS6detail15normal_iteratorINS8_7pointerIaNS8_11hip_rocprim3tagENS8_11use_defaultESE_EEEENSA_INSB_IiSD_SE_SE_EEEEZNS1_13binary_searchIS3_S5_NSA_INS8_10device_ptrIaEEEESG_SI_NS1_16binary_search_opENS9_16wrapped_functionINS8_7greaterIaEEbEEEE10hipError_tPvRmT1_T2_T3_mmT4_T5_P12ihipStream_tbEUlRKaE_EESS_SW_SX_mSY_S11_bEUlT_E_NS1_11comp_targetILNS1_3genE3ELNS1_11target_archE908ELNS1_3gpuE7ELNS1_3repE0EEENS1_30default_config_static_selectorELNS0_4arch9wavefront6targetE0EEEvSV_.num_named_barrier, 0
	.set _ZN7rocprim17ROCPRIM_400000_NS6detail17trampoline_kernelINS0_14default_configENS1_29binary_search_config_selectorIaiEEZNS1_14transform_implILb0ES3_S5_N6thrust23THRUST_200600_302600_NS6detail15normal_iteratorINS8_7pointerIaNS8_11hip_rocprim3tagENS8_11use_defaultESE_EEEENSA_INSB_IiSD_SE_SE_EEEEZNS1_13binary_searchIS3_S5_NSA_INS8_10device_ptrIaEEEESG_SI_NS1_16binary_search_opENS9_16wrapped_functionINS8_7greaterIaEEbEEEE10hipError_tPvRmT1_T2_T3_mmT4_T5_P12ihipStream_tbEUlRKaE_EESS_SW_SX_mSY_S11_bEUlT_E_NS1_11comp_targetILNS1_3genE3ELNS1_11target_archE908ELNS1_3gpuE7ELNS1_3repE0EEENS1_30default_config_static_selectorELNS0_4arch9wavefront6targetE0EEEvSV_.private_seg_size, 0
	.set _ZN7rocprim17ROCPRIM_400000_NS6detail17trampoline_kernelINS0_14default_configENS1_29binary_search_config_selectorIaiEEZNS1_14transform_implILb0ES3_S5_N6thrust23THRUST_200600_302600_NS6detail15normal_iteratorINS8_7pointerIaNS8_11hip_rocprim3tagENS8_11use_defaultESE_EEEENSA_INSB_IiSD_SE_SE_EEEEZNS1_13binary_searchIS3_S5_NSA_INS8_10device_ptrIaEEEESG_SI_NS1_16binary_search_opENS9_16wrapped_functionINS8_7greaterIaEEbEEEE10hipError_tPvRmT1_T2_T3_mmT4_T5_P12ihipStream_tbEUlRKaE_EESS_SW_SX_mSY_S11_bEUlT_E_NS1_11comp_targetILNS1_3genE3ELNS1_11target_archE908ELNS1_3gpuE7ELNS1_3repE0EEENS1_30default_config_static_selectorELNS0_4arch9wavefront6targetE0EEEvSV_.uses_vcc, 0
	.set _ZN7rocprim17ROCPRIM_400000_NS6detail17trampoline_kernelINS0_14default_configENS1_29binary_search_config_selectorIaiEEZNS1_14transform_implILb0ES3_S5_N6thrust23THRUST_200600_302600_NS6detail15normal_iteratorINS8_7pointerIaNS8_11hip_rocprim3tagENS8_11use_defaultESE_EEEENSA_INSB_IiSD_SE_SE_EEEEZNS1_13binary_searchIS3_S5_NSA_INS8_10device_ptrIaEEEESG_SI_NS1_16binary_search_opENS9_16wrapped_functionINS8_7greaterIaEEbEEEE10hipError_tPvRmT1_T2_T3_mmT4_T5_P12ihipStream_tbEUlRKaE_EESS_SW_SX_mSY_S11_bEUlT_E_NS1_11comp_targetILNS1_3genE3ELNS1_11target_archE908ELNS1_3gpuE7ELNS1_3repE0EEENS1_30default_config_static_selectorELNS0_4arch9wavefront6targetE0EEEvSV_.uses_flat_scratch, 0
	.set _ZN7rocprim17ROCPRIM_400000_NS6detail17trampoline_kernelINS0_14default_configENS1_29binary_search_config_selectorIaiEEZNS1_14transform_implILb0ES3_S5_N6thrust23THRUST_200600_302600_NS6detail15normal_iteratorINS8_7pointerIaNS8_11hip_rocprim3tagENS8_11use_defaultESE_EEEENSA_INSB_IiSD_SE_SE_EEEEZNS1_13binary_searchIS3_S5_NSA_INS8_10device_ptrIaEEEESG_SI_NS1_16binary_search_opENS9_16wrapped_functionINS8_7greaterIaEEbEEEE10hipError_tPvRmT1_T2_T3_mmT4_T5_P12ihipStream_tbEUlRKaE_EESS_SW_SX_mSY_S11_bEUlT_E_NS1_11comp_targetILNS1_3genE3ELNS1_11target_archE908ELNS1_3gpuE7ELNS1_3repE0EEENS1_30default_config_static_selectorELNS0_4arch9wavefront6targetE0EEEvSV_.has_dyn_sized_stack, 0
	.set _ZN7rocprim17ROCPRIM_400000_NS6detail17trampoline_kernelINS0_14default_configENS1_29binary_search_config_selectorIaiEEZNS1_14transform_implILb0ES3_S5_N6thrust23THRUST_200600_302600_NS6detail15normal_iteratorINS8_7pointerIaNS8_11hip_rocprim3tagENS8_11use_defaultESE_EEEENSA_INSB_IiSD_SE_SE_EEEEZNS1_13binary_searchIS3_S5_NSA_INS8_10device_ptrIaEEEESG_SI_NS1_16binary_search_opENS9_16wrapped_functionINS8_7greaterIaEEbEEEE10hipError_tPvRmT1_T2_T3_mmT4_T5_P12ihipStream_tbEUlRKaE_EESS_SW_SX_mSY_S11_bEUlT_E_NS1_11comp_targetILNS1_3genE3ELNS1_11target_archE908ELNS1_3gpuE7ELNS1_3repE0EEENS1_30default_config_static_selectorELNS0_4arch9wavefront6targetE0EEEvSV_.has_recursion, 0
	.set _ZN7rocprim17ROCPRIM_400000_NS6detail17trampoline_kernelINS0_14default_configENS1_29binary_search_config_selectorIaiEEZNS1_14transform_implILb0ES3_S5_N6thrust23THRUST_200600_302600_NS6detail15normal_iteratorINS8_7pointerIaNS8_11hip_rocprim3tagENS8_11use_defaultESE_EEEENSA_INSB_IiSD_SE_SE_EEEEZNS1_13binary_searchIS3_S5_NSA_INS8_10device_ptrIaEEEESG_SI_NS1_16binary_search_opENS9_16wrapped_functionINS8_7greaterIaEEbEEEE10hipError_tPvRmT1_T2_T3_mmT4_T5_P12ihipStream_tbEUlRKaE_EESS_SW_SX_mSY_S11_bEUlT_E_NS1_11comp_targetILNS1_3genE3ELNS1_11target_archE908ELNS1_3gpuE7ELNS1_3repE0EEENS1_30default_config_static_selectorELNS0_4arch9wavefront6targetE0EEEvSV_.has_indirect_call, 0
	.section	.AMDGPU.csdata,"",@progbits
; Kernel info:
; codeLenInByte = 0
; TotalNumSgprs: 0
; NumVgprs: 0
; ScratchSize: 0
; MemoryBound: 0
; FloatMode: 240
; IeeeMode: 1
; LDSByteSize: 0 bytes/workgroup (compile time only)
; SGPRBlocks: 0
; VGPRBlocks: 0
; NumSGPRsForWavesPerEU: 1
; NumVGPRsForWavesPerEU: 1
; NamedBarCnt: 0
; Occupancy: 16
; WaveLimiterHint : 0
; COMPUTE_PGM_RSRC2:SCRATCH_EN: 0
; COMPUTE_PGM_RSRC2:USER_SGPR: 2
; COMPUTE_PGM_RSRC2:TRAP_HANDLER: 0
; COMPUTE_PGM_RSRC2:TGID_X_EN: 1
; COMPUTE_PGM_RSRC2:TGID_Y_EN: 0
; COMPUTE_PGM_RSRC2:TGID_Z_EN: 0
; COMPUTE_PGM_RSRC2:TIDIG_COMP_CNT: 0
	.section	.text._ZN7rocprim17ROCPRIM_400000_NS6detail17trampoline_kernelINS0_14default_configENS1_29binary_search_config_selectorIaiEEZNS1_14transform_implILb0ES3_S5_N6thrust23THRUST_200600_302600_NS6detail15normal_iteratorINS8_7pointerIaNS8_11hip_rocprim3tagENS8_11use_defaultESE_EEEENSA_INSB_IiSD_SE_SE_EEEEZNS1_13binary_searchIS3_S5_NSA_INS8_10device_ptrIaEEEESG_SI_NS1_16binary_search_opENS9_16wrapped_functionINS8_7greaterIaEEbEEEE10hipError_tPvRmT1_T2_T3_mmT4_T5_P12ihipStream_tbEUlRKaE_EESS_SW_SX_mSY_S11_bEUlT_E_NS1_11comp_targetILNS1_3genE2ELNS1_11target_archE906ELNS1_3gpuE6ELNS1_3repE0EEENS1_30default_config_static_selectorELNS0_4arch9wavefront6targetE0EEEvSV_,"axG",@progbits,_ZN7rocprim17ROCPRIM_400000_NS6detail17trampoline_kernelINS0_14default_configENS1_29binary_search_config_selectorIaiEEZNS1_14transform_implILb0ES3_S5_N6thrust23THRUST_200600_302600_NS6detail15normal_iteratorINS8_7pointerIaNS8_11hip_rocprim3tagENS8_11use_defaultESE_EEEENSA_INSB_IiSD_SE_SE_EEEEZNS1_13binary_searchIS3_S5_NSA_INS8_10device_ptrIaEEEESG_SI_NS1_16binary_search_opENS9_16wrapped_functionINS8_7greaterIaEEbEEEE10hipError_tPvRmT1_T2_T3_mmT4_T5_P12ihipStream_tbEUlRKaE_EESS_SW_SX_mSY_S11_bEUlT_E_NS1_11comp_targetILNS1_3genE2ELNS1_11target_archE906ELNS1_3gpuE6ELNS1_3repE0EEENS1_30default_config_static_selectorELNS0_4arch9wavefront6targetE0EEEvSV_,comdat
	.protected	_ZN7rocprim17ROCPRIM_400000_NS6detail17trampoline_kernelINS0_14default_configENS1_29binary_search_config_selectorIaiEEZNS1_14transform_implILb0ES3_S5_N6thrust23THRUST_200600_302600_NS6detail15normal_iteratorINS8_7pointerIaNS8_11hip_rocprim3tagENS8_11use_defaultESE_EEEENSA_INSB_IiSD_SE_SE_EEEEZNS1_13binary_searchIS3_S5_NSA_INS8_10device_ptrIaEEEESG_SI_NS1_16binary_search_opENS9_16wrapped_functionINS8_7greaterIaEEbEEEE10hipError_tPvRmT1_T2_T3_mmT4_T5_P12ihipStream_tbEUlRKaE_EESS_SW_SX_mSY_S11_bEUlT_E_NS1_11comp_targetILNS1_3genE2ELNS1_11target_archE906ELNS1_3gpuE6ELNS1_3repE0EEENS1_30default_config_static_selectorELNS0_4arch9wavefront6targetE0EEEvSV_ ; -- Begin function _ZN7rocprim17ROCPRIM_400000_NS6detail17trampoline_kernelINS0_14default_configENS1_29binary_search_config_selectorIaiEEZNS1_14transform_implILb0ES3_S5_N6thrust23THRUST_200600_302600_NS6detail15normal_iteratorINS8_7pointerIaNS8_11hip_rocprim3tagENS8_11use_defaultESE_EEEENSA_INSB_IiSD_SE_SE_EEEEZNS1_13binary_searchIS3_S5_NSA_INS8_10device_ptrIaEEEESG_SI_NS1_16binary_search_opENS9_16wrapped_functionINS8_7greaterIaEEbEEEE10hipError_tPvRmT1_T2_T3_mmT4_T5_P12ihipStream_tbEUlRKaE_EESS_SW_SX_mSY_S11_bEUlT_E_NS1_11comp_targetILNS1_3genE2ELNS1_11target_archE906ELNS1_3gpuE6ELNS1_3repE0EEENS1_30default_config_static_selectorELNS0_4arch9wavefront6targetE0EEEvSV_
	.globl	_ZN7rocprim17ROCPRIM_400000_NS6detail17trampoline_kernelINS0_14default_configENS1_29binary_search_config_selectorIaiEEZNS1_14transform_implILb0ES3_S5_N6thrust23THRUST_200600_302600_NS6detail15normal_iteratorINS8_7pointerIaNS8_11hip_rocprim3tagENS8_11use_defaultESE_EEEENSA_INSB_IiSD_SE_SE_EEEEZNS1_13binary_searchIS3_S5_NSA_INS8_10device_ptrIaEEEESG_SI_NS1_16binary_search_opENS9_16wrapped_functionINS8_7greaterIaEEbEEEE10hipError_tPvRmT1_T2_T3_mmT4_T5_P12ihipStream_tbEUlRKaE_EESS_SW_SX_mSY_S11_bEUlT_E_NS1_11comp_targetILNS1_3genE2ELNS1_11target_archE906ELNS1_3gpuE6ELNS1_3repE0EEENS1_30default_config_static_selectorELNS0_4arch9wavefront6targetE0EEEvSV_
	.p2align	8
	.type	_ZN7rocprim17ROCPRIM_400000_NS6detail17trampoline_kernelINS0_14default_configENS1_29binary_search_config_selectorIaiEEZNS1_14transform_implILb0ES3_S5_N6thrust23THRUST_200600_302600_NS6detail15normal_iteratorINS8_7pointerIaNS8_11hip_rocprim3tagENS8_11use_defaultESE_EEEENSA_INSB_IiSD_SE_SE_EEEEZNS1_13binary_searchIS3_S5_NSA_INS8_10device_ptrIaEEEESG_SI_NS1_16binary_search_opENS9_16wrapped_functionINS8_7greaterIaEEbEEEE10hipError_tPvRmT1_T2_T3_mmT4_T5_P12ihipStream_tbEUlRKaE_EESS_SW_SX_mSY_S11_bEUlT_E_NS1_11comp_targetILNS1_3genE2ELNS1_11target_archE906ELNS1_3gpuE6ELNS1_3repE0EEENS1_30default_config_static_selectorELNS0_4arch9wavefront6targetE0EEEvSV_,@function
_ZN7rocprim17ROCPRIM_400000_NS6detail17trampoline_kernelINS0_14default_configENS1_29binary_search_config_selectorIaiEEZNS1_14transform_implILb0ES3_S5_N6thrust23THRUST_200600_302600_NS6detail15normal_iteratorINS8_7pointerIaNS8_11hip_rocprim3tagENS8_11use_defaultESE_EEEENSA_INSB_IiSD_SE_SE_EEEEZNS1_13binary_searchIS3_S5_NSA_INS8_10device_ptrIaEEEESG_SI_NS1_16binary_search_opENS9_16wrapped_functionINS8_7greaterIaEEbEEEE10hipError_tPvRmT1_T2_T3_mmT4_T5_P12ihipStream_tbEUlRKaE_EESS_SW_SX_mSY_S11_bEUlT_E_NS1_11comp_targetILNS1_3genE2ELNS1_11target_archE906ELNS1_3gpuE6ELNS1_3repE0EEENS1_30default_config_static_selectorELNS0_4arch9wavefront6targetE0EEEvSV_: ; @_ZN7rocprim17ROCPRIM_400000_NS6detail17trampoline_kernelINS0_14default_configENS1_29binary_search_config_selectorIaiEEZNS1_14transform_implILb0ES3_S5_N6thrust23THRUST_200600_302600_NS6detail15normal_iteratorINS8_7pointerIaNS8_11hip_rocprim3tagENS8_11use_defaultESE_EEEENSA_INSB_IiSD_SE_SE_EEEEZNS1_13binary_searchIS3_S5_NSA_INS8_10device_ptrIaEEEESG_SI_NS1_16binary_search_opENS9_16wrapped_functionINS8_7greaterIaEEbEEEE10hipError_tPvRmT1_T2_T3_mmT4_T5_P12ihipStream_tbEUlRKaE_EESS_SW_SX_mSY_S11_bEUlT_E_NS1_11comp_targetILNS1_3genE2ELNS1_11target_archE906ELNS1_3gpuE6ELNS1_3repE0EEENS1_30default_config_static_selectorELNS0_4arch9wavefront6targetE0EEEvSV_
; %bb.0:
	.section	.rodata,"a",@progbits
	.p2align	6, 0x0
	.amdhsa_kernel _ZN7rocprim17ROCPRIM_400000_NS6detail17trampoline_kernelINS0_14default_configENS1_29binary_search_config_selectorIaiEEZNS1_14transform_implILb0ES3_S5_N6thrust23THRUST_200600_302600_NS6detail15normal_iteratorINS8_7pointerIaNS8_11hip_rocprim3tagENS8_11use_defaultESE_EEEENSA_INSB_IiSD_SE_SE_EEEEZNS1_13binary_searchIS3_S5_NSA_INS8_10device_ptrIaEEEESG_SI_NS1_16binary_search_opENS9_16wrapped_functionINS8_7greaterIaEEbEEEE10hipError_tPvRmT1_T2_T3_mmT4_T5_P12ihipStream_tbEUlRKaE_EESS_SW_SX_mSY_S11_bEUlT_E_NS1_11comp_targetILNS1_3genE2ELNS1_11target_archE906ELNS1_3gpuE6ELNS1_3repE0EEENS1_30default_config_static_selectorELNS0_4arch9wavefront6targetE0EEEvSV_
		.amdhsa_group_segment_fixed_size 0
		.amdhsa_private_segment_fixed_size 0
		.amdhsa_kernarg_size 56
		.amdhsa_user_sgpr_count 2
		.amdhsa_user_sgpr_dispatch_ptr 0
		.amdhsa_user_sgpr_queue_ptr 0
		.amdhsa_user_sgpr_kernarg_segment_ptr 1
		.amdhsa_user_sgpr_dispatch_id 0
		.amdhsa_user_sgpr_kernarg_preload_length 0
		.amdhsa_user_sgpr_kernarg_preload_offset 0
		.amdhsa_user_sgpr_private_segment_size 0
		.amdhsa_wavefront_size32 1
		.amdhsa_uses_dynamic_stack 0
		.amdhsa_enable_private_segment 0
		.amdhsa_system_sgpr_workgroup_id_x 1
		.amdhsa_system_sgpr_workgroup_id_y 0
		.amdhsa_system_sgpr_workgroup_id_z 0
		.amdhsa_system_sgpr_workgroup_info 0
		.amdhsa_system_vgpr_workitem_id 0
		.amdhsa_next_free_vgpr 1
		.amdhsa_next_free_sgpr 1
		.amdhsa_named_barrier_count 0
		.amdhsa_reserve_vcc 0
		.amdhsa_float_round_mode_32 0
		.amdhsa_float_round_mode_16_64 0
		.amdhsa_float_denorm_mode_32 3
		.amdhsa_float_denorm_mode_16_64 3
		.amdhsa_fp16_overflow 0
		.amdhsa_memory_ordered 1
		.amdhsa_forward_progress 1
		.amdhsa_inst_pref_size 0
		.amdhsa_round_robin_scheduling 0
		.amdhsa_exception_fp_ieee_invalid_op 0
		.amdhsa_exception_fp_denorm_src 0
		.amdhsa_exception_fp_ieee_div_zero 0
		.amdhsa_exception_fp_ieee_overflow 0
		.amdhsa_exception_fp_ieee_underflow 0
		.amdhsa_exception_fp_ieee_inexact 0
		.amdhsa_exception_int_div_zero 0
	.end_amdhsa_kernel
	.section	.text._ZN7rocprim17ROCPRIM_400000_NS6detail17trampoline_kernelINS0_14default_configENS1_29binary_search_config_selectorIaiEEZNS1_14transform_implILb0ES3_S5_N6thrust23THRUST_200600_302600_NS6detail15normal_iteratorINS8_7pointerIaNS8_11hip_rocprim3tagENS8_11use_defaultESE_EEEENSA_INSB_IiSD_SE_SE_EEEEZNS1_13binary_searchIS3_S5_NSA_INS8_10device_ptrIaEEEESG_SI_NS1_16binary_search_opENS9_16wrapped_functionINS8_7greaterIaEEbEEEE10hipError_tPvRmT1_T2_T3_mmT4_T5_P12ihipStream_tbEUlRKaE_EESS_SW_SX_mSY_S11_bEUlT_E_NS1_11comp_targetILNS1_3genE2ELNS1_11target_archE906ELNS1_3gpuE6ELNS1_3repE0EEENS1_30default_config_static_selectorELNS0_4arch9wavefront6targetE0EEEvSV_,"axG",@progbits,_ZN7rocprim17ROCPRIM_400000_NS6detail17trampoline_kernelINS0_14default_configENS1_29binary_search_config_selectorIaiEEZNS1_14transform_implILb0ES3_S5_N6thrust23THRUST_200600_302600_NS6detail15normal_iteratorINS8_7pointerIaNS8_11hip_rocprim3tagENS8_11use_defaultESE_EEEENSA_INSB_IiSD_SE_SE_EEEEZNS1_13binary_searchIS3_S5_NSA_INS8_10device_ptrIaEEEESG_SI_NS1_16binary_search_opENS9_16wrapped_functionINS8_7greaterIaEEbEEEE10hipError_tPvRmT1_T2_T3_mmT4_T5_P12ihipStream_tbEUlRKaE_EESS_SW_SX_mSY_S11_bEUlT_E_NS1_11comp_targetILNS1_3genE2ELNS1_11target_archE906ELNS1_3gpuE6ELNS1_3repE0EEENS1_30default_config_static_selectorELNS0_4arch9wavefront6targetE0EEEvSV_,comdat
.Lfunc_end144:
	.size	_ZN7rocprim17ROCPRIM_400000_NS6detail17trampoline_kernelINS0_14default_configENS1_29binary_search_config_selectorIaiEEZNS1_14transform_implILb0ES3_S5_N6thrust23THRUST_200600_302600_NS6detail15normal_iteratorINS8_7pointerIaNS8_11hip_rocprim3tagENS8_11use_defaultESE_EEEENSA_INSB_IiSD_SE_SE_EEEEZNS1_13binary_searchIS3_S5_NSA_INS8_10device_ptrIaEEEESG_SI_NS1_16binary_search_opENS9_16wrapped_functionINS8_7greaterIaEEbEEEE10hipError_tPvRmT1_T2_T3_mmT4_T5_P12ihipStream_tbEUlRKaE_EESS_SW_SX_mSY_S11_bEUlT_E_NS1_11comp_targetILNS1_3genE2ELNS1_11target_archE906ELNS1_3gpuE6ELNS1_3repE0EEENS1_30default_config_static_selectorELNS0_4arch9wavefront6targetE0EEEvSV_, .Lfunc_end144-_ZN7rocprim17ROCPRIM_400000_NS6detail17trampoline_kernelINS0_14default_configENS1_29binary_search_config_selectorIaiEEZNS1_14transform_implILb0ES3_S5_N6thrust23THRUST_200600_302600_NS6detail15normal_iteratorINS8_7pointerIaNS8_11hip_rocprim3tagENS8_11use_defaultESE_EEEENSA_INSB_IiSD_SE_SE_EEEEZNS1_13binary_searchIS3_S5_NSA_INS8_10device_ptrIaEEEESG_SI_NS1_16binary_search_opENS9_16wrapped_functionINS8_7greaterIaEEbEEEE10hipError_tPvRmT1_T2_T3_mmT4_T5_P12ihipStream_tbEUlRKaE_EESS_SW_SX_mSY_S11_bEUlT_E_NS1_11comp_targetILNS1_3genE2ELNS1_11target_archE906ELNS1_3gpuE6ELNS1_3repE0EEENS1_30default_config_static_selectorELNS0_4arch9wavefront6targetE0EEEvSV_
                                        ; -- End function
	.set _ZN7rocprim17ROCPRIM_400000_NS6detail17trampoline_kernelINS0_14default_configENS1_29binary_search_config_selectorIaiEEZNS1_14transform_implILb0ES3_S5_N6thrust23THRUST_200600_302600_NS6detail15normal_iteratorINS8_7pointerIaNS8_11hip_rocprim3tagENS8_11use_defaultESE_EEEENSA_INSB_IiSD_SE_SE_EEEEZNS1_13binary_searchIS3_S5_NSA_INS8_10device_ptrIaEEEESG_SI_NS1_16binary_search_opENS9_16wrapped_functionINS8_7greaterIaEEbEEEE10hipError_tPvRmT1_T2_T3_mmT4_T5_P12ihipStream_tbEUlRKaE_EESS_SW_SX_mSY_S11_bEUlT_E_NS1_11comp_targetILNS1_3genE2ELNS1_11target_archE906ELNS1_3gpuE6ELNS1_3repE0EEENS1_30default_config_static_selectorELNS0_4arch9wavefront6targetE0EEEvSV_.num_vgpr, 0
	.set _ZN7rocprim17ROCPRIM_400000_NS6detail17trampoline_kernelINS0_14default_configENS1_29binary_search_config_selectorIaiEEZNS1_14transform_implILb0ES3_S5_N6thrust23THRUST_200600_302600_NS6detail15normal_iteratorINS8_7pointerIaNS8_11hip_rocprim3tagENS8_11use_defaultESE_EEEENSA_INSB_IiSD_SE_SE_EEEEZNS1_13binary_searchIS3_S5_NSA_INS8_10device_ptrIaEEEESG_SI_NS1_16binary_search_opENS9_16wrapped_functionINS8_7greaterIaEEbEEEE10hipError_tPvRmT1_T2_T3_mmT4_T5_P12ihipStream_tbEUlRKaE_EESS_SW_SX_mSY_S11_bEUlT_E_NS1_11comp_targetILNS1_3genE2ELNS1_11target_archE906ELNS1_3gpuE6ELNS1_3repE0EEENS1_30default_config_static_selectorELNS0_4arch9wavefront6targetE0EEEvSV_.num_agpr, 0
	.set _ZN7rocprim17ROCPRIM_400000_NS6detail17trampoline_kernelINS0_14default_configENS1_29binary_search_config_selectorIaiEEZNS1_14transform_implILb0ES3_S5_N6thrust23THRUST_200600_302600_NS6detail15normal_iteratorINS8_7pointerIaNS8_11hip_rocprim3tagENS8_11use_defaultESE_EEEENSA_INSB_IiSD_SE_SE_EEEEZNS1_13binary_searchIS3_S5_NSA_INS8_10device_ptrIaEEEESG_SI_NS1_16binary_search_opENS9_16wrapped_functionINS8_7greaterIaEEbEEEE10hipError_tPvRmT1_T2_T3_mmT4_T5_P12ihipStream_tbEUlRKaE_EESS_SW_SX_mSY_S11_bEUlT_E_NS1_11comp_targetILNS1_3genE2ELNS1_11target_archE906ELNS1_3gpuE6ELNS1_3repE0EEENS1_30default_config_static_selectorELNS0_4arch9wavefront6targetE0EEEvSV_.numbered_sgpr, 0
	.set _ZN7rocprim17ROCPRIM_400000_NS6detail17trampoline_kernelINS0_14default_configENS1_29binary_search_config_selectorIaiEEZNS1_14transform_implILb0ES3_S5_N6thrust23THRUST_200600_302600_NS6detail15normal_iteratorINS8_7pointerIaNS8_11hip_rocprim3tagENS8_11use_defaultESE_EEEENSA_INSB_IiSD_SE_SE_EEEEZNS1_13binary_searchIS3_S5_NSA_INS8_10device_ptrIaEEEESG_SI_NS1_16binary_search_opENS9_16wrapped_functionINS8_7greaterIaEEbEEEE10hipError_tPvRmT1_T2_T3_mmT4_T5_P12ihipStream_tbEUlRKaE_EESS_SW_SX_mSY_S11_bEUlT_E_NS1_11comp_targetILNS1_3genE2ELNS1_11target_archE906ELNS1_3gpuE6ELNS1_3repE0EEENS1_30default_config_static_selectorELNS0_4arch9wavefront6targetE0EEEvSV_.num_named_barrier, 0
	.set _ZN7rocprim17ROCPRIM_400000_NS6detail17trampoline_kernelINS0_14default_configENS1_29binary_search_config_selectorIaiEEZNS1_14transform_implILb0ES3_S5_N6thrust23THRUST_200600_302600_NS6detail15normal_iteratorINS8_7pointerIaNS8_11hip_rocprim3tagENS8_11use_defaultESE_EEEENSA_INSB_IiSD_SE_SE_EEEEZNS1_13binary_searchIS3_S5_NSA_INS8_10device_ptrIaEEEESG_SI_NS1_16binary_search_opENS9_16wrapped_functionINS8_7greaterIaEEbEEEE10hipError_tPvRmT1_T2_T3_mmT4_T5_P12ihipStream_tbEUlRKaE_EESS_SW_SX_mSY_S11_bEUlT_E_NS1_11comp_targetILNS1_3genE2ELNS1_11target_archE906ELNS1_3gpuE6ELNS1_3repE0EEENS1_30default_config_static_selectorELNS0_4arch9wavefront6targetE0EEEvSV_.private_seg_size, 0
	.set _ZN7rocprim17ROCPRIM_400000_NS6detail17trampoline_kernelINS0_14default_configENS1_29binary_search_config_selectorIaiEEZNS1_14transform_implILb0ES3_S5_N6thrust23THRUST_200600_302600_NS6detail15normal_iteratorINS8_7pointerIaNS8_11hip_rocprim3tagENS8_11use_defaultESE_EEEENSA_INSB_IiSD_SE_SE_EEEEZNS1_13binary_searchIS3_S5_NSA_INS8_10device_ptrIaEEEESG_SI_NS1_16binary_search_opENS9_16wrapped_functionINS8_7greaterIaEEbEEEE10hipError_tPvRmT1_T2_T3_mmT4_T5_P12ihipStream_tbEUlRKaE_EESS_SW_SX_mSY_S11_bEUlT_E_NS1_11comp_targetILNS1_3genE2ELNS1_11target_archE906ELNS1_3gpuE6ELNS1_3repE0EEENS1_30default_config_static_selectorELNS0_4arch9wavefront6targetE0EEEvSV_.uses_vcc, 0
	.set _ZN7rocprim17ROCPRIM_400000_NS6detail17trampoline_kernelINS0_14default_configENS1_29binary_search_config_selectorIaiEEZNS1_14transform_implILb0ES3_S5_N6thrust23THRUST_200600_302600_NS6detail15normal_iteratorINS8_7pointerIaNS8_11hip_rocprim3tagENS8_11use_defaultESE_EEEENSA_INSB_IiSD_SE_SE_EEEEZNS1_13binary_searchIS3_S5_NSA_INS8_10device_ptrIaEEEESG_SI_NS1_16binary_search_opENS9_16wrapped_functionINS8_7greaterIaEEbEEEE10hipError_tPvRmT1_T2_T3_mmT4_T5_P12ihipStream_tbEUlRKaE_EESS_SW_SX_mSY_S11_bEUlT_E_NS1_11comp_targetILNS1_3genE2ELNS1_11target_archE906ELNS1_3gpuE6ELNS1_3repE0EEENS1_30default_config_static_selectorELNS0_4arch9wavefront6targetE0EEEvSV_.uses_flat_scratch, 0
	.set _ZN7rocprim17ROCPRIM_400000_NS6detail17trampoline_kernelINS0_14default_configENS1_29binary_search_config_selectorIaiEEZNS1_14transform_implILb0ES3_S5_N6thrust23THRUST_200600_302600_NS6detail15normal_iteratorINS8_7pointerIaNS8_11hip_rocprim3tagENS8_11use_defaultESE_EEEENSA_INSB_IiSD_SE_SE_EEEEZNS1_13binary_searchIS3_S5_NSA_INS8_10device_ptrIaEEEESG_SI_NS1_16binary_search_opENS9_16wrapped_functionINS8_7greaterIaEEbEEEE10hipError_tPvRmT1_T2_T3_mmT4_T5_P12ihipStream_tbEUlRKaE_EESS_SW_SX_mSY_S11_bEUlT_E_NS1_11comp_targetILNS1_3genE2ELNS1_11target_archE906ELNS1_3gpuE6ELNS1_3repE0EEENS1_30default_config_static_selectorELNS0_4arch9wavefront6targetE0EEEvSV_.has_dyn_sized_stack, 0
	.set _ZN7rocprim17ROCPRIM_400000_NS6detail17trampoline_kernelINS0_14default_configENS1_29binary_search_config_selectorIaiEEZNS1_14transform_implILb0ES3_S5_N6thrust23THRUST_200600_302600_NS6detail15normal_iteratorINS8_7pointerIaNS8_11hip_rocprim3tagENS8_11use_defaultESE_EEEENSA_INSB_IiSD_SE_SE_EEEEZNS1_13binary_searchIS3_S5_NSA_INS8_10device_ptrIaEEEESG_SI_NS1_16binary_search_opENS9_16wrapped_functionINS8_7greaterIaEEbEEEE10hipError_tPvRmT1_T2_T3_mmT4_T5_P12ihipStream_tbEUlRKaE_EESS_SW_SX_mSY_S11_bEUlT_E_NS1_11comp_targetILNS1_3genE2ELNS1_11target_archE906ELNS1_3gpuE6ELNS1_3repE0EEENS1_30default_config_static_selectorELNS0_4arch9wavefront6targetE0EEEvSV_.has_recursion, 0
	.set _ZN7rocprim17ROCPRIM_400000_NS6detail17trampoline_kernelINS0_14default_configENS1_29binary_search_config_selectorIaiEEZNS1_14transform_implILb0ES3_S5_N6thrust23THRUST_200600_302600_NS6detail15normal_iteratorINS8_7pointerIaNS8_11hip_rocprim3tagENS8_11use_defaultESE_EEEENSA_INSB_IiSD_SE_SE_EEEEZNS1_13binary_searchIS3_S5_NSA_INS8_10device_ptrIaEEEESG_SI_NS1_16binary_search_opENS9_16wrapped_functionINS8_7greaterIaEEbEEEE10hipError_tPvRmT1_T2_T3_mmT4_T5_P12ihipStream_tbEUlRKaE_EESS_SW_SX_mSY_S11_bEUlT_E_NS1_11comp_targetILNS1_3genE2ELNS1_11target_archE906ELNS1_3gpuE6ELNS1_3repE0EEENS1_30default_config_static_selectorELNS0_4arch9wavefront6targetE0EEEvSV_.has_indirect_call, 0
	.section	.AMDGPU.csdata,"",@progbits
; Kernel info:
; codeLenInByte = 0
; TotalNumSgprs: 0
; NumVgprs: 0
; ScratchSize: 0
; MemoryBound: 0
; FloatMode: 240
; IeeeMode: 1
; LDSByteSize: 0 bytes/workgroup (compile time only)
; SGPRBlocks: 0
; VGPRBlocks: 0
; NumSGPRsForWavesPerEU: 1
; NumVGPRsForWavesPerEU: 1
; NamedBarCnt: 0
; Occupancy: 16
; WaveLimiterHint : 0
; COMPUTE_PGM_RSRC2:SCRATCH_EN: 0
; COMPUTE_PGM_RSRC2:USER_SGPR: 2
; COMPUTE_PGM_RSRC2:TRAP_HANDLER: 0
; COMPUTE_PGM_RSRC2:TGID_X_EN: 1
; COMPUTE_PGM_RSRC2:TGID_Y_EN: 0
; COMPUTE_PGM_RSRC2:TGID_Z_EN: 0
; COMPUTE_PGM_RSRC2:TIDIG_COMP_CNT: 0
	.section	.text._ZN7rocprim17ROCPRIM_400000_NS6detail17trampoline_kernelINS0_14default_configENS1_29binary_search_config_selectorIaiEEZNS1_14transform_implILb0ES3_S5_N6thrust23THRUST_200600_302600_NS6detail15normal_iteratorINS8_7pointerIaNS8_11hip_rocprim3tagENS8_11use_defaultESE_EEEENSA_INSB_IiSD_SE_SE_EEEEZNS1_13binary_searchIS3_S5_NSA_INS8_10device_ptrIaEEEESG_SI_NS1_16binary_search_opENS9_16wrapped_functionINS8_7greaterIaEEbEEEE10hipError_tPvRmT1_T2_T3_mmT4_T5_P12ihipStream_tbEUlRKaE_EESS_SW_SX_mSY_S11_bEUlT_E_NS1_11comp_targetILNS1_3genE10ELNS1_11target_archE1201ELNS1_3gpuE5ELNS1_3repE0EEENS1_30default_config_static_selectorELNS0_4arch9wavefront6targetE0EEEvSV_,"axG",@progbits,_ZN7rocprim17ROCPRIM_400000_NS6detail17trampoline_kernelINS0_14default_configENS1_29binary_search_config_selectorIaiEEZNS1_14transform_implILb0ES3_S5_N6thrust23THRUST_200600_302600_NS6detail15normal_iteratorINS8_7pointerIaNS8_11hip_rocprim3tagENS8_11use_defaultESE_EEEENSA_INSB_IiSD_SE_SE_EEEEZNS1_13binary_searchIS3_S5_NSA_INS8_10device_ptrIaEEEESG_SI_NS1_16binary_search_opENS9_16wrapped_functionINS8_7greaterIaEEbEEEE10hipError_tPvRmT1_T2_T3_mmT4_T5_P12ihipStream_tbEUlRKaE_EESS_SW_SX_mSY_S11_bEUlT_E_NS1_11comp_targetILNS1_3genE10ELNS1_11target_archE1201ELNS1_3gpuE5ELNS1_3repE0EEENS1_30default_config_static_selectorELNS0_4arch9wavefront6targetE0EEEvSV_,comdat
	.protected	_ZN7rocprim17ROCPRIM_400000_NS6detail17trampoline_kernelINS0_14default_configENS1_29binary_search_config_selectorIaiEEZNS1_14transform_implILb0ES3_S5_N6thrust23THRUST_200600_302600_NS6detail15normal_iteratorINS8_7pointerIaNS8_11hip_rocprim3tagENS8_11use_defaultESE_EEEENSA_INSB_IiSD_SE_SE_EEEEZNS1_13binary_searchIS3_S5_NSA_INS8_10device_ptrIaEEEESG_SI_NS1_16binary_search_opENS9_16wrapped_functionINS8_7greaterIaEEbEEEE10hipError_tPvRmT1_T2_T3_mmT4_T5_P12ihipStream_tbEUlRKaE_EESS_SW_SX_mSY_S11_bEUlT_E_NS1_11comp_targetILNS1_3genE10ELNS1_11target_archE1201ELNS1_3gpuE5ELNS1_3repE0EEENS1_30default_config_static_selectorELNS0_4arch9wavefront6targetE0EEEvSV_ ; -- Begin function _ZN7rocprim17ROCPRIM_400000_NS6detail17trampoline_kernelINS0_14default_configENS1_29binary_search_config_selectorIaiEEZNS1_14transform_implILb0ES3_S5_N6thrust23THRUST_200600_302600_NS6detail15normal_iteratorINS8_7pointerIaNS8_11hip_rocprim3tagENS8_11use_defaultESE_EEEENSA_INSB_IiSD_SE_SE_EEEEZNS1_13binary_searchIS3_S5_NSA_INS8_10device_ptrIaEEEESG_SI_NS1_16binary_search_opENS9_16wrapped_functionINS8_7greaterIaEEbEEEE10hipError_tPvRmT1_T2_T3_mmT4_T5_P12ihipStream_tbEUlRKaE_EESS_SW_SX_mSY_S11_bEUlT_E_NS1_11comp_targetILNS1_3genE10ELNS1_11target_archE1201ELNS1_3gpuE5ELNS1_3repE0EEENS1_30default_config_static_selectorELNS0_4arch9wavefront6targetE0EEEvSV_
	.globl	_ZN7rocprim17ROCPRIM_400000_NS6detail17trampoline_kernelINS0_14default_configENS1_29binary_search_config_selectorIaiEEZNS1_14transform_implILb0ES3_S5_N6thrust23THRUST_200600_302600_NS6detail15normal_iteratorINS8_7pointerIaNS8_11hip_rocprim3tagENS8_11use_defaultESE_EEEENSA_INSB_IiSD_SE_SE_EEEEZNS1_13binary_searchIS3_S5_NSA_INS8_10device_ptrIaEEEESG_SI_NS1_16binary_search_opENS9_16wrapped_functionINS8_7greaterIaEEbEEEE10hipError_tPvRmT1_T2_T3_mmT4_T5_P12ihipStream_tbEUlRKaE_EESS_SW_SX_mSY_S11_bEUlT_E_NS1_11comp_targetILNS1_3genE10ELNS1_11target_archE1201ELNS1_3gpuE5ELNS1_3repE0EEENS1_30default_config_static_selectorELNS0_4arch9wavefront6targetE0EEEvSV_
	.p2align	8
	.type	_ZN7rocprim17ROCPRIM_400000_NS6detail17trampoline_kernelINS0_14default_configENS1_29binary_search_config_selectorIaiEEZNS1_14transform_implILb0ES3_S5_N6thrust23THRUST_200600_302600_NS6detail15normal_iteratorINS8_7pointerIaNS8_11hip_rocprim3tagENS8_11use_defaultESE_EEEENSA_INSB_IiSD_SE_SE_EEEEZNS1_13binary_searchIS3_S5_NSA_INS8_10device_ptrIaEEEESG_SI_NS1_16binary_search_opENS9_16wrapped_functionINS8_7greaterIaEEbEEEE10hipError_tPvRmT1_T2_T3_mmT4_T5_P12ihipStream_tbEUlRKaE_EESS_SW_SX_mSY_S11_bEUlT_E_NS1_11comp_targetILNS1_3genE10ELNS1_11target_archE1201ELNS1_3gpuE5ELNS1_3repE0EEENS1_30default_config_static_selectorELNS0_4arch9wavefront6targetE0EEEvSV_,@function
_ZN7rocprim17ROCPRIM_400000_NS6detail17trampoline_kernelINS0_14default_configENS1_29binary_search_config_selectorIaiEEZNS1_14transform_implILb0ES3_S5_N6thrust23THRUST_200600_302600_NS6detail15normal_iteratorINS8_7pointerIaNS8_11hip_rocprim3tagENS8_11use_defaultESE_EEEENSA_INSB_IiSD_SE_SE_EEEEZNS1_13binary_searchIS3_S5_NSA_INS8_10device_ptrIaEEEESG_SI_NS1_16binary_search_opENS9_16wrapped_functionINS8_7greaterIaEEbEEEE10hipError_tPvRmT1_T2_T3_mmT4_T5_P12ihipStream_tbEUlRKaE_EESS_SW_SX_mSY_S11_bEUlT_E_NS1_11comp_targetILNS1_3genE10ELNS1_11target_archE1201ELNS1_3gpuE5ELNS1_3repE0EEENS1_30default_config_static_selectorELNS0_4arch9wavefront6targetE0EEEvSV_: ; @_ZN7rocprim17ROCPRIM_400000_NS6detail17trampoline_kernelINS0_14default_configENS1_29binary_search_config_selectorIaiEEZNS1_14transform_implILb0ES3_S5_N6thrust23THRUST_200600_302600_NS6detail15normal_iteratorINS8_7pointerIaNS8_11hip_rocprim3tagENS8_11use_defaultESE_EEEENSA_INSB_IiSD_SE_SE_EEEEZNS1_13binary_searchIS3_S5_NSA_INS8_10device_ptrIaEEEESG_SI_NS1_16binary_search_opENS9_16wrapped_functionINS8_7greaterIaEEbEEEE10hipError_tPvRmT1_T2_T3_mmT4_T5_P12ihipStream_tbEUlRKaE_EESS_SW_SX_mSY_S11_bEUlT_E_NS1_11comp_targetILNS1_3genE10ELNS1_11target_archE1201ELNS1_3gpuE5ELNS1_3repE0EEENS1_30default_config_static_selectorELNS0_4arch9wavefront6targetE0EEEvSV_
; %bb.0:
	.section	.rodata,"a",@progbits
	.p2align	6, 0x0
	.amdhsa_kernel _ZN7rocprim17ROCPRIM_400000_NS6detail17trampoline_kernelINS0_14default_configENS1_29binary_search_config_selectorIaiEEZNS1_14transform_implILb0ES3_S5_N6thrust23THRUST_200600_302600_NS6detail15normal_iteratorINS8_7pointerIaNS8_11hip_rocprim3tagENS8_11use_defaultESE_EEEENSA_INSB_IiSD_SE_SE_EEEEZNS1_13binary_searchIS3_S5_NSA_INS8_10device_ptrIaEEEESG_SI_NS1_16binary_search_opENS9_16wrapped_functionINS8_7greaterIaEEbEEEE10hipError_tPvRmT1_T2_T3_mmT4_T5_P12ihipStream_tbEUlRKaE_EESS_SW_SX_mSY_S11_bEUlT_E_NS1_11comp_targetILNS1_3genE10ELNS1_11target_archE1201ELNS1_3gpuE5ELNS1_3repE0EEENS1_30default_config_static_selectorELNS0_4arch9wavefront6targetE0EEEvSV_
		.amdhsa_group_segment_fixed_size 0
		.amdhsa_private_segment_fixed_size 0
		.amdhsa_kernarg_size 56
		.amdhsa_user_sgpr_count 2
		.amdhsa_user_sgpr_dispatch_ptr 0
		.amdhsa_user_sgpr_queue_ptr 0
		.amdhsa_user_sgpr_kernarg_segment_ptr 1
		.amdhsa_user_sgpr_dispatch_id 0
		.amdhsa_user_sgpr_kernarg_preload_length 0
		.amdhsa_user_sgpr_kernarg_preload_offset 0
		.amdhsa_user_sgpr_private_segment_size 0
		.amdhsa_wavefront_size32 1
		.amdhsa_uses_dynamic_stack 0
		.amdhsa_enable_private_segment 0
		.amdhsa_system_sgpr_workgroup_id_x 1
		.amdhsa_system_sgpr_workgroup_id_y 0
		.amdhsa_system_sgpr_workgroup_id_z 0
		.amdhsa_system_sgpr_workgroup_info 0
		.amdhsa_system_vgpr_workitem_id 0
		.amdhsa_next_free_vgpr 1
		.amdhsa_next_free_sgpr 1
		.amdhsa_named_barrier_count 0
		.amdhsa_reserve_vcc 0
		.amdhsa_float_round_mode_32 0
		.amdhsa_float_round_mode_16_64 0
		.amdhsa_float_denorm_mode_32 3
		.amdhsa_float_denorm_mode_16_64 3
		.amdhsa_fp16_overflow 0
		.amdhsa_memory_ordered 1
		.amdhsa_forward_progress 1
		.amdhsa_inst_pref_size 0
		.amdhsa_round_robin_scheduling 0
		.amdhsa_exception_fp_ieee_invalid_op 0
		.amdhsa_exception_fp_denorm_src 0
		.amdhsa_exception_fp_ieee_div_zero 0
		.amdhsa_exception_fp_ieee_overflow 0
		.amdhsa_exception_fp_ieee_underflow 0
		.amdhsa_exception_fp_ieee_inexact 0
		.amdhsa_exception_int_div_zero 0
	.end_amdhsa_kernel
	.section	.text._ZN7rocprim17ROCPRIM_400000_NS6detail17trampoline_kernelINS0_14default_configENS1_29binary_search_config_selectorIaiEEZNS1_14transform_implILb0ES3_S5_N6thrust23THRUST_200600_302600_NS6detail15normal_iteratorINS8_7pointerIaNS8_11hip_rocprim3tagENS8_11use_defaultESE_EEEENSA_INSB_IiSD_SE_SE_EEEEZNS1_13binary_searchIS3_S5_NSA_INS8_10device_ptrIaEEEESG_SI_NS1_16binary_search_opENS9_16wrapped_functionINS8_7greaterIaEEbEEEE10hipError_tPvRmT1_T2_T3_mmT4_T5_P12ihipStream_tbEUlRKaE_EESS_SW_SX_mSY_S11_bEUlT_E_NS1_11comp_targetILNS1_3genE10ELNS1_11target_archE1201ELNS1_3gpuE5ELNS1_3repE0EEENS1_30default_config_static_selectorELNS0_4arch9wavefront6targetE0EEEvSV_,"axG",@progbits,_ZN7rocprim17ROCPRIM_400000_NS6detail17trampoline_kernelINS0_14default_configENS1_29binary_search_config_selectorIaiEEZNS1_14transform_implILb0ES3_S5_N6thrust23THRUST_200600_302600_NS6detail15normal_iteratorINS8_7pointerIaNS8_11hip_rocprim3tagENS8_11use_defaultESE_EEEENSA_INSB_IiSD_SE_SE_EEEEZNS1_13binary_searchIS3_S5_NSA_INS8_10device_ptrIaEEEESG_SI_NS1_16binary_search_opENS9_16wrapped_functionINS8_7greaterIaEEbEEEE10hipError_tPvRmT1_T2_T3_mmT4_T5_P12ihipStream_tbEUlRKaE_EESS_SW_SX_mSY_S11_bEUlT_E_NS1_11comp_targetILNS1_3genE10ELNS1_11target_archE1201ELNS1_3gpuE5ELNS1_3repE0EEENS1_30default_config_static_selectorELNS0_4arch9wavefront6targetE0EEEvSV_,comdat
.Lfunc_end145:
	.size	_ZN7rocprim17ROCPRIM_400000_NS6detail17trampoline_kernelINS0_14default_configENS1_29binary_search_config_selectorIaiEEZNS1_14transform_implILb0ES3_S5_N6thrust23THRUST_200600_302600_NS6detail15normal_iteratorINS8_7pointerIaNS8_11hip_rocprim3tagENS8_11use_defaultESE_EEEENSA_INSB_IiSD_SE_SE_EEEEZNS1_13binary_searchIS3_S5_NSA_INS8_10device_ptrIaEEEESG_SI_NS1_16binary_search_opENS9_16wrapped_functionINS8_7greaterIaEEbEEEE10hipError_tPvRmT1_T2_T3_mmT4_T5_P12ihipStream_tbEUlRKaE_EESS_SW_SX_mSY_S11_bEUlT_E_NS1_11comp_targetILNS1_3genE10ELNS1_11target_archE1201ELNS1_3gpuE5ELNS1_3repE0EEENS1_30default_config_static_selectorELNS0_4arch9wavefront6targetE0EEEvSV_, .Lfunc_end145-_ZN7rocprim17ROCPRIM_400000_NS6detail17trampoline_kernelINS0_14default_configENS1_29binary_search_config_selectorIaiEEZNS1_14transform_implILb0ES3_S5_N6thrust23THRUST_200600_302600_NS6detail15normal_iteratorINS8_7pointerIaNS8_11hip_rocprim3tagENS8_11use_defaultESE_EEEENSA_INSB_IiSD_SE_SE_EEEEZNS1_13binary_searchIS3_S5_NSA_INS8_10device_ptrIaEEEESG_SI_NS1_16binary_search_opENS9_16wrapped_functionINS8_7greaterIaEEbEEEE10hipError_tPvRmT1_T2_T3_mmT4_T5_P12ihipStream_tbEUlRKaE_EESS_SW_SX_mSY_S11_bEUlT_E_NS1_11comp_targetILNS1_3genE10ELNS1_11target_archE1201ELNS1_3gpuE5ELNS1_3repE0EEENS1_30default_config_static_selectorELNS0_4arch9wavefront6targetE0EEEvSV_
                                        ; -- End function
	.set _ZN7rocprim17ROCPRIM_400000_NS6detail17trampoline_kernelINS0_14default_configENS1_29binary_search_config_selectorIaiEEZNS1_14transform_implILb0ES3_S5_N6thrust23THRUST_200600_302600_NS6detail15normal_iteratorINS8_7pointerIaNS8_11hip_rocprim3tagENS8_11use_defaultESE_EEEENSA_INSB_IiSD_SE_SE_EEEEZNS1_13binary_searchIS3_S5_NSA_INS8_10device_ptrIaEEEESG_SI_NS1_16binary_search_opENS9_16wrapped_functionINS8_7greaterIaEEbEEEE10hipError_tPvRmT1_T2_T3_mmT4_T5_P12ihipStream_tbEUlRKaE_EESS_SW_SX_mSY_S11_bEUlT_E_NS1_11comp_targetILNS1_3genE10ELNS1_11target_archE1201ELNS1_3gpuE5ELNS1_3repE0EEENS1_30default_config_static_selectorELNS0_4arch9wavefront6targetE0EEEvSV_.num_vgpr, 0
	.set _ZN7rocprim17ROCPRIM_400000_NS6detail17trampoline_kernelINS0_14default_configENS1_29binary_search_config_selectorIaiEEZNS1_14transform_implILb0ES3_S5_N6thrust23THRUST_200600_302600_NS6detail15normal_iteratorINS8_7pointerIaNS8_11hip_rocprim3tagENS8_11use_defaultESE_EEEENSA_INSB_IiSD_SE_SE_EEEEZNS1_13binary_searchIS3_S5_NSA_INS8_10device_ptrIaEEEESG_SI_NS1_16binary_search_opENS9_16wrapped_functionINS8_7greaterIaEEbEEEE10hipError_tPvRmT1_T2_T3_mmT4_T5_P12ihipStream_tbEUlRKaE_EESS_SW_SX_mSY_S11_bEUlT_E_NS1_11comp_targetILNS1_3genE10ELNS1_11target_archE1201ELNS1_3gpuE5ELNS1_3repE0EEENS1_30default_config_static_selectorELNS0_4arch9wavefront6targetE0EEEvSV_.num_agpr, 0
	.set _ZN7rocprim17ROCPRIM_400000_NS6detail17trampoline_kernelINS0_14default_configENS1_29binary_search_config_selectorIaiEEZNS1_14transform_implILb0ES3_S5_N6thrust23THRUST_200600_302600_NS6detail15normal_iteratorINS8_7pointerIaNS8_11hip_rocprim3tagENS8_11use_defaultESE_EEEENSA_INSB_IiSD_SE_SE_EEEEZNS1_13binary_searchIS3_S5_NSA_INS8_10device_ptrIaEEEESG_SI_NS1_16binary_search_opENS9_16wrapped_functionINS8_7greaterIaEEbEEEE10hipError_tPvRmT1_T2_T3_mmT4_T5_P12ihipStream_tbEUlRKaE_EESS_SW_SX_mSY_S11_bEUlT_E_NS1_11comp_targetILNS1_3genE10ELNS1_11target_archE1201ELNS1_3gpuE5ELNS1_3repE0EEENS1_30default_config_static_selectorELNS0_4arch9wavefront6targetE0EEEvSV_.numbered_sgpr, 0
	.set _ZN7rocprim17ROCPRIM_400000_NS6detail17trampoline_kernelINS0_14default_configENS1_29binary_search_config_selectorIaiEEZNS1_14transform_implILb0ES3_S5_N6thrust23THRUST_200600_302600_NS6detail15normal_iteratorINS8_7pointerIaNS8_11hip_rocprim3tagENS8_11use_defaultESE_EEEENSA_INSB_IiSD_SE_SE_EEEEZNS1_13binary_searchIS3_S5_NSA_INS8_10device_ptrIaEEEESG_SI_NS1_16binary_search_opENS9_16wrapped_functionINS8_7greaterIaEEbEEEE10hipError_tPvRmT1_T2_T3_mmT4_T5_P12ihipStream_tbEUlRKaE_EESS_SW_SX_mSY_S11_bEUlT_E_NS1_11comp_targetILNS1_3genE10ELNS1_11target_archE1201ELNS1_3gpuE5ELNS1_3repE0EEENS1_30default_config_static_selectorELNS0_4arch9wavefront6targetE0EEEvSV_.num_named_barrier, 0
	.set _ZN7rocprim17ROCPRIM_400000_NS6detail17trampoline_kernelINS0_14default_configENS1_29binary_search_config_selectorIaiEEZNS1_14transform_implILb0ES3_S5_N6thrust23THRUST_200600_302600_NS6detail15normal_iteratorINS8_7pointerIaNS8_11hip_rocprim3tagENS8_11use_defaultESE_EEEENSA_INSB_IiSD_SE_SE_EEEEZNS1_13binary_searchIS3_S5_NSA_INS8_10device_ptrIaEEEESG_SI_NS1_16binary_search_opENS9_16wrapped_functionINS8_7greaterIaEEbEEEE10hipError_tPvRmT1_T2_T3_mmT4_T5_P12ihipStream_tbEUlRKaE_EESS_SW_SX_mSY_S11_bEUlT_E_NS1_11comp_targetILNS1_3genE10ELNS1_11target_archE1201ELNS1_3gpuE5ELNS1_3repE0EEENS1_30default_config_static_selectorELNS0_4arch9wavefront6targetE0EEEvSV_.private_seg_size, 0
	.set _ZN7rocprim17ROCPRIM_400000_NS6detail17trampoline_kernelINS0_14default_configENS1_29binary_search_config_selectorIaiEEZNS1_14transform_implILb0ES3_S5_N6thrust23THRUST_200600_302600_NS6detail15normal_iteratorINS8_7pointerIaNS8_11hip_rocprim3tagENS8_11use_defaultESE_EEEENSA_INSB_IiSD_SE_SE_EEEEZNS1_13binary_searchIS3_S5_NSA_INS8_10device_ptrIaEEEESG_SI_NS1_16binary_search_opENS9_16wrapped_functionINS8_7greaterIaEEbEEEE10hipError_tPvRmT1_T2_T3_mmT4_T5_P12ihipStream_tbEUlRKaE_EESS_SW_SX_mSY_S11_bEUlT_E_NS1_11comp_targetILNS1_3genE10ELNS1_11target_archE1201ELNS1_3gpuE5ELNS1_3repE0EEENS1_30default_config_static_selectorELNS0_4arch9wavefront6targetE0EEEvSV_.uses_vcc, 0
	.set _ZN7rocprim17ROCPRIM_400000_NS6detail17trampoline_kernelINS0_14default_configENS1_29binary_search_config_selectorIaiEEZNS1_14transform_implILb0ES3_S5_N6thrust23THRUST_200600_302600_NS6detail15normal_iteratorINS8_7pointerIaNS8_11hip_rocprim3tagENS8_11use_defaultESE_EEEENSA_INSB_IiSD_SE_SE_EEEEZNS1_13binary_searchIS3_S5_NSA_INS8_10device_ptrIaEEEESG_SI_NS1_16binary_search_opENS9_16wrapped_functionINS8_7greaterIaEEbEEEE10hipError_tPvRmT1_T2_T3_mmT4_T5_P12ihipStream_tbEUlRKaE_EESS_SW_SX_mSY_S11_bEUlT_E_NS1_11comp_targetILNS1_3genE10ELNS1_11target_archE1201ELNS1_3gpuE5ELNS1_3repE0EEENS1_30default_config_static_selectorELNS0_4arch9wavefront6targetE0EEEvSV_.uses_flat_scratch, 0
	.set _ZN7rocprim17ROCPRIM_400000_NS6detail17trampoline_kernelINS0_14default_configENS1_29binary_search_config_selectorIaiEEZNS1_14transform_implILb0ES3_S5_N6thrust23THRUST_200600_302600_NS6detail15normal_iteratorINS8_7pointerIaNS8_11hip_rocprim3tagENS8_11use_defaultESE_EEEENSA_INSB_IiSD_SE_SE_EEEEZNS1_13binary_searchIS3_S5_NSA_INS8_10device_ptrIaEEEESG_SI_NS1_16binary_search_opENS9_16wrapped_functionINS8_7greaterIaEEbEEEE10hipError_tPvRmT1_T2_T3_mmT4_T5_P12ihipStream_tbEUlRKaE_EESS_SW_SX_mSY_S11_bEUlT_E_NS1_11comp_targetILNS1_3genE10ELNS1_11target_archE1201ELNS1_3gpuE5ELNS1_3repE0EEENS1_30default_config_static_selectorELNS0_4arch9wavefront6targetE0EEEvSV_.has_dyn_sized_stack, 0
	.set _ZN7rocprim17ROCPRIM_400000_NS6detail17trampoline_kernelINS0_14default_configENS1_29binary_search_config_selectorIaiEEZNS1_14transform_implILb0ES3_S5_N6thrust23THRUST_200600_302600_NS6detail15normal_iteratorINS8_7pointerIaNS8_11hip_rocprim3tagENS8_11use_defaultESE_EEEENSA_INSB_IiSD_SE_SE_EEEEZNS1_13binary_searchIS3_S5_NSA_INS8_10device_ptrIaEEEESG_SI_NS1_16binary_search_opENS9_16wrapped_functionINS8_7greaterIaEEbEEEE10hipError_tPvRmT1_T2_T3_mmT4_T5_P12ihipStream_tbEUlRKaE_EESS_SW_SX_mSY_S11_bEUlT_E_NS1_11comp_targetILNS1_3genE10ELNS1_11target_archE1201ELNS1_3gpuE5ELNS1_3repE0EEENS1_30default_config_static_selectorELNS0_4arch9wavefront6targetE0EEEvSV_.has_recursion, 0
	.set _ZN7rocprim17ROCPRIM_400000_NS6detail17trampoline_kernelINS0_14default_configENS1_29binary_search_config_selectorIaiEEZNS1_14transform_implILb0ES3_S5_N6thrust23THRUST_200600_302600_NS6detail15normal_iteratorINS8_7pointerIaNS8_11hip_rocprim3tagENS8_11use_defaultESE_EEEENSA_INSB_IiSD_SE_SE_EEEEZNS1_13binary_searchIS3_S5_NSA_INS8_10device_ptrIaEEEESG_SI_NS1_16binary_search_opENS9_16wrapped_functionINS8_7greaterIaEEbEEEE10hipError_tPvRmT1_T2_T3_mmT4_T5_P12ihipStream_tbEUlRKaE_EESS_SW_SX_mSY_S11_bEUlT_E_NS1_11comp_targetILNS1_3genE10ELNS1_11target_archE1201ELNS1_3gpuE5ELNS1_3repE0EEENS1_30default_config_static_selectorELNS0_4arch9wavefront6targetE0EEEvSV_.has_indirect_call, 0
	.section	.AMDGPU.csdata,"",@progbits
; Kernel info:
; codeLenInByte = 0
; TotalNumSgprs: 0
; NumVgprs: 0
; ScratchSize: 0
; MemoryBound: 0
; FloatMode: 240
; IeeeMode: 1
; LDSByteSize: 0 bytes/workgroup (compile time only)
; SGPRBlocks: 0
; VGPRBlocks: 0
; NumSGPRsForWavesPerEU: 1
; NumVGPRsForWavesPerEU: 1
; NamedBarCnt: 0
; Occupancy: 16
; WaveLimiterHint : 0
; COMPUTE_PGM_RSRC2:SCRATCH_EN: 0
; COMPUTE_PGM_RSRC2:USER_SGPR: 2
; COMPUTE_PGM_RSRC2:TRAP_HANDLER: 0
; COMPUTE_PGM_RSRC2:TGID_X_EN: 1
; COMPUTE_PGM_RSRC2:TGID_Y_EN: 0
; COMPUTE_PGM_RSRC2:TGID_Z_EN: 0
; COMPUTE_PGM_RSRC2:TIDIG_COMP_CNT: 0
	.section	.text._ZN7rocprim17ROCPRIM_400000_NS6detail17trampoline_kernelINS0_14default_configENS1_29binary_search_config_selectorIaiEEZNS1_14transform_implILb0ES3_S5_N6thrust23THRUST_200600_302600_NS6detail15normal_iteratorINS8_7pointerIaNS8_11hip_rocprim3tagENS8_11use_defaultESE_EEEENSA_INSB_IiSD_SE_SE_EEEEZNS1_13binary_searchIS3_S5_NSA_INS8_10device_ptrIaEEEESG_SI_NS1_16binary_search_opENS9_16wrapped_functionINS8_7greaterIaEEbEEEE10hipError_tPvRmT1_T2_T3_mmT4_T5_P12ihipStream_tbEUlRKaE_EESS_SW_SX_mSY_S11_bEUlT_E_NS1_11comp_targetILNS1_3genE10ELNS1_11target_archE1200ELNS1_3gpuE4ELNS1_3repE0EEENS1_30default_config_static_selectorELNS0_4arch9wavefront6targetE0EEEvSV_,"axG",@progbits,_ZN7rocprim17ROCPRIM_400000_NS6detail17trampoline_kernelINS0_14default_configENS1_29binary_search_config_selectorIaiEEZNS1_14transform_implILb0ES3_S5_N6thrust23THRUST_200600_302600_NS6detail15normal_iteratorINS8_7pointerIaNS8_11hip_rocprim3tagENS8_11use_defaultESE_EEEENSA_INSB_IiSD_SE_SE_EEEEZNS1_13binary_searchIS3_S5_NSA_INS8_10device_ptrIaEEEESG_SI_NS1_16binary_search_opENS9_16wrapped_functionINS8_7greaterIaEEbEEEE10hipError_tPvRmT1_T2_T3_mmT4_T5_P12ihipStream_tbEUlRKaE_EESS_SW_SX_mSY_S11_bEUlT_E_NS1_11comp_targetILNS1_3genE10ELNS1_11target_archE1200ELNS1_3gpuE4ELNS1_3repE0EEENS1_30default_config_static_selectorELNS0_4arch9wavefront6targetE0EEEvSV_,comdat
	.protected	_ZN7rocprim17ROCPRIM_400000_NS6detail17trampoline_kernelINS0_14default_configENS1_29binary_search_config_selectorIaiEEZNS1_14transform_implILb0ES3_S5_N6thrust23THRUST_200600_302600_NS6detail15normal_iteratorINS8_7pointerIaNS8_11hip_rocprim3tagENS8_11use_defaultESE_EEEENSA_INSB_IiSD_SE_SE_EEEEZNS1_13binary_searchIS3_S5_NSA_INS8_10device_ptrIaEEEESG_SI_NS1_16binary_search_opENS9_16wrapped_functionINS8_7greaterIaEEbEEEE10hipError_tPvRmT1_T2_T3_mmT4_T5_P12ihipStream_tbEUlRKaE_EESS_SW_SX_mSY_S11_bEUlT_E_NS1_11comp_targetILNS1_3genE10ELNS1_11target_archE1200ELNS1_3gpuE4ELNS1_3repE0EEENS1_30default_config_static_selectorELNS0_4arch9wavefront6targetE0EEEvSV_ ; -- Begin function _ZN7rocprim17ROCPRIM_400000_NS6detail17trampoline_kernelINS0_14default_configENS1_29binary_search_config_selectorIaiEEZNS1_14transform_implILb0ES3_S5_N6thrust23THRUST_200600_302600_NS6detail15normal_iteratorINS8_7pointerIaNS8_11hip_rocprim3tagENS8_11use_defaultESE_EEEENSA_INSB_IiSD_SE_SE_EEEEZNS1_13binary_searchIS3_S5_NSA_INS8_10device_ptrIaEEEESG_SI_NS1_16binary_search_opENS9_16wrapped_functionINS8_7greaterIaEEbEEEE10hipError_tPvRmT1_T2_T3_mmT4_T5_P12ihipStream_tbEUlRKaE_EESS_SW_SX_mSY_S11_bEUlT_E_NS1_11comp_targetILNS1_3genE10ELNS1_11target_archE1200ELNS1_3gpuE4ELNS1_3repE0EEENS1_30default_config_static_selectorELNS0_4arch9wavefront6targetE0EEEvSV_
	.globl	_ZN7rocprim17ROCPRIM_400000_NS6detail17trampoline_kernelINS0_14default_configENS1_29binary_search_config_selectorIaiEEZNS1_14transform_implILb0ES3_S5_N6thrust23THRUST_200600_302600_NS6detail15normal_iteratorINS8_7pointerIaNS8_11hip_rocprim3tagENS8_11use_defaultESE_EEEENSA_INSB_IiSD_SE_SE_EEEEZNS1_13binary_searchIS3_S5_NSA_INS8_10device_ptrIaEEEESG_SI_NS1_16binary_search_opENS9_16wrapped_functionINS8_7greaterIaEEbEEEE10hipError_tPvRmT1_T2_T3_mmT4_T5_P12ihipStream_tbEUlRKaE_EESS_SW_SX_mSY_S11_bEUlT_E_NS1_11comp_targetILNS1_3genE10ELNS1_11target_archE1200ELNS1_3gpuE4ELNS1_3repE0EEENS1_30default_config_static_selectorELNS0_4arch9wavefront6targetE0EEEvSV_
	.p2align	8
	.type	_ZN7rocprim17ROCPRIM_400000_NS6detail17trampoline_kernelINS0_14default_configENS1_29binary_search_config_selectorIaiEEZNS1_14transform_implILb0ES3_S5_N6thrust23THRUST_200600_302600_NS6detail15normal_iteratorINS8_7pointerIaNS8_11hip_rocprim3tagENS8_11use_defaultESE_EEEENSA_INSB_IiSD_SE_SE_EEEEZNS1_13binary_searchIS3_S5_NSA_INS8_10device_ptrIaEEEESG_SI_NS1_16binary_search_opENS9_16wrapped_functionINS8_7greaterIaEEbEEEE10hipError_tPvRmT1_T2_T3_mmT4_T5_P12ihipStream_tbEUlRKaE_EESS_SW_SX_mSY_S11_bEUlT_E_NS1_11comp_targetILNS1_3genE10ELNS1_11target_archE1200ELNS1_3gpuE4ELNS1_3repE0EEENS1_30default_config_static_selectorELNS0_4arch9wavefront6targetE0EEEvSV_,@function
_ZN7rocprim17ROCPRIM_400000_NS6detail17trampoline_kernelINS0_14default_configENS1_29binary_search_config_selectorIaiEEZNS1_14transform_implILb0ES3_S5_N6thrust23THRUST_200600_302600_NS6detail15normal_iteratorINS8_7pointerIaNS8_11hip_rocprim3tagENS8_11use_defaultESE_EEEENSA_INSB_IiSD_SE_SE_EEEEZNS1_13binary_searchIS3_S5_NSA_INS8_10device_ptrIaEEEESG_SI_NS1_16binary_search_opENS9_16wrapped_functionINS8_7greaterIaEEbEEEE10hipError_tPvRmT1_T2_T3_mmT4_T5_P12ihipStream_tbEUlRKaE_EESS_SW_SX_mSY_S11_bEUlT_E_NS1_11comp_targetILNS1_3genE10ELNS1_11target_archE1200ELNS1_3gpuE4ELNS1_3repE0EEENS1_30default_config_static_selectorELNS0_4arch9wavefront6targetE0EEEvSV_: ; @_ZN7rocprim17ROCPRIM_400000_NS6detail17trampoline_kernelINS0_14default_configENS1_29binary_search_config_selectorIaiEEZNS1_14transform_implILb0ES3_S5_N6thrust23THRUST_200600_302600_NS6detail15normal_iteratorINS8_7pointerIaNS8_11hip_rocprim3tagENS8_11use_defaultESE_EEEENSA_INSB_IiSD_SE_SE_EEEEZNS1_13binary_searchIS3_S5_NSA_INS8_10device_ptrIaEEEESG_SI_NS1_16binary_search_opENS9_16wrapped_functionINS8_7greaterIaEEbEEEE10hipError_tPvRmT1_T2_T3_mmT4_T5_P12ihipStream_tbEUlRKaE_EESS_SW_SX_mSY_S11_bEUlT_E_NS1_11comp_targetILNS1_3genE10ELNS1_11target_archE1200ELNS1_3gpuE4ELNS1_3repE0EEENS1_30default_config_static_selectorELNS0_4arch9wavefront6targetE0EEEvSV_
; %bb.0:
	.section	.rodata,"a",@progbits
	.p2align	6, 0x0
	.amdhsa_kernel _ZN7rocprim17ROCPRIM_400000_NS6detail17trampoline_kernelINS0_14default_configENS1_29binary_search_config_selectorIaiEEZNS1_14transform_implILb0ES3_S5_N6thrust23THRUST_200600_302600_NS6detail15normal_iteratorINS8_7pointerIaNS8_11hip_rocprim3tagENS8_11use_defaultESE_EEEENSA_INSB_IiSD_SE_SE_EEEEZNS1_13binary_searchIS3_S5_NSA_INS8_10device_ptrIaEEEESG_SI_NS1_16binary_search_opENS9_16wrapped_functionINS8_7greaterIaEEbEEEE10hipError_tPvRmT1_T2_T3_mmT4_T5_P12ihipStream_tbEUlRKaE_EESS_SW_SX_mSY_S11_bEUlT_E_NS1_11comp_targetILNS1_3genE10ELNS1_11target_archE1200ELNS1_3gpuE4ELNS1_3repE0EEENS1_30default_config_static_selectorELNS0_4arch9wavefront6targetE0EEEvSV_
		.amdhsa_group_segment_fixed_size 0
		.amdhsa_private_segment_fixed_size 0
		.amdhsa_kernarg_size 56
		.amdhsa_user_sgpr_count 2
		.amdhsa_user_sgpr_dispatch_ptr 0
		.amdhsa_user_sgpr_queue_ptr 0
		.amdhsa_user_sgpr_kernarg_segment_ptr 1
		.amdhsa_user_sgpr_dispatch_id 0
		.amdhsa_user_sgpr_kernarg_preload_length 0
		.amdhsa_user_sgpr_kernarg_preload_offset 0
		.amdhsa_user_sgpr_private_segment_size 0
		.amdhsa_wavefront_size32 1
		.amdhsa_uses_dynamic_stack 0
		.amdhsa_enable_private_segment 0
		.amdhsa_system_sgpr_workgroup_id_x 1
		.amdhsa_system_sgpr_workgroup_id_y 0
		.amdhsa_system_sgpr_workgroup_id_z 0
		.amdhsa_system_sgpr_workgroup_info 0
		.amdhsa_system_vgpr_workitem_id 0
		.amdhsa_next_free_vgpr 1
		.amdhsa_next_free_sgpr 1
		.amdhsa_named_barrier_count 0
		.amdhsa_reserve_vcc 0
		.amdhsa_float_round_mode_32 0
		.amdhsa_float_round_mode_16_64 0
		.amdhsa_float_denorm_mode_32 3
		.amdhsa_float_denorm_mode_16_64 3
		.amdhsa_fp16_overflow 0
		.amdhsa_memory_ordered 1
		.amdhsa_forward_progress 1
		.amdhsa_inst_pref_size 0
		.amdhsa_round_robin_scheduling 0
		.amdhsa_exception_fp_ieee_invalid_op 0
		.amdhsa_exception_fp_denorm_src 0
		.amdhsa_exception_fp_ieee_div_zero 0
		.amdhsa_exception_fp_ieee_overflow 0
		.amdhsa_exception_fp_ieee_underflow 0
		.amdhsa_exception_fp_ieee_inexact 0
		.amdhsa_exception_int_div_zero 0
	.end_amdhsa_kernel
	.section	.text._ZN7rocprim17ROCPRIM_400000_NS6detail17trampoline_kernelINS0_14default_configENS1_29binary_search_config_selectorIaiEEZNS1_14transform_implILb0ES3_S5_N6thrust23THRUST_200600_302600_NS6detail15normal_iteratorINS8_7pointerIaNS8_11hip_rocprim3tagENS8_11use_defaultESE_EEEENSA_INSB_IiSD_SE_SE_EEEEZNS1_13binary_searchIS3_S5_NSA_INS8_10device_ptrIaEEEESG_SI_NS1_16binary_search_opENS9_16wrapped_functionINS8_7greaterIaEEbEEEE10hipError_tPvRmT1_T2_T3_mmT4_T5_P12ihipStream_tbEUlRKaE_EESS_SW_SX_mSY_S11_bEUlT_E_NS1_11comp_targetILNS1_3genE10ELNS1_11target_archE1200ELNS1_3gpuE4ELNS1_3repE0EEENS1_30default_config_static_selectorELNS0_4arch9wavefront6targetE0EEEvSV_,"axG",@progbits,_ZN7rocprim17ROCPRIM_400000_NS6detail17trampoline_kernelINS0_14default_configENS1_29binary_search_config_selectorIaiEEZNS1_14transform_implILb0ES3_S5_N6thrust23THRUST_200600_302600_NS6detail15normal_iteratorINS8_7pointerIaNS8_11hip_rocprim3tagENS8_11use_defaultESE_EEEENSA_INSB_IiSD_SE_SE_EEEEZNS1_13binary_searchIS3_S5_NSA_INS8_10device_ptrIaEEEESG_SI_NS1_16binary_search_opENS9_16wrapped_functionINS8_7greaterIaEEbEEEE10hipError_tPvRmT1_T2_T3_mmT4_T5_P12ihipStream_tbEUlRKaE_EESS_SW_SX_mSY_S11_bEUlT_E_NS1_11comp_targetILNS1_3genE10ELNS1_11target_archE1200ELNS1_3gpuE4ELNS1_3repE0EEENS1_30default_config_static_selectorELNS0_4arch9wavefront6targetE0EEEvSV_,comdat
.Lfunc_end146:
	.size	_ZN7rocprim17ROCPRIM_400000_NS6detail17trampoline_kernelINS0_14default_configENS1_29binary_search_config_selectorIaiEEZNS1_14transform_implILb0ES3_S5_N6thrust23THRUST_200600_302600_NS6detail15normal_iteratorINS8_7pointerIaNS8_11hip_rocprim3tagENS8_11use_defaultESE_EEEENSA_INSB_IiSD_SE_SE_EEEEZNS1_13binary_searchIS3_S5_NSA_INS8_10device_ptrIaEEEESG_SI_NS1_16binary_search_opENS9_16wrapped_functionINS8_7greaterIaEEbEEEE10hipError_tPvRmT1_T2_T3_mmT4_T5_P12ihipStream_tbEUlRKaE_EESS_SW_SX_mSY_S11_bEUlT_E_NS1_11comp_targetILNS1_3genE10ELNS1_11target_archE1200ELNS1_3gpuE4ELNS1_3repE0EEENS1_30default_config_static_selectorELNS0_4arch9wavefront6targetE0EEEvSV_, .Lfunc_end146-_ZN7rocprim17ROCPRIM_400000_NS6detail17trampoline_kernelINS0_14default_configENS1_29binary_search_config_selectorIaiEEZNS1_14transform_implILb0ES3_S5_N6thrust23THRUST_200600_302600_NS6detail15normal_iteratorINS8_7pointerIaNS8_11hip_rocprim3tagENS8_11use_defaultESE_EEEENSA_INSB_IiSD_SE_SE_EEEEZNS1_13binary_searchIS3_S5_NSA_INS8_10device_ptrIaEEEESG_SI_NS1_16binary_search_opENS9_16wrapped_functionINS8_7greaterIaEEbEEEE10hipError_tPvRmT1_T2_T3_mmT4_T5_P12ihipStream_tbEUlRKaE_EESS_SW_SX_mSY_S11_bEUlT_E_NS1_11comp_targetILNS1_3genE10ELNS1_11target_archE1200ELNS1_3gpuE4ELNS1_3repE0EEENS1_30default_config_static_selectorELNS0_4arch9wavefront6targetE0EEEvSV_
                                        ; -- End function
	.set _ZN7rocprim17ROCPRIM_400000_NS6detail17trampoline_kernelINS0_14default_configENS1_29binary_search_config_selectorIaiEEZNS1_14transform_implILb0ES3_S5_N6thrust23THRUST_200600_302600_NS6detail15normal_iteratorINS8_7pointerIaNS8_11hip_rocprim3tagENS8_11use_defaultESE_EEEENSA_INSB_IiSD_SE_SE_EEEEZNS1_13binary_searchIS3_S5_NSA_INS8_10device_ptrIaEEEESG_SI_NS1_16binary_search_opENS9_16wrapped_functionINS8_7greaterIaEEbEEEE10hipError_tPvRmT1_T2_T3_mmT4_T5_P12ihipStream_tbEUlRKaE_EESS_SW_SX_mSY_S11_bEUlT_E_NS1_11comp_targetILNS1_3genE10ELNS1_11target_archE1200ELNS1_3gpuE4ELNS1_3repE0EEENS1_30default_config_static_selectorELNS0_4arch9wavefront6targetE0EEEvSV_.num_vgpr, 0
	.set _ZN7rocprim17ROCPRIM_400000_NS6detail17trampoline_kernelINS0_14default_configENS1_29binary_search_config_selectorIaiEEZNS1_14transform_implILb0ES3_S5_N6thrust23THRUST_200600_302600_NS6detail15normal_iteratorINS8_7pointerIaNS8_11hip_rocprim3tagENS8_11use_defaultESE_EEEENSA_INSB_IiSD_SE_SE_EEEEZNS1_13binary_searchIS3_S5_NSA_INS8_10device_ptrIaEEEESG_SI_NS1_16binary_search_opENS9_16wrapped_functionINS8_7greaterIaEEbEEEE10hipError_tPvRmT1_T2_T3_mmT4_T5_P12ihipStream_tbEUlRKaE_EESS_SW_SX_mSY_S11_bEUlT_E_NS1_11comp_targetILNS1_3genE10ELNS1_11target_archE1200ELNS1_3gpuE4ELNS1_3repE0EEENS1_30default_config_static_selectorELNS0_4arch9wavefront6targetE0EEEvSV_.num_agpr, 0
	.set _ZN7rocprim17ROCPRIM_400000_NS6detail17trampoline_kernelINS0_14default_configENS1_29binary_search_config_selectorIaiEEZNS1_14transform_implILb0ES3_S5_N6thrust23THRUST_200600_302600_NS6detail15normal_iteratorINS8_7pointerIaNS8_11hip_rocprim3tagENS8_11use_defaultESE_EEEENSA_INSB_IiSD_SE_SE_EEEEZNS1_13binary_searchIS3_S5_NSA_INS8_10device_ptrIaEEEESG_SI_NS1_16binary_search_opENS9_16wrapped_functionINS8_7greaterIaEEbEEEE10hipError_tPvRmT1_T2_T3_mmT4_T5_P12ihipStream_tbEUlRKaE_EESS_SW_SX_mSY_S11_bEUlT_E_NS1_11comp_targetILNS1_3genE10ELNS1_11target_archE1200ELNS1_3gpuE4ELNS1_3repE0EEENS1_30default_config_static_selectorELNS0_4arch9wavefront6targetE0EEEvSV_.numbered_sgpr, 0
	.set _ZN7rocprim17ROCPRIM_400000_NS6detail17trampoline_kernelINS0_14default_configENS1_29binary_search_config_selectorIaiEEZNS1_14transform_implILb0ES3_S5_N6thrust23THRUST_200600_302600_NS6detail15normal_iteratorINS8_7pointerIaNS8_11hip_rocprim3tagENS8_11use_defaultESE_EEEENSA_INSB_IiSD_SE_SE_EEEEZNS1_13binary_searchIS3_S5_NSA_INS8_10device_ptrIaEEEESG_SI_NS1_16binary_search_opENS9_16wrapped_functionINS8_7greaterIaEEbEEEE10hipError_tPvRmT1_T2_T3_mmT4_T5_P12ihipStream_tbEUlRKaE_EESS_SW_SX_mSY_S11_bEUlT_E_NS1_11comp_targetILNS1_3genE10ELNS1_11target_archE1200ELNS1_3gpuE4ELNS1_3repE0EEENS1_30default_config_static_selectorELNS0_4arch9wavefront6targetE0EEEvSV_.num_named_barrier, 0
	.set _ZN7rocprim17ROCPRIM_400000_NS6detail17trampoline_kernelINS0_14default_configENS1_29binary_search_config_selectorIaiEEZNS1_14transform_implILb0ES3_S5_N6thrust23THRUST_200600_302600_NS6detail15normal_iteratorINS8_7pointerIaNS8_11hip_rocprim3tagENS8_11use_defaultESE_EEEENSA_INSB_IiSD_SE_SE_EEEEZNS1_13binary_searchIS3_S5_NSA_INS8_10device_ptrIaEEEESG_SI_NS1_16binary_search_opENS9_16wrapped_functionINS8_7greaterIaEEbEEEE10hipError_tPvRmT1_T2_T3_mmT4_T5_P12ihipStream_tbEUlRKaE_EESS_SW_SX_mSY_S11_bEUlT_E_NS1_11comp_targetILNS1_3genE10ELNS1_11target_archE1200ELNS1_3gpuE4ELNS1_3repE0EEENS1_30default_config_static_selectorELNS0_4arch9wavefront6targetE0EEEvSV_.private_seg_size, 0
	.set _ZN7rocprim17ROCPRIM_400000_NS6detail17trampoline_kernelINS0_14default_configENS1_29binary_search_config_selectorIaiEEZNS1_14transform_implILb0ES3_S5_N6thrust23THRUST_200600_302600_NS6detail15normal_iteratorINS8_7pointerIaNS8_11hip_rocprim3tagENS8_11use_defaultESE_EEEENSA_INSB_IiSD_SE_SE_EEEEZNS1_13binary_searchIS3_S5_NSA_INS8_10device_ptrIaEEEESG_SI_NS1_16binary_search_opENS9_16wrapped_functionINS8_7greaterIaEEbEEEE10hipError_tPvRmT1_T2_T3_mmT4_T5_P12ihipStream_tbEUlRKaE_EESS_SW_SX_mSY_S11_bEUlT_E_NS1_11comp_targetILNS1_3genE10ELNS1_11target_archE1200ELNS1_3gpuE4ELNS1_3repE0EEENS1_30default_config_static_selectorELNS0_4arch9wavefront6targetE0EEEvSV_.uses_vcc, 0
	.set _ZN7rocprim17ROCPRIM_400000_NS6detail17trampoline_kernelINS0_14default_configENS1_29binary_search_config_selectorIaiEEZNS1_14transform_implILb0ES3_S5_N6thrust23THRUST_200600_302600_NS6detail15normal_iteratorINS8_7pointerIaNS8_11hip_rocprim3tagENS8_11use_defaultESE_EEEENSA_INSB_IiSD_SE_SE_EEEEZNS1_13binary_searchIS3_S5_NSA_INS8_10device_ptrIaEEEESG_SI_NS1_16binary_search_opENS9_16wrapped_functionINS8_7greaterIaEEbEEEE10hipError_tPvRmT1_T2_T3_mmT4_T5_P12ihipStream_tbEUlRKaE_EESS_SW_SX_mSY_S11_bEUlT_E_NS1_11comp_targetILNS1_3genE10ELNS1_11target_archE1200ELNS1_3gpuE4ELNS1_3repE0EEENS1_30default_config_static_selectorELNS0_4arch9wavefront6targetE0EEEvSV_.uses_flat_scratch, 0
	.set _ZN7rocprim17ROCPRIM_400000_NS6detail17trampoline_kernelINS0_14default_configENS1_29binary_search_config_selectorIaiEEZNS1_14transform_implILb0ES3_S5_N6thrust23THRUST_200600_302600_NS6detail15normal_iteratorINS8_7pointerIaNS8_11hip_rocprim3tagENS8_11use_defaultESE_EEEENSA_INSB_IiSD_SE_SE_EEEEZNS1_13binary_searchIS3_S5_NSA_INS8_10device_ptrIaEEEESG_SI_NS1_16binary_search_opENS9_16wrapped_functionINS8_7greaterIaEEbEEEE10hipError_tPvRmT1_T2_T3_mmT4_T5_P12ihipStream_tbEUlRKaE_EESS_SW_SX_mSY_S11_bEUlT_E_NS1_11comp_targetILNS1_3genE10ELNS1_11target_archE1200ELNS1_3gpuE4ELNS1_3repE0EEENS1_30default_config_static_selectorELNS0_4arch9wavefront6targetE0EEEvSV_.has_dyn_sized_stack, 0
	.set _ZN7rocprim17ROCPRIM_400000_NS6detail17trampoline_kernelINS0_14default_configENS1_29binary_search_config_selectorIaiEEZNS1_14transform_implILb0ES3_S5_N6thrust23THRUST_200600_302600_NS6detail15normal_iteratorINS8_7pointerIaNS8_11hip_rocprim3tagENS8_11use_defaultESE_EEEENSA_INSB_IiSD_SE_SE_EEEEZNS1_13binary_searchIS3_S5_NSA_INS8_10device_ptrIaEEEESG_SI_NS1_16binary_search_opENS9_16wrapped_functionINS8_7greaterIaEEbEEEE10hipError_tPvRmT1_T2_T3_mmT4_T5_P12ihipStream_tbEUlRKaE_EESS_SW_SX_mSY_S11_bEUlT_E_NS1_11comp_targetILNS1_3genE10ELNS1_11target_archE1200ELNS1_3gpuE4ELNS1_3repE0EEENS1_30default_config_static_selectorELNS0_4arch9wavefront6targetE0EEEvSV_.has_recursion, 0
	.set _ZN7rocprim17ROCPRIM_400000_NS6detail17trampoline_kernelINS0_14default_configENS1_29binary_search_config_selectorIaiEEZNS1_14transform_implILb0ES3_S5_N6thrust23THRUST_200600_302600_NS6detail15normal_iteratorINS8_7pointerIaNS8_11hip_rocprim3tagENS8_11use_defaultESE_EEEENSA_INSB_IiSD_SE_SE_EEEEZNS1_13binary_searchIS3_S5_NSA_INS8_10device_ptrIaEEEESG_SI_NS1_16binary_search_opENS9_16wrapped_functionINS8_7greaterIaEEbEEEE10hipError_tPvRmT1_T2_T3_mmT4_T5_P12ihipStream_tbEUlRKaE_EESS_SW_SX_mSY_S11_bEUlT_E_NS1_11comp_targetILNS1_3genE10ELNS1_11target_archE1200ELNS1_3gpuE4ELNS1_3repE0EEENS1_30default_config_static_selectorELNS0_4arch9wavefront6targetE0EEEvSV_.has_indirect_call, 0
	.section	.AMDGPU.csdata,"",@progbits
; Kernel info:
; codeLenInByte = 0
; TotalNumSgprs: 0
; NumVgprs: 0
; ScratchSize: 0
; MemoryBound: 0
; FloatMode: 240
; IeeeMode: 1
; LDSByteSize: 0 bytes/workgroup (compile time only)
; SGPRBlocks: 0
; VGPRBlocks: 0
; NumSGPRsForWavesPerEU: 1
; NumVGPRsForWavesPerEU: 1
; NamedBarCnt: 0
; Occupancy: 16
; WaveLimiterHint : 0
; COMPUTE_PGM_RSRC2:SCRATCH_EN: 0
; COMPUTE_PGM_RSRC2:USER_SGPR: 2
; COMPUTE_PGM_RSRC2:TRAP_HANDLER: 0
; COMPUTE_PGM_RSRC2:TGID_X_EN: 1
; COMPUTE_PGM_RSRC2:TGID_Y_EN: 0
; COMPUTE_PGM_RSRC2:TGID_Z_EN: 0
; COMPUTE_PGM_RSRC2:TIDIG_COMP_CNT: 0
	.section	.text._ZN7rocprim17ROCPRIM_400000_NS6detail17trampoline_kernelINS0_14default_configENS1_29binary_search_config_selectorIaiEEZNS1_14transform_implILb0ES3_S5_N6thrust23THRUST_200600_302600_NS6detail15normal_iteratorINS8_7pointerIaNS8_11hip_rocprim3tagENS8_11use_defaultESE_EEEENSA_INSB_IiSD_SE_SE_EEEEZNS1_13binary_searchIS3_S5_NSA_INS8_10device_ptrIaEEEESG_SI_NS1_16binary_search_opENS9_16wrapped_functionINS8_7greaterIaEEbEEEE10hipError_tPvRmT1_T2_T3_mmT4_T5_P12ihipStream_tbEUlRKaE_EESS_SW_SX_mSY_S11_bEUlT_E_NS1_11comp_targetILNS1_3genE9ELNS1_11target_archE1100ELNS1_3gpuE3ELNS1_3repE0EEENS1_30default_config_static_selectorELNS0_4arch9wavefront6targetE0EEEvSV_,"axG",@progbits,_ZN7rocprim17ROCPRIM_400000_NS6detail17trampoline_kernelINS0_14default_configENS1_29binary_search_config_selectorIaiEEZNS1_14transform_implILb0ES3_S5_N6thrust23THRUST_200600_302600_NS6detail15normal_iteratorINS8_7pointerIaNS8_11hip_rocprim3tagENS8_11use_defaultESE_EEEENSA_INSB_IiSD_SE_SE_EEEEZNS1_13binary_searchIS3_S5_NSA_INS8_10device_ptrIaEEEESG_SI_NS1_16binary_search_opENS9_16wrapped_functionINS8_7greaterIaEEbEEEE10hipError_tPvRmT1_T2_T3_mmT4_T5_P12ihipStream_tbEUlRKaE_EESS_SW_SX_mSY_S11_bEUlT_E_NS1_11comp_targetILNS1_3genE9ELNS1_11target_archE1100ELNS1_3gpuE3ELNS1_3repE0EEENS1_30default_config_static_selectorELNS0_4arch9wavefront6targetE0EEEvSV_,comdat
	.protected	_ZN7rocprim17ROCPRIM_400000_NS6detail17trampoline_kernelINS0_14default_configENS1_29binary_search_config_selectorIaiEEZNS1_14transform_implILb0ES3_S5_N6thrust23THRUST_200600_302600_NS6detail15normal_iteratorINS8_7pointerIaNS8_11hip_rocprim3tagENS8_11use_defaultESE_EEEENSA_INSB_IiSD_SE_SE_EEEEZNS1_13binary_searchIS3_S5_NSA_INS8_10device_ptrIaEEEESG_SI_NS1_16binary_search_opENS9_16wrapped_functionINS8_7greaterIaEEbEEEE10hipError_tPvRmT1_T2_T3_mmT4_T5_P12ihipStream_tbEUlRKaE_EESS_SW_SX_mSY_S11_bEUlT_E_NS1_11comp_targetILNS1_3genE9ELNS1_11target_archE1100ELNS1_3gpuE3ELNS1_3repE0EEENS1_30default_config_static_selectorELNS0_4arch9wavefront6targetE0EEEvSV_ ; -- Begin function _ZN7rocprim17ROCPRIM_400000_NS6detail17trampoline_kernelINS0_14default_configENS1_29binary_search_config_selectorIaiEEZNS1_14transform_implILb0ES3_S5_N6thrust23THRUST_200600_302600_NS6detail15normal_iteratorINS8_7pointerIaNS8_11hip_rocprim3tagENS8_11use_defaultESE_EEEENSA_INSB_IiSD_SE_SE_EEEEZNS1_13binary_searchIS3_S5_NSA_INS8_10device_ptrIaEEEESG_SI_NS1_16binary_search_opENS9_16wrapped_functionINS8_7greaterIaEEbEEEE10hipError_tPvRmT1_T2_T3_mmT4_T5_P12ihipStream_tbEUlRKaE_EESS_SW_SX_mSY_S11_bEUlT_E_NS1_11comp_targetILNS1_3genE9ELNS1_11target_archE1100ELNS1_3gpuE3ELNS1_3repE0EEENS1_30default_config_static_selectorELNS0_4arch9wavefront6targetE0EEEvSV_
	.globl	_ZN7rocprim17ROCPRIM_400000_NS6detail17trampoline_kernelINS0_14default_configENS1_29binary_search_config_selectorIaiEEZNS1_14transform_implILb0ES3_S5_N6thrust23THRUST_200600_302600_NS6detail15normal_iteratorINS8_7pointerIaNS8_11hip_rocprim3tagENS8_11use_defaultESE_EEEENSA_INSB_IiSD_SE_SE_EEEEZNS1_13binary_searchIS3_S5_NSA_INS8_10device_ptrIaEEEESG_SI_NS1_16binary_search_opENS9_16wrapped_functionINS8_7greaterIaEEbEEEE10hipError_tPvRmT1_T2_T3_mmT4_T5_P12ihipStream_tbEUlRKaE_EESS_SW_SX_mSY_S11_bEUlT_E_NS1_11comp_targetILNS1_3genE9ELNS1_11target_archE1100ELNS1_3gpuE3ELNS1_3repE0EEENS1_30default_config_static_selectorELNS0_4arch9wavefront6targetE0EEEvSV_
	.p2align	8
	.type	_ZN7rocprim17ROCPRIM_400000_NS6detail17trampoline_kernelINS0_14default_configENS1_29binary_search_config_selectorIaiEEZNS1_14transform_implILb0ES3_S5_N6thrust23THRUST_200600_302600_NS6detail15normal_iteratorINS8_7pointerIaNS8_11hip_rocprim3tagENS8_11use_defaultESE_EEEENSA_INSB_IiSD_SE_SE_EEEEZNS1_13binary_searchIS3_S5_NSA_INS8_10device_ptrIaEEEESG_SI_NS1_16binary_search_opENS9_16wrapped_functionINS8_7greaterIaEEbEEEE10hipError_tPvRmT1_T2_T3_mmT4_T5_P12ihipStream_tbEUlRKaE_EESS_SW_SX_mSY_S11_bEUlT_E_NS1_11comp_targetILNS1_3genE9ELNS1_11target_archE1100ELNS1_3gpuE3ELNS1_3repE0EEENS1_30default_config_static_selectorELNS0_4arch9wavefront6targetE0EEEvSV_,@function
_ZN7rocprim17ROCPRIM_400000_NS6detail17trampoline_kernelINS0_14default_configENS1_29binary_search_config_selectorIaiEEZNS1_14transform_implILb0ES3_S5_N6thrust23THRUST_200600_302600_NS6detail15normal_iteratorINS8_7pointerIaNS8_11hip_rocprim3tagENS8_11use_defaultESE_EEEENSA_INSB_IiSD_SE_SE_EEEEZNS1_13binary_searchIS3_S5_NSA_INS8_10device_ptrIaEEEESG_SI_NS1_16binary_search_opENS9_16wrapped_functionINS8_7greaterIaEEbEEEE10hipError_tPvRmT1_T2_T3_mmT4_T5_P12ihipStream_tbEUlRKaE_EESS_SW_SX_mSY_S11_bEUlT_E_NS1_11comp_targetILNS1_3genE9ELNS1_11target_archE1100ELNS1_3gpuE3ELNS1_3repE0EEENS1_30default_config_static_selectorELNS0_4arch9wavefront6targetE0EEEvSV_: ; @_ZN7rocprim17ROCPRIM_400000_NS6detail17trampoline_kernelINS0_14default_configENS1_29binary_search_config_selectorIaiEEZNS1_14transform_implILb0ES3_S5_N6thrust23THRUST_200600_302600_NS6detail15normal_iteratorINS8_7pointerIaNS8_11hip_rocprim3tagENS8_11use_defaultESE_EEEENSA_INSB_IiSD_SE_SE_EEEEZNS1_13binary_searchIS3_S5_NSA_INS8_10device_ptrIaEEEESG_SI_NS1_16binary_search_opENS9_16wrapped_functionINS8_7greaterIaEEbEEEE10hipError_tPvRmT1_T2_T3_mmT4_T5_P12ihipStream_tbEUlRKaE_EESS_SW_SX_mSY_S11_bEUlT_E_NS1_11comp_targetILNS1_3genE9ELNS1_11target_archE1100ELNS1_3gpuE3ELNS1_3repE0EEENS1_30default_config_static_selectorELNS0_4arch9wavefront6targetE0EEEvSV_
; %bb.0:
	.section	.rodata,"a",@progbits
	.p2align	6, 0x0
	.amdhsa_kernel _ZN7rocprim17ROCPRIM_400000_NS6detail17trampoline_kernelINS0_14default_configENS1_29binary_search_config_selectorIaiEEZNS1_14transform_implILb0ES3_S5_N6thrust23THRUST_200600_302600_NS6detail15normal_iteratorINS8_7pointerIaNS8_11hip_rocprim3tagENS8_11use_defaultESE_EEEENSA_INSB_IiSD_SE_SE_EEEEZNS1_13binary_searchIS3_S5_NSA_INS8_10device_ptrIaEEEESG_SI_NS1_16binary_search_opENS9_16wrapped_functionINS8_7greaterIaEEbEEEE10hipError_tPvRmT1_T2_T3_mmT4_T5_P12ihipStream_tbEUlRKaE_EESS_SW_SX_mSY_S11_bEUlT_E_NS1_11comp_targetILNS1_3genE9ELNS1_11target_archE1100ELNS1_3gpuE3ELNS1_3repE0EEENS1_30default_config_static_selectorELNS0_4arch9wavefront6targetE0EEEvSV_
		.amdhsa_group_segment_fixed_size 0
		.amdhsa_private_segment_fixed_size 0
		.amdhsa_kernarg_size 56
		.amdhsa_user_sgpr_count 2
		.amdhsa_user_sgpr_dispatch_ptr 0
		.amdhsa_user_sgpr_queue_ptr 0
		.amdhsa_user_sgpr_kernarg_segment_ptr 1
		.amdhsa_user_sgpr_dispatch_id 0
		.amdhsa_user_sgpr_kernarg_preload_length 0
		.amdhsa_user_sgpr_kernarg_preload_offset 0
		.amdhsa_user_sgpr_private_segment_size 0
		.amdhsa_wavefront_size32 1
		.amdhsa_uses_dynamic_stack 0
		.amdhsa_enable_private_segment 0
		.amdhsa_system_sgpr_workgroup_id_x 1
		.amdhsa_system_sgpr_workgroup_id_y 0
		.amdhsa_system_sgpr_workgroup_id_z 0
		.amdhsa_system_sgpr_workgroup_info 0
		.amdhsa_system_vgpr_workitem_id 0
		.amdhsa_next_free_vgpr 1
		.amdhsa_next_free_sgpr 1
		.amdhsa_named_barrier_count 0
		.amdhsa_reserve_vcc 0
		.amdhsa_float_round_mode_32 0
		.amdhsa_float_round_mode_16_64 0
		.amdhsa_float_denorm_mode_32 3
		.amdhsa_float_denorm_mode_16_64 3
		.amdhsa_fp16_overflow 0
		.amdhsa_memory_ordered 1
		.amdhsa_forward_progress 1
		.amdhsa_inst_pref_size 0
		.amdhsa_round_robin_scheduling 0
		.amdhsa_exception_fp_ieee_invalid_op 0
		.amdhsa_exception_fp_denorm_src 0
		.amdhsa_exception_fp_ieee_div_zero 0
		.amdhsa_exception_fp_ieee_overflow 0
		.amdhsa_exception_fp_ieee_underflow 0
		.amdhsa_exception_fp_ieee_inexact 0
		.amdhsa_exception_int_div_zero 0
	.end_amdhsa_kernel
	.section	.text._ZN7rocprim17ROCPRIM_400000_NS6detail17trampoline_kernelINS0_14default_configENS1_29binary_search_config_selectorIaiEEZNS1_14transform_implILb0ES3_S5_N6thrust23THRUST_200600_302600_NS6detail15normal_iteratorINS8_7pointerIaNS8_11hip_rocprim3tagENS8_11use_defaultESE_EEEENSA_INSB_IiSD_SE_SE_EEEEZNS1_13binary_searchIS3_S5_NSA_INS8_10device_ptrIaEEEESG_SI_NS1_16binary_search_opENS9_16wrapped_functionINS8_7greaterIaEEbEEEE10hipError_tPvRmT1_T2_T3_mmT4_T5_P12ihipStream_tbEUlRKaE_EESS_SW_SX_mSY_S11_bEUlT_E_NS1_11comp_targetILNS1_3genE9ELNS1_11target_archE1100ELNS1_3gpuE3ELNS1_3repE0EEENS1_30default_config_static_selectorELNS0_4arch9wavefront6targetE0EEEvSV_,"axG",@progbits,_ZN7rocprim17ROCPRIM_400000_NS6detail17trampoline_kernelINS0_14default_configENS1_29binary_search_config_selectorIaiEEZNS1_14transform_implILb0ES3_S5_N6thrust23THRUST_200600_302600_NS6detail15normal_iteratorINS8_7pointerIaNS8_11hip_rocprim3tagENS8_11use_defaultESE_EEEENSA_INSB_IiSD_SE_SE_EEEEZNS1_13binary_searchIS3_S5_NSA_INS8_10device_ptrIaEEEESG_SI_NS1_16binary_search_opENS9_16wrapped_functionINS8_7greaterIaEEbEEEE10hipError_tPvRmT1_T2_T3_mmT4_T5_P12ihipStream_tbEUlRKaE_EESS_SW_SX_mSY_S11_bEUlT_E_NS1_11comp_targetILNS1_3genE9ELNS1_11target_archE1100ELNS1_3gpuE3ELNS1_3repE0EEENS1_30default_config_static_selectorELNS0_4arch9wavefront6targetE0EEEvSV_,comdat
.Lfunc_end147:
	.size	_ZN7rocprim17ROCPRIM_400000_NS6detail17trampoline_kernelINS0_14default_configENS1_29binary_search_config_selectorIaiEEZNS1_14transform_implILb0ES3_S5_N6thrust23THRUST_200600_302600_NS6detail15normal_iteratorINS8_7pointerIaNS8_11hip_rocprim3tagENS8_11use_defaultESE_EEEENSA_INSB_IiSD_SE_SE_EEEEZNS1_13binary_searchIS3_S5_NSA_INS8_10device_ptrIaEEEESG_SI_NS1_16binary_search_opENS9_16wrapped_functionINS8_7greaterIaEEbEEEE10hipError_tPvRmT1_T2_T3_mmT4_T5_P12ihipStream_tbEUlRKaE_EESS_SW_SX_mSY_S11_bEUlT_E_NS1_11comp_targetILNS1_3genE9ELNS1_11target_archE1100ELNS1_3gpuE3ELNS1_3repE0EEENS1_30default_config_static_selectorELNS0_4arch9wavefront6targetE0EEEvSV_, .Lfunc_end147-_ZN7rocprim17ROCPRIM_400000_NS6detail17trampoline_kernelINS0_14default_configENS1_29binary_search_config_selectorIaiEEZNS1_14transform_implILb0ES3_S5_N6thrust23THRUST_200600_302600_NS6detail15normal_iteratorINS8_7pointerIaNS8_11hip_rocprim3tagENS8_11use_defaultESE_EEEENSA_INSB_IiSD_SE_SE_EEEEZNS1_13binary_searchIS3_S5_NSA_INS8_10device_ptrIaEEEESG_SI_NS1_16binary_search_opENS9_16wrapped_functionINS8_7greaterIaEEbEEEE10hipError_tPvRmT1_T2_T3_mmT4_T5_P12ihipStream_tbEUlRKaE_EESS_SW_SX_mSY_S11_bEUlT_E_NS1_11comp_targetILNS1_3genE9ELNS1_11target_archE1100ELNS1_3gpuE3ELNS1_3repE0EEENS1_30default_config_static_selectorELNS0_4arch9wavefront6targetE0EEEvSV_
                                        ; -- End function
	.set _ZN7rocprim17ROCPRIM_400000_NS6detail17trampoline_kernelINS0_14default_configENS1_29binary_search_config_selectorIaiEEZNS1_14transform_implILb0ES3_S5_N6thrust23THRUST_200600_302600_NS6detail15normal_iteratorINS8_7pointerIaNS8_11hip_rocprim3tagENS8_11use_defaultESE_EEEENSA_INSB_IiSD_SE_SE_EEEEZNS1_13binary_searchIS3_S5_NSA_INS8_10device_ptrIaEEEESG_SI_NS1_16binary_search_opENS9_16wrapped_functionINS8_7greaterIaEEbEEEE10hipError_tPvRmT1_T2_T3_mmT4_T5_P12ihipStream_tbEUlRKaE_EESS_SW_SX_mSY_S11_bEUlT_E_NS1_11comp_targetILNS1_3genE9ELNS1_11target_archE1100ELNS1_3gpuE3ELNS1_3repE0EEENS1_30default_config_static_selectorELNS0_4arch9wavefront6targetE0EEEvSV_.num_vgpr, 0
	.set _ZN7rocprim17ROCPRIM_400000_NS6detail17trampoline_kernelINS0_14default_configENS1_29binary_search_config_selectorIaiEEZNS1_14transform_implILb0ES3_S5_N6thrust23THRUST_200600_302600_NS6detail15normal_iteratorINS8_7pointerIaNS8_11hip_rocprim3tagENS8_11use_defaultESE_EEEENSA_INSB_IiSD_SE_SE_EEEEZNS1_13binary_searchIS3_S5_NSA_INS8_10device_ptrIaEEEESG_SI_NS1_16binary_search_opENS9_16wrapped_functionINS8_7greaterIaEEbEEEE10hipError_tPvRmT1_T2_T3_mmT4_T5_P12ihipStream_tbEUlRKaE_EESS_SW_SX_mSY_S11_bEUlT_E_NS1_11comp_targetILNS1_3genE9ELNS1_11target_archE1100ELNS1_3gpuE3ELNS1_3repE0EEENS1_30default_config_static_selectorELNS0_4arch9wavefront6targetE0EEEvSV_.num_agpr, 0
	.set _ZN7rocprim17ROCPRIM_400000_NS6detail17trampoline_kernelINS0_14default_configENS1_29binary_search_config_selectorIaiEEZNS1_14transform_implILb0ES3_S5_N6thrust23THRUST_200600_302600_NS6detail15normal_iteratorINS8_7pointerIaNS8_11hip_rocprim3tagENS8_11use_defaultESE_EEEENSA_INSB_IiSD_SE_SE_EEEEZNS1_13binary_searchIS3_S5_NSA_INS8_10device_ptrIaEEEESG_SI_NS1_16binary_search_opENS9_16wrapped_functionINS8_7greaterIaEEbEEEE10hipError_tPvRmT1_T2_T3_mmT4_T5_P12ihipStream_tbEUlRKaE_EESS_SW_SX_mSY_S11_bEUlT_E_NS1_11comp_targetILNS1_3genE9ELNS1_11target_archE1100ELNS1_3gpuE3ELNS1_3repE0EEENS1_30default_config_static_selectorELNS0_4arch9wavefront6targetE0EEEvSV_.numbered_sgpr, 0
	.set _ZN7rocprim17ROCPRIM_400000_NS6detail17trampoline_kernelINS0_14default_configENS1_29binary_search_config_selectorIaiEEZNS1_14transform_implILb0ES3_S5_N6thrust23THRUST_200600_302600_NS6detail15normal_iteratorINS8_7pointerIaNS8_11hip_rocprim3tagENS8_11use_defaultESE_EEEENSA_INSB_IiSD_SE_SE_EEEEZNS1_13binary_searchIS3_S5_NSA_INS8_10device_ptrIaEEEESG_SI_NS1_16binary_search_opENS9_16wrapped_functionINS8_7greaterIaEEbEEEE10hipError_tPvRmT1_T2_T3_mmT4_T5_P12ihipStream_tbEUlRKaE_EESS_SW_SX_mSY_S11_bEUlT_E_NS1_11comp_targetILNS1_3genE9ELNS1_11target_archE1100ELNS1_3gpuE3ELNS1_3repE0EEENS1_30default_config_static_selectorELNS0_4arch9wavefront6targetE0EEEvSV_.num_named_barrier, 0
	.set _ZN7rocprim17ROCPRIM_400000_NS6detail17trampoline_kernelINS0_14default_configENS1_29binary_search_config_selectorIaiEEZNS1_14transform_implILb0ES3_S5_N6thrust23THRUST_200600_302600_NS6detail15normal_iteratorINS8_7pointerIaNS8_11hip_rocprim3tagENS8_11use_defaultESE_EEEENSA_INSB_IiSD_SE_SE_EEEEZNS1_13binary_searchIS3_S5_NSA_INS8_10device_ptrIaEEEESG_SI_NS1_16binary_search_opENS9_16wrapped_functionINS8_7greaterIaEEbEEEE10hipError_tPvRmT1_T2_T3_mmT4_T5_P12ihipStream_tbEUlRKaE_EESS_SW_SX_mSY_S11_bEUlT_E_NS1_11comp_targetILNS1_3genE9ELNS1_11target_archE1100ELNS1_3gpuE3ELNS1_3repE0EEENS1_30default_config_static_selectorELNS0_4arch9wavefront6targetE0EEEvSV_.private_seg_size, 0
	.set _ZN7rocprim17ROCPRIM_400000_NS6detail17trampoline_kernelINS0_14default_configENS1_29binary_search_config_selectorIaiEEZNS1_14transform_implILb0ES3_S5_N6thrust23THRUST_200600_302600_NS6detail15normal_iteratorINS8_7pointerIaNS8_11hip_rocprim3tagENS8_11use_defaultESE_EEEENSA_INSB_IiSD_SE_SE_EEEEZNS1_13binary_searchIS3_S5_NSA_INS8_10device_ptrIaEEEESG_SI_NS1_16binary_search_opENS9_16wrapped_functionINS8_7greaterIaEEbEEEE10hipError_tPvRmT1_T2_T3_mmT4_T5_P12ihipStream_tbEUlRKaE_EESS_SW_SX_mSY_S11_bEUlT_E_NS1_11comp_targetILNS1_3genE9ELNS1_11target_archE1100ELNS1_3gpuE3ELNS1_3repE0EEENS1_30default_config_static_selectorELNS0_4arch9wavefront6targetE0EEEvSV_.uses_vcc, 0
	.set _ZN7rocprim17ROCPRIM_400000_NS6detail17trampoline_kernelINS0_14default_configENS1_29binary_search_config_selectorIaiEEZNS1_14transform_implILb0ES3_S5_N6thrust23THRUST_200600_302600_NS6detail15normal_iteratorINS8_7pointerIaNS8_11hip_rocprim3tagENS8_11use_defaultESE_EEEENSA_INSB_IiSD_SE_SE_EEEEZNS1_13binary_searchIS3_S5_NSA_INS8_10device_ptrIaEEEESG_SI_NS1_16binary_search_opENS9_16wrapped_functionINS8_7greaterIaEEbEEEE10hipError_tPvRmT1_T2_T3_mmT4_T5_P12ihipStream_tbEUlRKaE_EESS_SW_SX_mSY_S11_bEUlT_E_NS1_11comp_targetILNS1_3genE9ELNS1_11target_archE1100ELNS1_3gpuE3ELNS1_3repE0EEENS1_30default_config_static_selectorELNS0_4arch9wavefront6targetE0EEEvSV_.uses_flat_scratch, 0
	.set _ZN7rocprim17ROCPRIM_400000_NS6detail17trampoline_kernelINS0_14default_configENS1_29binary_search_config_selectorIaiEEZNS1_14transform_implILb0ES3_S5_N6thrust23THRUST_200600_302600_NS6detail15normal_iteratorINS8_7pointerIaNS8_11hip_rocprim3tagENS8_11use_defaultESE_EEEENSA_INSB_IiSD_SE_SE_EEEEZNS1_13binary_searchIS3_S5_NSA_INS8_10device_ptrIaEEEESG_SI_NS1_16binary_search_opENS9_16wrapped_functionINS8_7greaterIaEEbEEEE10hipError_tPvRmT1_T2_T3_mmT4_T5_P12ihipStream_tbEUlRKaE_EESS_SW_SX_mSY_S11_bEUlT_E_NS1_11comp_targetILNS1_3genE9ELNS1_11target_archE1100ELNS1_3gpuE3ELNS1_3repE0EEENS1_30default_config_static_selectorELNS0_4arch9wavefront6targetE0EEEvSV_.has_dyn_sized_stack, 0
	.set _ZN7rocprim17ROCPRIM_400000_NS6detail17trampoline_kernelINS0_14default_configENS1_29binary_search_config_selectorIaiEEZNS1_14transform_implILb0ES3_S5_N6thrust23THRUST_200600_302600_NS6detail15normal_iteratorINS8_7pointerIaNS8_11hip_rocprim3tagENS8_11use_defaultESE_EEEENSA_INSB_IiSD_SE_SE_EEEEZNS1_13binary_searchIS3_S5_NSA_INS8_10device_ptrIaEEEESG_SI_NS1_16binary_search_opENS9_16wrapped_functionINS8_7greaterIaEEbEEEE10hipError_tPvRmT1_T2_T3_mmT4_T5_P12ihipStream_tbEUlRKaE_EESS_SW_SX_mSY_S11_bEUlT_E_NS1_11comp_targetILNS1_3genE9ELNS1_11target_archE1100ELNS1_3gpuE3ELNS1_3repE0EEENS1_30default_config_static_selectorELNS0_4arch9wavefront6targetE0EEEvSV_.has_recursion, 0
	.set _ZN7rocprim17ROCPRIM_400000_NS6detail17trampoline_kernelINS0_14default_configENS1_29binary_search_config_selectorIaiEEZNS1_14transform_implILb0ES3_S5_N6thrust23THRUST_200600_302600_NS6detail15normal_iteratorINS8_7pointerIaNS8_11hip_rocprim3tagENS8_11use_defaultESE_EEEENSA_INSB_IiSD_SE_SE_EEEEZNS1_13binary_searchIS3_S5_NSA_INS8_10device_ptrIaEEEESG_SI_NS1_16binary_search_opENS9_16wrapped_functionINS8_7greaterIaEEbEEEE10hipError_tPvRmT1_T2_T3_mmT4_T5_P12ihipStream_tbEUlRKaE_EESS_SW_SX_mSY_S11_bEUlT_E_NS1_11comp_targetILNS1_3genE9ELNS1_11target_archE1100ELNS1_3gpuE3ELNS1_3repE0EEENS1_30default_config_static_selectorELNS0_4arch9wavefront6targetE0EEEvSV_.has_indirect_call, 0
	.section	.AMDGPU.csdata,"",@progbits
; Kernel info:
; codeLenInByte = 0
; TotalNumSgprs: 0
; NumVgprs: 0
; ScratchSize: 0
; MemoryBound: 0
; FloatMode: 240
; IeeeMode: 1
; LDSByteSize: 0 bytes/workgroup (compile time only)
; SGPRBlocks: 0
; VGPRBlocks: 0
; NumSGPRsForWavesPerEU: 1
; NumVGPRsForWavesPerEU: 1
; NamedBarCnt: 0
; Occupancy: 16
; WaveLimiterHint : 0
; COMPUTE_PGM_RSRC2:SCRATCH_EN: 0
; COMPUTE_PGM_RSRC2:USER_SGPR: 2
; COMPUTE_PGM_RSRC2:TRAP_HANDLER: 0
; COMPUTE_PGM_RSRC2:TGID_X_EN: 1
; COMPUTE_PGM_RSRC2:TGID_Y_EN: 0
; COMPUTE_PGM_RSRC2:TGID_Z_EN: 0
; COMPUTE_PGM_RSRC2:TIDIG_COMP_CNT: 0
	.section	.text._ZN7rocprim17ROCPRIM_400000_NS6detail17trampoline_kernelINS0_14default_configENS1_29binary_search_config_selectorIaiEEZNS1_14transform_implILb0ES3_S5_N6thrust23THRUST_200600_302600_NS6detail15normal_iteratorINS8_7pointerIaNS8_11hip_rocprim3tagENS8_11use_defaultESE_EEEENSA_INSB_IiSD_SE_SE_EEEEZNS1_13binary_searchIS3_S5_NSA_INS8_10device_ptrIaEEEESG_SI_NS1_16binary_search_opENS9_16wrapped_functionINS8_7greaterIaEEbEEEE10hipError_tPvRmT1_T2_T3_mmT4_T5_P12ihipStream_tbEUlRKaE_EESS_SW_SX_mSY_S11_bEUlT_E_NS1_11comp_targetILNS1_3genE8ELNS1_11target_archE1030ELNS1_3gpuE2ELNS1_3repE0EEENS1_30default_config_static_selectorELNS0_4arch9wavefront6targetE0EEEvSV_,"axG",@progbits,_ZN7rocprim17ROCPRIM_400000_NS6detail17trampoline_kernelINS0_14default_configENS1_29binary_search_config_selectorIaiEEZNS1_14transform_implILb0ES3_S5_N6thrust23THRUST_200600_302600_NS6detail15normal_iteratorINS8_7pointerIaNS8_11hip_rocprim3tagENS8_11use_defaultESE_EEEENSA_INSB_IiSD_SE_SE_EEEEZNS1_13binary_searchIS3_S5_NSA_INS8_10device_ptrIaEEEESG_SI_NS1_16binary_search_opENS9_16wrapped_functionINS8_7greaterIaEEbEEEE10hipError_tPvRmT1_T2_T3_mmT4_T5_P12ihipStream_tbEUlRKaE_EESS_SW_SX_mSY_S11_bEUlT_E_NS1_11comp_targetILNS1_3genE8ELNS1_11target_archE1030ELNS1_3gpuE2ELNS1_3repE0EEENS1_30default_config_static_selectorELNS0_4arch9wavefront6targetE0EEEvSV_,comdat
	.protected	_ZN7rocprim17ROCPRIM_400000_NS6detail17trampoline_kernelINS0_14default_configENS1_29binary_search_config_selectorIaiEEZNS1_14transform_implILb0ES3_S5_N6thrust23THRUST_200600_302600_NS6detail15normal_iteratorINS8_7pointerIaNS8_11hip_rocprim3tagENS8_11use_defaultESE_EEEENSA_INSB_IiSD_SE_SE_EEEEZNS1_13binary_searchIS3_S5_NSA_INS8_10device_ptrIaEEEESG_SI_NS1_16binary_search_opENS9_16wrapped_functionINS8_7greaterIaEEbEEEE10hipError_tPvRmT1_T2_T3_mmT4_T5_P12ihipStream_tbEUlRKaE_EESS_SW_SX_mSY_S11_bEUlT_E_NS1_11comp_targetILNS1_3genE8ELNS1_11target_archE1030ELNS1_3gpuE2ELNS1_3repE0EEENS1_30default_config_static_selectorELNS0_4arch9wavefront6targetE0EEEvSV_ ; -- Begin function _ZN7rocprim17ROCPRIM_400000_NS6detail17trampoline_kernelINS0_14default_configENS1_29binary_search_config_selectorIaiEEZNS1_14transform_implILb0ES3_S5_N6thrust23THRUST_200600_302600_NS6detail15normal_iteratorINS8_7pointerIaNS8_11hip_rocprim3tagENS8_11use_defaultESE_EEEENSA_INSB_IiSD_SE_SE_EEEEZNS1_13binary_searchIS3_S5_NSA_INS8_10device_ptrIaEEEESG_SI_NS1_16binary_search_opENS9_16wrapped_functionINS8_7greaterIaEEbEEEE10hipError_tPvRmT1_T2_T3_mmT4_T5_P12ihipStream_tbEUlRKaE_EESS_SW_SX_mSY_S11_bEUlT_E_NS1_11comp_targetILNS1_3genE8ELNS1_11target_archE1030ELNS1_3gpuE2ELNS1_3repE0EEENS1_30default_config_static_selectorELNS0_4arch9wavefront6targetE0EEEvSV_
	.globl	_ZN7rocprim17ROCPRIM_400000_NS6detail17trampoline_kernelINS0_14default_configENS1_29binary_search_config_selectorIaiEEZNS1_14transform_implILb0ES3_S5_N6thrust23THRUST_200600_302600_NS6detail15normal_iteratorINS8_7pointerIaNS8_11hip_rocprim3tagENS8_11use_defaultESE_EEEENSA_INSB_IiSD_SE_SE_EEEEZNS1_13binary_searchIS3_S5_NSA_INS8_10device_ptrIaEEEESG_SI_NS1_16binary_search_opENS9_16wrapped_functionINS8_7greaterIaEEbEEEE10hipError_tPvRmT1_T2_T3_mmT4_T5_P12ihipStream_tbEUlRKaE_EESS_SW_SX_mSY_S11_bEUlT_E_NS1_11comp_targetILNS1_3genE8ELNS1_11target_archE1030ELNS1_3gpuE2ELNS1_3repE0EEENS1_30default_config_static_selectorELNS0_4arch9wavefront6targetE0EEEvSV_
	.p2align	8
	.type	_ZN7rocprim17ROCPRIM_400000_NS6detail17trampoline_kernelINS0_14default_configENS1_29binary_search_config_selectorIaiEEZNS1_14transform_implILb0ES3_S5_N6thrust23THRUST_200600_302600_NS6detail15normal_iteratorINS8_7pointerIaNS8_11hip_rocprim3tagENS8_11use_defaultESE_EEEENSA_INSB_IiSD_SE_SE_EEEEZNS1_13binary_searchIS3_S5_NSA_INS8_10device_ptrIaEEEESG_SI_NS1_16binary_search_opENS9_16wrapped_functionINS8_7greaterIaEEbEEEE10hipError_tPvRmT1_T2_T3_mmT4_T5_P12ihipStream_tbEUlRKaE_EESS_SW_SX_mSY_S11_bEUlT_E_NS1_11comp_targetILNS1_3genE8ELNS1_11target_archE1030ELNS1_3gpuE2ELNS1_3repE0EEENS1_30default_config_static_selectorELNS0_4arch9wavefront6targetE0EEEvSV_,@function
_ZN7rocprim17ROCPRIM_400000_NS6detail17trampoline_kernelINS0_14default_configENS1_29binary_search_config_selectorIaiEEZNS1_14transform_implILb0ES3_S5_N6thrust23THRUST_200600_302600_NS6detail15normal_iteratorINS8_7pointerIaNS8_11hip_rocprim3tagENS8_11use_defaultESE_EEEENSA_INSB_IiSD_SE_SE_EEEEZNS1_13binary_searchIS3_S5_NSA_INS8_10device_ptrIaEEEESG_SI_NS1_16binary_search_opENS9_16wrapped_functionINS8_7greaterIaEEbEEEE10hipError_tPvRmT1_T2_T3_mmT4_T5_P12ihipStream_tbEUlRKaE_EESS_SW_SX_mSY_S11_bEUlT_E_NS1_11comp_targetILNS1_3genE8ELNS1_11target_archE1030ELNS1_3gpuE2ELNS1_3repE0EEENS1_30default_config_static_selectorELNS0_4arch9wavefront6targetE0EEEvSV_: ; @_ZN7rocprim17ROCPRIM_400000_NS6detail17trampoline_kernelINS0_14default_configENS1_29binary_search_config_selectorIaiEEZNS1_14transform_implILb0ES3_S5_N6thrust23THRUST_200600_302600_NS6detail15normal_iteratorINS8_7pointerIaNS8_11hip_rocprim3tagENS8_11use_defaultESE_EEEENSA_INSB_IiSD_SE_SE_EEEEZNS1_13binary_searchIS3_S5_NSA_INS8_10device_ptrIaEEEESG_SI_NS1_16binary_search_opENS9_16wrapped_functionINS8_7greaterIaEEbEEEE10hipError_tPvRmT1_T2_T3_mmT4_T5_P12ihipStream_tbEUlRKaE_EESS_SW_SX_mSY_S11_bEUlT_E_NS1_11comp_targetILNS1_3genE8ELNS1_11target_archE1030ELNS1_3gpuE2ELNS1_3repE0EEENS1_30default_config_static_selectorELNS0_4arch9wavefront6targetE0EEEvSV_
; %bb.0:
	.section	.rodata,"a",@progbits
	.p2align	6, 0x0
	.amdhsa_kernel _ZN7rocprim17ROCPRIM_400000_NS6detail17trampoline_kernelINS0_14default_configENS1_29binary_search_config_selectorIaiEEZNS1_14transform_implILb0ES3_S5_N6thrust23THRUST_200600_302600_NS6detail15normal_iteratorINS8_7pointerIaNS8_11hip_rocprim3tagENS8_11use_defaultESE_EEEENSA_INSB_IiSD_SE_SE_EEEEZNS1_13binary_searchIS3_S5_NSA_INS8_10device_ptrIaEEEESG_SI_NS1_16binary_search_opENS9_16wrapped_functionINS8_7greaterIaEEbEEEE10hipError_tPvRmT1_T2_T3_mmT4_T5_P12ihipStream_tbEUlRKaE_EESS_SW_SX_mSY_S11_bEUlT_E_NS1_11comp_targetILNS1_3genE8ELNS1_11target_archE1030ELNS1_3gpuE2ELNS1_3repE0EEENS1_30default_config_static_selectorELNS0_4arch9wavefront6targetE0EEEvSV_
		.amdhsa_group_segment_fixed_size 0
		.amdhsa_private_segment_fixed_size 0
		.amdhsa_kernarg_size 56
		.amdhsa_user_sgpr_count 2
		.amdhsa_user_sgpr_dispatch_ptr 0
		.amdhsa_user_sgpr_queue_ptr 0
		.amdhsa_user_sgpr_kernarg_segment_ptr 1
		.amdhsa_user_sgpr_dispatch_id 0
		.amdhsa_user_sgpr_kernarg_preload_length 0
		.amdhsa_user_sgpr_kernarg_preload_offset 0
		.amdhsa_user_sgpr_private_segment_size 0
		.amdhsa_wavefront_size32 1
		.amdhsa_uses_dynamic_stack 0
		.amdhsa_enable_private_segment 0
		.amdhsa_system_sgpr_workgroup_id_x 1
		.amdhsa_system_sgpr_workgroup_id_y 0
		.amdhsa_system_sgpr_workgroup_id_z 0
		.amdhsa_system_sgpr_workgroup_info 0
		.amdhsa_system_vgpr_workitem_id 0
		.amdhsa_next_free_vgpr 1
		.amdhsa_next_free_sgpr 1
		.amdhsa_named_barrier_count 0
		.amdhsa_reserve_vcc 0
		.amdhsa_float_round_mode_32 0
		.amdhsa_float_round_mode_16_64 0
		.amdhsa_float_denorm_mode_32 3
		.amdhsa_float_denorm_mode_16_64 3
		.amdhsa_fp16_overflow 0
		.amdhsa_memory_ordered 1
		.amdhsa_forward_progress 1
		.amdhsa_inst_pref_size 0
		.amdhsa_round_robin_scheduling 0
		.amdhsa_exception_fp_ieee_invalid_op 0
		.amdhsa_exception_fp_denorm_src 0
		.amdhsa_exception_fp_ieee_div_zero 0
		.amdhsa_exception_fp_ieee_overflow 0
		.amdhsa_exception_fp_ieee_underflow 0
		.amdhsa_exception_fp_ieee_inexact 0
		.amdhsa_exception_int_div_zero 0
	.end_amdhsa_kernel
	.section	.text._ZN7rocprim17ROCPRIM_400000_NS6detail17trampoline_kernelINS0_14default_configENS1_29binary_search_config_selectorIaiEEZNS1_14transform_implILb0ES3_S5_N6thrust23THRUST_200600_302600_NS6detail15normal_iteratorINS8_7pointerIaNS8_11hip_rocprim3tagENS8_11use_defaultESE_EEEENSA_INSB_IiSD_SE_SE_EEEEZNS1_13binary_searchIS3_S5_NSA_INS8_10device_ptrIaEEEESG_SI_NS1_16binary_search_opENS9_16wrapped_functionINS8_7greaterIaEEbEEEE10hipError_tPvRmT1_T2_T3_mmT4_T5_P12ihipStream_tbEUlRKaE_EESS_SW_SX_mSY_S11_bEUlT_E_NS1_11comp_targetILNS1_3genE8ELNS1_11target_archE1030ELNS1_3gpuE2ELNS1_3repE0EEENS1_30default_config_static_selectorELNS0_4arch9wavefront6targetE0EEEvSV_,"axG",@progbits,_ZN7rocprim17ROCPRIM_400000_NS6detail17trampoline_kernelINS0_14default_configENS1_29binary_search_config_selectorIaiEEZNS1_14transform_implILb0ES3_S5_N6thrust23THRUST_200600_302600_NS6detail15normal_iteratorINS8_7pointerIaNS8_11hip_rocprim3tagENS8_11use_defaultESE_EEEENSA_INSB_IiSD_SE_SE_EEEEZNS1_13binary_searchIS3_S5_NSA_INS8_10device_ptrIaEEEESG_SI_NS1_16binary_search_opENS9_16wrapped_functionINS8_7greaterIaEEbEEEE10hipError_tPvRmT1_T2_T3_mmT4_T5_P12ihipStream_tbEUlRKaE_EESS_SW_SX_mSY_S11_bEUlT_E_NS1_11comp_targetILNS1_3genE8ELNS1_11target_archE1030ELNS1_3gpuE2ELNS1_3repE0EEENS1_30default_config_static_selectorELNS0_4arch9wavefront6targetE0EEEvSV_,comdat
.Lfunc_end148:
	.size	_ZN7rocprim17ROCPRIM_400000_NS6detail17trampoline_kernelINS0_14default_configENS1_29binary_search_config_selectorIaiEEZNS1_14transform_implILb0ES3_S5_N6thrust23THRUST_200600_302600_NS6detail15normal_iteratorINS8_7pointerIaNS8_11hip_rocprim3tagENS8_11use_defaultESE_EEEENSA_INSB_IiSD_SE_SE_EEEEZNS1_13binary_searchIS3_S5_NSA_INS8_10device_ptrIaEEEESG_SI_NS1_16binary_search_opENS9_16wrapped_functionINS8_7greaterIaEEbEEEE10hipError_tPvRmT1_T2_T3_mmT4_T5_P12ihipStream_tbEUlRKaE_EESS_SW_SX_mSY_S11_bEUlT_E_NS1_11comp_targetILNS1_3genE8ELNS1_11target_archE1030ELNS1_3gpuE2ELNS1_3repE0EEENS1_30default_config_static_selectorELNS0_4arch9wavefront6targetE0EEEvSV_, .Lfunc_end148-_ZN7rocprim17ROCPRIM_400000_NS6detail17trampoline_kernelINS0_14default_configENS1_29binary_search_config_selectorIaiEEZNS1_14transform_implILb0ES3_S5_N6thrust23THRUST_200600_302600_NS6detail15normal_iteratorINS8_7pointerIaNS8_11hip_rocprim3tagENS8_11use_defaultESE_EEEENSA_INSB_IiSD_SE_SE_EEEEZNS1_13binary_searchIS3_S5_NSA_INS8_10device_ptrIaEEEESG_SI_NS1_16binary_search_opENS9_16wrapped_functionINS8_7greaterIaEEbEEEE10hipError_tPvRmT1_T2_T3_mmT4_T5_P12ihipStream_tbEUlRKaE_EESS_SW_SX_mSY_S11_bEUlT_E_NS1_11comp_targetILNS1_3genE8ELNS1_11target_archE1030ELNS1_3gpuE2ELNS1_3repE0EEENS1_30default_config_static_selectorELNS0_4arch9wavefront6targetE0EEEvSV_
                                        ; -- End function
	.set _ZN7rocprim17ROCPRIM_400000_NS6detail17trampoline_kernelINS0_14default_configENS1_29binary_search_config_selectorIaiEEZNS1_14transform_implILb0ES3_S5_N6thrust23THRUST_200600_302600_NS6detail15normal_iteratorINS8_7pointerIaNS8_11hip_rocprim3tagENS8_11use_defaultESE_EEEENSA_INSB_IiSD_SE_SE_EEEEZNS1_13binary_searchIS3_S5_NSA_INS8_10device_ptrIaEEEESG_SI_NS1_16binary_search_opENS9_16wrapped_functionINS8_7greaterIaEEbEEEE10hipError_tPvRmT1_T2_T3_mmT4_T5_P12ihipStream_tbEUlRKaE_EESS_SW_SX_mSY_S11_bEUlT_E_NS1_11comp_targetILNS1_3genE8ELNS1_11target_archE1030ELNS1_3gpuE2ELNS1_3repE0EEENS1_30default_config_static_selectorELNS0_4arch9wavefront6targetE0EEEvSV_.num_vgpr, 0
	.set _ZN7rocprim17ROCPRIM_400000_NS6detail17trampoline_kernelINS0_14default_configENS1_29binary_search_config_selectorIaiEEZNS1_14transform_implILb0ES3_S5_N6thrust23THRUST_200600_302600_NS6detail15normal_iteratorINS8_7pointerIaNS8_11hip_rocprim3tagENS8_11use_defaultESE_EEEENSA_INSB_IiSD_SE_SE_EEEEZNS1_13binary_searchIS3_S5_NSA_INS8_10device_ptrIaEEEESG_SI_NS1_16binary_search_opENS9_16wrapped_functionINS8_7greaterIaEEbEEEE10hipError_tPvRmT1_T2_T3_mmT4_T5_P12ihipStream_tbEUlRKaE_EESS_SW_SX_mSY_S11_bEUlT_E_NS1_11comp_targetILNS1_3genE8ELNS1_11target_archE1030ELNS1_3gpuE2ELNS1_3repE0EEENS1_30default_config_static_selectorELNS0_4arch9wavefront6targetE0EEEvSV_.num_agpr, 0
	.set _ZN7rocprim17ROCPRIM_400000_NS6detail17trampoline_kernelINS0_14default_configENS1_29binary_search_config_selectorIaiEEZNS1_14transform_implILb0ES3_S5_N6thrust23THRUST_200600_302600_NS6detail15normal_iteratorINS8_7pointerIaNS8_11hip_rocprim3tagENS8_11use_defaultESE_EEEENSA_INSB_IiSD_SE_SE_EEEEZNS1_13binary_searchIS3_S5_NSA_INS8_10device_ptrIaEEEESG_SI_NS1_16binary_search_opENS9_16wrapped_functionINS8_7greaterIaEEbEEEE10hipError_tPvRmT1_T2_T3_mmT4_T5_P12ihipStream_tbEUlRKaE_EESS_SW_SX_mSY_S11_bEUlT_E_NS1_11comp_targetILNS1_3genE8ELNS1_11target_archE1030ELNS1_3gpuE2ELNS1_3repE0EEENS1_30default_config_static_selectorELNS0_4arch9wavefront6targetE0EEEvSV_.numbered_sgpr, 0
	.set _ZN7rocprim17ROCPRIM_400000_NS6detail17trampoline_kernelINS0_14default_configENS1_29binary_search_config_selectorIaiEEZNS1_14transform_implILb0ES3_S5_N6thrust23THRUST_200600_302600_NS6detail15normal_iteratorINS8_7pointerIaNS8_11hip_rocprim3tagENS8_11use_defaultESE_EEEENSA_INSB_IiSD_SE_SE_EEEEZNS1_13binary_searchIS3_S5_NSA_INS8_10device_ptrIaEEEESG_SI_NS1_16binary_search_opENS9_16wrapped_functionINS8_7greaterIaEEbEEEE10hipError_tPvRmT1_T2_T3_mmT4_T5_P12ihipStream_tbEUlRKaE_EESS_SW_SX_mSY_S11_bEUlT_E_NS1_11comp_targetILNS1_3genE8ELNS1_11target_archE1030ELNS1_3gpuE2ELNS1_3repE0EEENS1_30default_config_static_selectorELNS0_4arch9wavefront6targetE0EEEvSV_.num_named_barrier, 0
	.set _ZN7rocprim17ROCPRIM_400000_NS6detail17trampoline_kernelINS0_14default_configENS1_29binary_search_config_selectorIaiEEZNS1_14transform_implILb0ES3_S5_N6thrust23THRUST_200600_302600_NS6detail15normal_iteratorINS8_7pointerIaNS8_11hip_rocprim3tagENS8_11use_defaultESE_EEEENSA_INSB_IiSD_SE_SE_EEEEZNS1_13binary_searchIS3_S5_NSA_INS8_10device_ptrIaEEEESG_SI_NS1_16binary_search_opENS9_16wrapped_functionINS8_7greaterIaEEbEEEE10hipError_tPvRmT1_T2_T3_mmT4_T5_P12ihipStream_tbEUlRKaE_EESS_SW_SX_mSY_S11_bEUlT_E_NS1_11comp_targetILNS1_3genE8ELNS1_11target_archE1030ELNS1_3gpuE2ELNS1_3repE0EEENS1_30default_config_static_selectorELNS0_4arch9wavefront6targetE0EEEvSV_.private_seg_size, 0
	.set _ZN7rocprim17ROCPRIM_400000_NS6detail17trampoline_kernelINS0_14default_configENS1_29binary_search_config_selectorIaiEEZNS1_14transform_implILb0ES3_S5_N6thrust23THRUST_200600_302600_NS6detail15normal_iteratorINS8_7pointerIaNS8_11hip_rocprim3tagENS8_11use_defaultESE_EEEENSA_INSB_IiSD_SE_SE_EEEEZNS1_13binary_searchIS3_S5_NSA_INS8_10device_ptrIaEEEESG_SI_NS1_16binary_search_opENS9_16wrapped_functionINS8_7greaterIaEEbEEEE10hipError_tPvRmT1_T2_T3_mmT4_T5_P12ihipStream_tbEUlRKaE_EESS_SW_SX_mSY_S11_bEUlT_E_NS1_11comp_targetILNS1_3genE8ELNS1_11target_archE1030ELNS1_3gpuE2ELNS1_3repE0EEENS1_30default_config_static_selectorELNS0_4arch9wavefront6targetE0EEEvSV_.uses_vcc, 0
	.set _ZN7rocprim17ROCPRIM_400000_NS6detail17trampoline_kernelINS0_14default_configENS1_29binary_search_config_selectorIaiEEZNS1_14transform_implILb0ES3_S5_N6thrust23THRUST_200600_302600_NS6detail15normal_iteratorINS8_7pointerIaNS8_11hip_rocprim3tagENS8_11use_defaultESE_EEEENSA_INSB_IiSD_SE_SE_EEEEZNS1_13binary_searchIS3_S5_NSA_INS8_10device_ptrIaEEEESG_SI_NS1_16binary_search_opENS9_16wrapped_functionINS8_7greaterIaEEbEEEE10hipError_tPvRmT1_T2_T3_mmT4_T5_P12ihipStream_tbEUlRKaE_EESS_SW_SX_mSY_S11_bEUlT_E_NS1_11comp_targetILNS1_3genE8ELNS1_11target_archE1030ELNS1_3gpuE2ELNS1_3repE0EEENS1_30default_config_static_selectorELNS0_4arch9wavefront6targetE0EEEvSV_.uses_flat_scratch, 0
	.set _ZN7rocprim17ROCPRIM_400000_NS6detail17trampoline_kernelINS0_14default_configENS1_29binary_search_config_selectorIaiEEZNS1_14transform_implILb0ES3_S5_N6thrust23THRUST_200600_302600_NS6detail15normal_iteratorINS8_7pointerIaNS8_11hip_rocprim3tagENS8_11use_defaultESE_EEEENSA_INSB_IiSD_SE_SE_EEEEZNS1_13binary_searchIS3_S5_NSA_INS8_10device_ptrIaEEEESG_SI_NS1_16binary_search_opENS9_16wrapped_functionINS8_7greaterIaEEbEEEE10hipError_tPvRmT1_T2_T3_mmT4_T5_P12ihipStream_tbEUlRKaE_EESS_SW_SX_mSY_S11_bEUlT_E_NS1_11comp_targetILNS1_3genE8ELNS1_11target_archE1030ELNS1_3gpuE2ELNS1_3repE0EEENS1_30default_config_static_selectorELNS0_4arch9wavefront6targetE0EEEvSV_.has_dyn_sized_stack, 0
	.set _ZN7rocprim17ROCPRIM_400000_NS6detail17trampoline_kernelINS0_14default_configENS1_29binary_search_config_selectorIaiEEZNS1_14transform_implILb0ES3_S5_N6thrust23THRUST_200600_302600_NS6detail15normal_iteratorINS8_7pointerIaNS8_11hip_rocprim3tagENS8_11use_defaultESE_EEEENSA_INSB_IiSD_SE_SE_EEEEZNS1_13binary_searchIS3_S5_NSA_INS8_10device_ptrIaEEEESG_SI_NS1_16binary_search_opENS9_16wrapped_functionINS8_7greaterIaEEbEEEE10hipError_tPvRmT1_T2_T3_mmT4_T5_P12ihipStream_tbEUlRKaE_EESS_SW_SX_mSY_S11_bEUlT_E_NS1_11comp_targetILNS1_3genE8ELNS1_11target_archE1030ELNS1_3gpuE2ELNS1_3repE0EEENS1_30default_config_static_selectorELNS0_4arch9wavefront6targetE0EEEvSV_.has_recursion, 0
	.set _ZN7rocprim17ROCPRIM_400000_NS6detail17trampoline_kernelINS0_14default_configENS1_29binary_search_config_selectorIaiEEZNS1_14transform_implILb0ES3_S5_N6thrust23THRUST_200600_302600_NS6detail15normal_iteratorINS8_7pointerIaNS8_11hip_rocprim3tagENS8_11use_defaultESE_EEEENSA_INSB_IiSD_SE_SE_EEEEZNS1_13binary_searchIS3_S5_NSA_INS8_10device_ptrIaEEEESG_SI_NS1_16binary_search_opENS9_16wrapped_functionINS8_7greaterIaEEbEEEE10hipError_tPvRmT1_T2_T3_mmT4_T5_P12ihipStream_tbEUlRKaE_EESS_SW_SX_mSY_S11_bEUlT_E_NS1_11comp_targetILNS1_3genE8ELNS1_11target_archE1030ELNS1_3gpuE2ELNS1_3repE0EEENS1_30default_config_static_selectorELNS0_4arch9wavefront6targetE0EEEvSV_.has_indirect_call, 0
	.section	.AMDGPU.csdata,"",@progbits
; Kernel info:
; codeLenInByte = 0
; TotalNumSgprs: 0
; NumVgprs: 0
; ScratchSize: 0
; MemoryBound: 0
; FloatMode: 240
; IeeeMode: 1
; LDSByteSize: 0 bytes/workgroup (compile time only)
; SGPRBlocks: 0
; VGPRBlocks: 0
; NumSGPRsForWavesPerEU: 1
; NumVGPRsForWavesPerEU: 1
; NamedBarCnt: 0
; Occupancy: 16
; WaveLimiterHint : 0
; COMPUTE_PGM_RSRC2:SCRATCH_EN: 0
; COMPUTE_PGM_RSRC2:USER_SGPR: 2
; COMPUTE_PGM_RSRC2:TRAP_HANDLER: 0
; COMPUTE_PGM_RSRC2:TGID_X_EN: 1
; COMPUTE_PGM_RSRC2:TGID_Y_EN: 0
; COMPUTE_PGM_RSRC2:TGID_Z_EN: 0
; COMPUTE_PGM_RSRC2:TIDIG_COMP_CNT: 0
	.section	.text._ZN7rocprim17ROCPRIM_400000_NS6detail17trampoline_kernelINS0_14default_configENS1_29binary_search_config_selectorIsiEEZNS1_14transform_implILb0ES3_S5_N6thrust23THRUST_200600_302600_NS6detail15normal_iteratorINS8_7pointerIsNS8_11hip_rocprim3tagENS8_11use_defaultESE_EEEENSA_INSB_IiSD_SE_SE_EEEEZNS1_13binary_searchIS3_S5_NSA_INS8_10device_ptrIsEEEESG_SI_NS1_16binary_search_opENS9_16wrapped_functionINS8_7greaterIsEEbEEEE10hipError_tPvRmT1_T2_T3_mmT4_T5_P12ihipStream_tbEUlRKsE_EESS_SW_SX_mSY_S11_bEUlT_E_NS1_11comp_targetILNS1_3genE0ELNS1_11target_archE4294967295ELNS1_3gpuE0ELNS1_3repE0EEENS1_30default_config_static_selectorELNS0_4arch9wavefront6targetE0EEEvSV_,"axG",@progbits,_ZN7rocprim17ROCPRIM_400000_NS6detail17trampoline_kernelINS0_14default_configENS1_29binary_search_config_selectorIsiEEZNS1_14transform_implILb0ES3_S5_N6thrust23THRUST_200600_302600_NS6detail15normal_iteratorINS8_7pointerIsNS8_11hip_rocprim3tagENS8_11use_defaultESE_EEEENSA_INSB_IiSD_SE_SE_EEEEZNS1_13binary_searchIS3_S5_NSA_INS8_10device_ptrIsEEEESG_SI_NS1_16binary_search_opENS9_16wrapped_functionINS8_7greaterIsEEbEEEE10hipError_tPvRmT1_T2_T3_mmT4_T5_P12ihipStream_tbEUlRKsE_EESS_SW_SX_mSY_S11_bEUlT_E_NS1_11comp_targetILNS1_3genE0ELNS1_11target_archE4294967295ELNS1_3gpuE0ELNS1_3repE0EEENS1_30default_config_static_selectorELNS0_4arch9wavefront6targetE0EEEvSV_,comdat
	.protected	_ZN7rocprim17ROCPRIM_400000_NS6detail17trampoline_kernelINS0_14default_configENS1_29binary_search_config_selectorIsiEEZNS1_14transform_implILb0ES3_S5_N6thrust23THRUST_200600_302600_NS6detail15normal_iteratorINS8_7pointerIsNS8_11hip_rocprim3tagENS8_11use_defaultESE_EEEENSA_INSB_IiSD_SE_SE_EEEEZNS1_13binary_searchIS3_S5_NSA_INS8_10device_ptrIsEEEESG_SI_NS1_16binary_search_opENS9_16wrapped_functionINS8_7greaterIsEEbEEEE10hipError_tPvRmT1_T2_T3_mmT4_T5_P12ihipStream_tbEUlRKsE_EESS_SW_SX_mSY_S11_bEUlT_E_NS1_11comp_targetILNS1_3genE0ELNS1_11target_archE4294967295ELNS1_3gpuE0ELNS1_3repE0EEENS1_30default_config_static_selectorELNS0_4arch9wavefront6targetE0EEEvSV_ ; -- Begin function _ZN7rocprim17ROCPRIM_400000_NS6detail17trampoline_kernelINS0_14default_configENS1_29binary_search_config_selectorIsiEEZNS1_14transform_implILb0ES3_S5_N6thrust23THRUST_200600_302600_NS6detail15normal_iteratorINS8_7pointerIsNS8_11hip_rocprim3tagENS8_11use_defaultESE_EEEENSA_INSB_IiSD_SE_SE_EEEEZNS1_13binary_searchIS3_S5_NSA_INS8_10device_ptrIsEEEESG_SI_NS1_16binary_search_opENS9_16wrapped_functionINS8_7greaterIsEEbEEEE10hipError_tPvRmT1_T2_T3_mmT4_T5_P12ihipStream_tbEUlRKsE_EESS_SW_SX_mSY_S11_bEUlT_E_NS1_11comp_targetILNS1_3genE0ELNS1_11target_archE4294967295ELNS1_3gpuE0ELNS1_3repE0EEENS1_30default_config_static_selectorELNS0_4arch9wavefront6targetE0EEEvSV_
	.globl	_ZN7rocprim17ROCPRIM_400000_NS6detail17trampoline_kernelINS0_14default_configENS1_29binary_search_config_selectorIsiEEZNS1_14transform_implILb0ES3_S5_N6thrust23THRUST_200600_302600_NS6detail15normal_iteratorINS8_7pointerIsNS8_11hip_rocprim3tagENS8_11use_defaultESE_EEEENSA_INSB_IiSD_SE_SE_EEEEZNS1_13binary_searchIS3_S5_NSA_INS8_10device_ptrIsEEEESG_SI_NS1_16binary_search_opENS9_16wrapped_functionINS8_7greaterIsEEbEEEE10hipError_tPvRmT1_T2_T3_mmT4_T5_P12ihipStream_tbEUlRKsE_EESS_SW_SX_mSY_S11_bEUlT_E_NS1_11comp_targetILNS1_3genE0ELNS1_11target_archE4294967295ELNS1_3gpuE0ELNS1_3repE0EEENS1_30default_config_static_selectorELNS0_4arch9wavefront6targetE0EEEvSV_
	.p2align	8
	.type	_ZN7rocprim17ROCPRIM_400000_NS6detail17trampoline_kernelINS0_14default_configENS1_29binary_search_config_selectorIsiEEZNS1_14transform_implILb0ES3_S5_N6thrust23THRUST_200600_302600_NS6detail15normal_iteratorINS8_7pointerIsNS8_11hip_rocprim3tagENS8_11use_defaultESE_EEEENSA_INSB_IiSD_SE_SE_EEEEZNS1_13binary_searchIS3_S5_NSA_INS8_10device_ptrIsEEEESG_SI_NS1_16binary_search_opENS9_16wrapped_functionINS8_7greaterIsEEbEEEE10hipError_tPvRmT1_T2_T3_mmT4_T5_P12ihipStream_tbEUlRKsE_EESS_SW_SX_mSY_S11_bEUlT_E_NS1_11comp_targetILNS1_3genE0ELNS1_11target_archE4294967295ELNS1_3gpuE0ELNS1_3repE0EEENS1_30default_config_static_selectorELNS0_4arch9wavefront6targetE0EEEvSV_,@function
_ZN7rocprim17ROCPRIM_400000_NS6detail17trampoline_kernelINS0_14default_configENS1_29binary_search_config_selectorIsiEEZNS1_14transform_implILb0ES3_S5_N6thrust23THRUST_200600_302600_NS6detail15normal_iteratorINS8_7pointerIsNS8_11hip_rocprim3tagENS8_11use_defaultESE_EEEENSA_INSB_IiSD_SE_SE_EEEEZNS1_13binary_searchIS3_S5_NSA_INS8_10device_ptrIsEEEESG_SI_NS1_16binary_search_opENS9_16wrapped_functionINS8_7greaterIsEEbEEEE10hipError_tPvRmT1_T2_T3_mmT4_T5_P12ihipStream_tbEUlRKsE_EESS_SW_SX_mSY_S11_bEUlT_E_NS1_11comp_targetILNS1_3genE0ELNS1_11target_archE4294967295ELNS1_3gpuE0ELNS1_3repE0EEENS1_30default_config_static_selectorELNS0_4arch9wavefront6targetE0EEEvSV_: ; @_ZN7rocprim17ROCPRIM_400000_NS6detail17trampoline_kernelINS0_14default_configENS1_29binary_search_config_selectorIsiEEZNS1_14transform_implILb0ES3_S5_N6thrust23THRUST_200600_302600_NS6detail15normal_iteratorINS8_7pointerIsNS8_11hip_rocprim3tagENS8_11use_defaultESE_EEEENSA_INSB_IiSD_SE_SE_EEEEZNS1_13binary_searchIS3_S5_NSA_INS8_10device_ptrIsEEEESG_SI_NS1_16binary_search_opENS9_16wrapped_functionINS8_7greaterIsEEbEEEE10hipError_tPvRmT1_T2_T3_mmT4_T5_P12ihipStream_tbEUlRKsE_EESS_SW_SX_mSY_S11_bEUlT_E_NS1_11comp_targetILNS1_3genE0ELNS1_11target_archE4294967295ELNS1_3gpuE0ELNS1_3repE0EEENS1_30default_config_static_selectorELNS0_4arch9wavefront6targetE0EEEvSV_
; %bb.0:
	s_clause 0x3
	s_load_b128 s[4:7], s[0:1], 0x0
	s_load_b32 s14, s[0:1], 0x38
	s_load_b64 s[12:13], s[0:1], 0x28
	s_load_b128 s[8:11], s[0:1], 0x18
	s_bfe_u32 s2, ttmp6, 0x4000c
	s_and_b32 s3, ttmp6, 15
	s_add_co_i32 s2, s2, 1
	s_getreg_b32 s15, hwreg(HW_REG_IB_STS2, 6, 4)
	s_mul_i32 s2, ttmp9, s2
	s_delay_alu instid0(SALU_CYCLE_1)
	s_add_co_i32 s16, s3, s2
	s_wait_kmcnt 0x0
	s_lshl_b64 s[2:3], s[6:7], 1
	s_cmp_eq_u32 s15, 0
	s_add_nc_u64 s[4:5], s[4:5], s[2:3]
	s_cselect_b32 s15, ttmp9, s16
	s_add_co_i32 s14, s14, -1
	s_lshl_b32 s2, s15, 7
	s_mov_b32 s3, 0
	s_cmp_lg_u32 s15, s14
	s_mov_b32 s16, -1
	s_cbranch_scc0 .LBB149_6
; %bb.1:
	s_lshl_b64 s[14:15], s[2:3], 1
	v_mov_b64_e32 v[2:3], 0
	s_add_nc_u64 s[14:15], s[4:5], s[14:15]
	v_mov_b32_e32 v1, 0
	flat_load_u16 v6, v0, s[14:15] scale_offset
	s_cmp_eq_u64 s[12:13], 0
	s_cbranch_scc1 .LBB149_5
; %bb.2:
	v_mov_b64_e32 v[4:5], s[12:13]
	s_wait_xcnt 0x0
	s_mov_b32 s14, 0
.LBB149_3:                              ; =>This Inner Loop Header: Depth=1
	s_delay_alu instid0(VALU_DEP_1) | instskip(NEXT) | instid1(VALU_DEP_1)
	v_sub_nc_u64_e32 v[8:9], v[4:5], v[2:3]
	v_lshrrev_b64 v[10:11], 1, v[8:9]
	v_lshrrev_b64 v[8:9], 6, v[8:9]
	s_delay_alu instid0(VALU_DEP_2) | instskip(NEXT) | instid1(VALU_DEP_1)
	v_add_nc_u64_e32 v[10:11], v[10:11], v[2:3]
	v_add_nc_u64_e32 v[8:9], v[10:11], v[8:9]
	s_delay_alu instid0(VALU_DEP_1)
	v_lshl_add_u64 v[10:11], v[8:9], 1, s[10:11]
	global_load_u16 v7, v[10:11], off
	s_wait_xcnt 0x0
	v_add_nc_u64_e32 v[10:11], 1, v[8:9]
	s_wait_loadcnt_dscnt 0x0
	v_cmp_gt_i16_e32 vcc_lo, v7, v6
	v_dual_cndmask_b32 v5, v9, v5 :: v_dual_cndmask_b32 v4, v8, v4
	s_delay_alu instid0(VALU_DEP_3) | instskip(NEXT) | instid1(VALU_DEP_1)
	v_dual_cndmask_b32 v3, v3, v11 :: v_dual_cndmask_b32 v2, v2, v10
	v_cmp_ge_u64_e32 vcc_lo, v[2:3], v[4:5]
	s_or_b32 s14, vcc_lo, s14
	s_delay_alu instid0(SALU_CYCLE_1)
	s_and_not1_b32 exec_lo, exec_lo, s14
	s_cbranch_execnz .LBB149_3
; %bb.4:
	s_or_b32 exec_lo, exec_lo, s14
.LBB149_5:
	s_wait_xcnt 0x0
	v_cmp_eq_u64_e64 s14, s[12:13], v[2:3]
	v_cmp_ne_u64_e64 s15, s[12:13], v[2:3]
	s_branch .LBB149_14
.LBB149_6:
	s_mov_b32 s15, s3
	s_mov_b32 s14, s3
                                        ; implicit-def: $vgpr6
                                        ; implicit-def: $vgpr2_vgpr3
	s_and_b32 vcc_lo, exec_lo, s16
	s_cbranch_vccz .LBB149_14
; %bb.7:
	s_load_b32 s0, s[0:1], 0x10
	s_wait_xcnt 0x0
	s_mov_b32 s1, exec_lo
                                        ; implicit-def: $vgpr6
                                        ; implicit-def: $vgpr2_vgpr3
	s_wait_kmcnt 0x0
	s_sub_co_i32 s0, s0, s2
	s_delay_alu instid0(SALU_CYCLE_1)
	v_cmpx_gt_u32_e64 s0, v0
	s_cbranch_execz .LBB149_13
; %bb.8:
	s_lshl_b64 s[16:17], s[2:3], 1
	v_mov_b64_e32 v[2:3], 0
	s_add_nc_u64 s[4:5], s[4:5], s[16:17]
	v_mov_b32_e32 v1, 0
	s_wait_loadcnt_dscnt 0x0
	flat_load_u16 v6, v0, s[4:5] scale_offset
	s_cmp_eq_u64 s[12:13], 0
	s_cbranch_scc1 .LBB149_12
; %bb.9:
	v_mov_b64_e32 v[4:5], s[12:13]
	s_mov_b32 s0, 0
.LBB149_10:                             ; =>This Inner Loop Header: Depth=1
	s_delay_alu instid0(VALU_DEP_1) | instskip(NEXT) | instid1(VALU_DEP_1)
	v_sub_nc_u64_e32 v[8:9], v[4:5], v[2:3]
	v_lshrrev_b64 v[10:11], 1, v[8:9]
	v_lshrrev_b64 v[8:9], 6, v[8:9]
	s_delay_alu instid0(VALU_DEP_2) | instskip(NEXT) | instid1(VALU_DEP_1)
	v_add_nc_u64_e32 v[10:11], v[10:11], v[2:3]
	v_add_nc_u64_e32 v[8:9], v[10:11], v[8:9]
	s_delay_alu instid0(VALU_DEP_1)
	v_lshl_add_u64 v[10:11], v[8:9], 1, s[10:11]
	global_load_u16 v7, v[10:11], off
	s_wait_xcnt 0x0
	v_add_nc_u64_e32 v[10:11], 1, v[8:9]
	s_wait_loadcnt_dscnt 0x0
	v_cmp_gt_i16_e32 vcc_lo, v7, v6
	v_dual_cndmask_b32 v5, v9, v5 :: v_dual_cndmask_b32 v4, v8, v4
	s_delay_alu instid0(VALU_DEP_3) | instskip(NEXT) | instid1(VALU_DEP_1)
	v_dual_cndmask_b32 v3, v3, v11 :: v_dual_cndmask_b32 v2, v2, v10
	v_cmp_ge_u64_e32 vcc_lo, v[2:3], v[4:5]
	s_or_b32 s0, vcc_lo, s0
	s_delay_alu instid0(SALU_CYCLE_1)
	s_and_not1_b32 exec_lo, exec_lo, s0
	s_cbranch_execnz .LBB149_10
; %bb.11:
	s_or_b32 exec_lo, exec_lo, s0
.LBB149_12:
	v_cmp_eq_u64_e32 vcc_lo, s[12:13], v[2:3]
	v_cmp_ne_u64_e64 s0, s[12:13], v[2:3]
	s_wait_xcnt 0x0
	s_and_not1_b32 s4, s14, exec_lo
	s_and_not1_b32 s5, s15, exec_lo
	s_and_b32 s12, vcc_lo, exec_lo
	s_and_b32 s0, s0, exec_lo
	s_or_b32 s14, s4, s12
	s_or_b32 s15, s5, s0
.LBB149_13:
	s_or_b32 exec_lo, exec_lo, s1
.LBB149_14:
	v_mov_b32_e32 v4, 0
	s_delay_alu instid0(VALU_DEP_2)
	s_and_saveexec_b32 s0, s15
	s_cbranch_execnz .LBB149_17
; %bb.15:
	s_or_b32 exec_lo, exec_lo, s0
	s_and_saveexec_b32 s0, s14
	s_cbranch_execnz .LBB149_18
.LBB149_16:
	s_endpgm
.LBB149_17:
	v_lshl_add_u64 v[2:3], v[2:3], 1, s[10:11]
	s_or_b32 s14, s14, exec_lo
	global_load_u16 v2, v[2:3], off
	s_wait_loadcnt_dscnt 0x0
	v_cmp_le_i16_e32 vcc_lo, v6, v2
	v_cndmask_b32_e64 v4, 0, 1, vcc_lo
	s_or_b32 exec_lo, exec_lo, s0
	s_and_saveexec_b32 s0, s14
	s_cbranch_execz .LBB149_16
.LBB149_18:
	s_lshl_b64 s[0:1], s[6:7], 2
	s_lshl_b64 s[2:3], s[2:3], 2
	s_add_nc_u64 s[0:1], s[8:9], s[0:1]
	s_delay_alu instid0(SALU_CYCLE_1) | instskip(NEXT) | instid1(SALU_CYCLE_1)
	s_add_nc_u64 s[0:1], s[0:1], s[2:3]
	v_lshl_add_u64 v[0:1], v[0:1], 2, s[0:1]
	flat_store_b32 v[0:1], v4
	s_endpgm
	.section	.rodata,"a",@progbits
	.p2align	6, 0x0
	.amdhsa_kernel _ZN7rocprim17ROCPRIM_400000_NS6detail17trampoline_kernelINS0_14default_configENS1_29binary_search_config_selectorIsiEEZNS1_14transform_implILb0ES3_S5_N6thrust23THRUST_200600_302600_NS6detail15normal_iteratorINS8_7pointerIsNS8_11hip_rocprim3tagENS8_11use_defaultESE_EEEENSA_INSB_IiSD_SE_SE_EEEEZNS1_13binary_searchIS3_S5_NSA_INS8_10device_ptrIsEEEESG_SI_NS1_16binary_search_opENS9_16wrapped_functionINS8_7greaterIsEEbEEEE10hipError_tPvRmT1_T2_T3_mmT4_T5_P12ihipStream_tbEUlRKsE_EESS_SW_SX_mSY_S11_bEUlT_E_NS1_11comp_targetILNS1_3genE0ELNS1_11target_archE4294967295ELNS1_3gpuE0ELNS1_3repE0EEENS1_30default_config_static_selectorELNS0_4arch9wavefront6targetE0EEEvSV_
		.amdhsa_group_segment_fixed_size 0
		.amdhsa_private_segment_fixed_size 0
		.amdhsa_kernarg_size 312
		.amdhsa_user_sgpr_count 2
		.amdhsa_user_sgpr_dispatch_ptr 0
		.amdhsa_user_sgpr_queue_ptr 0
		.amdhsa_user_sgpr_kernarg_segment_ptr 1
		.amdhsa_user_sgpr_dispatch_id 0
		.amdhsa_user_sgpr_kernarg_preload_length 0
		.amdhsa_user_sgpr_kernarg_preload_offset 0
		.amdhsa_user_sgpr_private_segment_size 0
		.amdhsa_wavefront_size32 1
		.amdhsa_uses_dynamic_stack 0
		.amdhsa_enable_private_segment 0
		.amdhsa_system_sgpr_workgroup_id_x 1
		.amdhsa_system_sgpr_workgroup_id_y 0
		.amdhsa_system_sgpr_workgroup_id_z 0
		.amdhsa_system_sgpr_workgroup_info 0
		.amdhsa_system_vgpr_workitem_id 0
		.amdhsa_next_free_vgpr 12
		.amdhsa_next_free_sgpr 18
		.amdhsa_named_barrier_count 0
		.amdhsa_reserve_vcc 1
		.amdhsa_float_round_mode_32 0
		.amdhsa_float_round_mode_16_64 0
		.amdhsa_float_denorm_mode_32 3
		.amdhsa_float_denorm_mode_16_64 3
		.amdhsa_fp16_overflow 0
		.amdhsa_memory_ordered 1
		.amdhsa_forward_progress 1
		.amdhsa_inst_pref_size 6
		.amdhsa_round_robin_scheduling 0
		.amdhsa_exception_fp_ieee_invalid_op 0
		.amdhsa_exception_fp_denorm_src 0
		.amdhsa_exception_fp_ieee_div_zero 0
		.amdhsa_exception_fp_ieee_overflow 0
		.amdhsa_exception_fp_ieee_underflow 0
		.amdhsa_exception_fp_ieee_inexact 0
		.amdhsa_exception_int_div_zero 0
	.end_amdhsa_kernel
	.section	.text._ZN7rocprim17ROCPRIM_400000_NS6detail17trampoline_kernelINS0_14default_configENS1_29binary_search_config_selectorIsiEEZNS1_14transform_implILb0ES3_S5_N6thrust23THRUST_200600_302600_NS6detail15normal_iteratorINS8_7pointerIsNS8_11hip_rocprim3tagENS8_11use_defaultESE_EEEENSA_INSB_IiSD_SE_SE_EEEEZNS1_13binary_searchIS3_S5_NSA_INS8_10device_ptrIsEEEESG_SI_NS1_16binary_search_opENS9_16wrapped_functionINS8_7greaterIsEEbEEEE10hipError_tPvRmT1_T2_T3_mmT4_T5_P12ihipStream_tbEUlRKsE_EESS_SW_SX_mSY_S11_bEUlT_E_NS1_11comp_targetILNS1_3genE0ELNS1_11target_archE4294967295ELNS1_3gpuE0ELNS1_3repE0EEENS1_30default_config_static_selectorELNS0_4arch9wavefront6targetE0EEEvSV_,"axG",@progbits,_ZN7rocprim17ROCPRIM_400000_NS6detail17trampoline_kernelINS0_14default_configENS1_29binary_search_config_selectorIsiEEZNS1_14transform_implILb0ES3_S5_N6thrust23THRUST_200600_302600_NS6detail15normal_iteratorINS8_7pointerIsNS8_11hip_rocprim3tagENS8_11use_defaultESE_EEEENSA_INSB_IiSD_SE_SE_EEEEZNS1_13binary_searchIS3_S5_NSA_INS8_10device_ptrIsEEEESG_SI_NS1_16binary_search_opENS9_16wrapped_functionINS8_7greaterIsEEbEEEE10hipError_tPvRmT1_T2_T3_mmT4_T5_P12ihipStream_tbEUlRKsE_EESS_SW_SX_mSY_S11_bEUlT_E_NS1_11comp_targetILNS1_3genE0ELNS1_11target_archE4294967295ELNS1_3gpuE0ELNS1_3repE0EEENS1_30default_config_static_selectorELNS0_4arch9wavefront6targetE0EEEvSV_,comdat
.Lfunc_end149:
	.size	_ZN7rocprim17ROCPRIM_400000_NS6detail17trampoline_kernelINS0_14default_configENS1_29binary_search_config_selectorIsiEEZNS1_14transform_implILb0ES3_S5_N6thrust23THRUST_200600_302600_NS6detail15normal_iteratorINS8_7pointerIsNS8_11hip_rocprim3tagENS8_11use_defaultESE_EEEENSA_INSB_IiSD_SE_SE_EEEEZNS1_13binary_searchIS3_S5_NSA_INS8_10device_ptrIsEEEESG_SI_NS1_16binary_search_opENS9_16wrapped_functionINS8_7greaterIsEEbEEEE10hipError_tPvRmT1_T2_T3_mmT4_T5_P12ihipStream_tbEUlRKsE_EESS_SW_SX_mSY_S11_bEUlT_E_NS1_11comp_targetILNS1_3genE0ELNS1_11target_archE4294967295ELNS1_3gpuE0ELNS1_3repE0EEENS1_30default_config_static_selectorELNS0_4arch9wavefront6targetE0EEEvSV_, .Lfunc_end149-_ZN7rocprim17ROCPRIM_400000_NS6detail17trampoline_kernelINS0_14default_configENS1_29binary_search_config_selectorIsiEEZNS1_14transform_implILb0ES3_S5_N6thrust23THRUST_200600_302600_NS6detail15normal_iteratorINS8_7pointerIsNS8_11hip_rocprim3tagENS8_11use_defaultESE_EEEENSA_INSB_IiSD_SE_SE_EEEEZNS1_13binary_searchIS3_S5_NSA_INS8_10device_ptrIsEEEESG_SI_NS1_16binary_search_opENS9_16wrapped_functionINS8_7greaterIsEEbEEEE10hipError_tPvRmT1_T2_T3_mmT4_T5_P12ihipStream_tbEUlRKsE_EESS_SW_SX_mSY_S11_bEUlT_E_NS1_11comp_targetILNS1_3genE0ELNS1_11target_archE4294967295ELNS1_3gpuE0ELNS1_3repE0EEENS1_30default_config_static_selectorELNS0_4arch9wavefront6targetE0EEEvSV_
                                        ; -- End function
	.set _ZN7rocprim17ROCPRIM_400000_NS6detail17trampoline_kernelINS0_14default_configENS1_29binary_search_config_selectorIsiEEZNS1_14transform_implILb0ES3_S5_N6thrust23THRUST_200600_302600_NS6detail15normal_iteratorINS8_7pointerIsNS8_11hip_rocprim3tagENS8_11use_defaultESE_EEEENSA_INSB_IiSD_SE_SE_EEEEZNS1_13binary_searchIS3_S5_NSA_INS8_10device_ptrIsEEEESG_SI_NS1_16binary_search_opENS9_16wrapped_functionINS8_7greaterIsEEbEEEE10hipError_tPvRmT1_T2_T3_mmT4_T5_P12ihipStream_tbEUlRKsE_EESS_SW_SX_mSY_S11_bEUlT_E_NS1_11comp_targetILNS1_3genE0ELNS1_11target_archE4294967295ELNS1_3gpuE0ELNS1_3repE0EEENS1_30default_config_static_selectorELNS0_4arch9wavefront6targetE0EEEvSV_.num_vgpr, 12
	.set _ZN7rocprim17ROCPRIM_400000_NS6detail17trampoline_kernelINS0_14default_configENS1_29binary_search_config_selectorIsiEEZNS1_14transform_implILb0ES3_S5_N6thrust23THRUST_200600_302600_NS6detail15normal_iteratorINS8_7pointerIsNS8_11hip_rocprim3tagENS8_11use_defaultESE_EEEENSA_INSB_IiSD_SE_SE_EEEEZNS1_13binary_searchIS3_S5_NSA_INS8_10device_ptrIsEEEESG_SI_NS1_16binary_search_opENS9_16wrapped_functionINS8_7greaterIsEEbEEEE10hipError_tPvRmT1_T2_T3_mmT4_T5_P12ihipStream_tbEUlRKsE_EESS_SW_SX_mSY_S11_bEUlT_E_NS1_11comp_targetILNS1_3genE0ELNS1_11target_archE4294967295ELNS1_3gpuE0ELNS1_3repE0EEENS1_30default_config_static_selectorELNS0_4arch9wavefront6targetE0EEEvSV_.num_agpr, 0
	.set _ZN7rocprim17ROCPRIM_400000_NS6detail17trampoline_kernelINS0_14default_configENS1_29binary_search_config_selectorIsiEEZNS1_14transform_implILb0ES3_S5_N6thrust23THRUST_200600_302600_NS6detail15normal_iteratorINS8_7pointerIsNS8_11hip_rocprim3tagENS8_11use_defaultESE_EEEENSA_INSB_IiSD_SE_SE_EEEEZNS1_13binary_searchIS3_S5_NSA_INS8_10device_ptrIsEEEESG_SI_NS1_16binary_search_opENS9_16wrapped_functionINS8_7greaterIsEEbEEEE10hipError_tPvRmT1_T2_T3_mmT4_T5_P12ihipStream_tbEUlRKsE_EESS_SW_SX_mSY_S11_bEUlT_E_NS1_11comp_targetILNS1_3genE0ELNS1_11target_archE4294967295ELNS1_3gpuE0ELNS1_3repE0EEENS1_30default_config_static_selectorELNS0_4arch9wavefront6targetE0EEEvSV_.numbered_sgpr, 18
	.set _ZN7rocprim17ROCPRIM_400000_NS6detail17trampoline_kernelINS0_14default_configENS1_29binary_search_config_selectorIsiEEZNS1_14transform_implILb0ES3_S5_N6thrust23THRUST_200600_302600_NS6detail15normal_iteratorINS8_7pointerIsNS8_11hip_rocprim3tagENS8_11use_defaultESE_EEEENSA_INSB_IiSD_SE_SE_EEEEZNS1_13binary_searchIS3_S5_NSA_INS8_10device_ptrIsEEEESG_SI_NS1_16binary_search_opENS9_16wrapped_functionINS8_7greaterIsEEbEEEE10hipError_tPvRmT1_T2_T3_mmT4_T5_P12ihipStream_tbEUlRKsE_EESS_SW_SX_mSY_S11_bEUlT_E_NS1_11comp_targetILNS1_3genE0ELNS1_11target_archE4294967295ELNS1_3gpuE0ELNS1_3repE0EEENS1_30default_config_static_selectorELNS0_4arch9wavefront6targetE0EEEvSV_.num_named_barrier, 0
	.set _ZN7rocprim17ROCPRIM_400000_NS6detail17trampoline_kernelINS0_14default_configENS1_29binary_search_config_selectorIsiEEZNS1_14transform_implILb0ES3_S5_N6thrust23THRUST_200600_302600_NS6detail15normal_iteratorINS8_7pointerIsNS8_11hip_rocprim3tagENS8_11use_defaultESE_EEEENSA_INSB_IiSD_SE_SE_EEEEZNS1_13binary_searchIS3_S5_NSA_INS8_10device_ptrIsEEEESG_SI_NS1_16binary_search_opENS9_16wrapped_functionINS8_7greaterIsEEbEEEE10hipError_tPvRmT1_T2_T3_mmT4_T5_P12ihipStream_tbEUlRKsE_EESS_SW_SX_mSY_S11_bEUlT_E_NS1_11comp_targetILNS1_3genE0ELNS1_11target_archE4294967295ELNS1_3gpuE0ELNS1_3repE0EEENS1_30default_config_static_selectorELNS0_4arch9wavefront6targetE0EEEvSV_.private_seg_size, 0
	.set _ZN7rocprim17ROCPRIM_400000_NS6detail17trampoline_kernelINS0_14default_configENS1_29binary_search_config_selectorIsiEEZNS1_14transform_implILb0ES3_S5_N6thrust23THRUST_200600_302600_NS6detail15normal_iteratorINS8_7pointerIsNS8_11hip_rocprim3tagENS8_11use_defaultESE_EEEENSA_INSB_IiSD_SE_SE_EEEEZNS1_13binary_searchIS3_S5_NSA_INS8_10device_ptrIsEEEESG_SI_NS1_16binary_search_opENS9_16wrapped_functionINS8_7greaterIsEEbEEEE10hipError_tPvRmT1_T2_T3_mmT4_T5_P12ihipStream_tbEUlRKsE_EESS_SW_SX_mSY_S11_bEUlT_E_NS1_11comp_targetILNS1_3genE0ELNS1_11target_archE4294967295ELNS1_3gpuE0ELNS1_3repE0EEENS1_30default_config_static_selectorELNS0_4arch9wavefront6targetE0EEEvSV_.uses_vcc, 1
	.set _ZN7rocprim17ROCPRIM_400000_NS6detail17trampoline_kernelINS0_14default_configENS1_29binary_search_config_selectorIsiEEZNS1_14transform_implILb0ES3_S5_N6thrust23THRUST_200600_302600_NS6detail15normal_iteratorINS8_7pointerIsNS8_11hip_rocprim3tagENS8_11use_defaultESE_EEEENSA_INSB_IiSD_SE_SE_EEEEZNS1_13binary_searchIS3_S5_NSA_INS8_10device_ptrIsEEEESG_SI_NS1_16binary_search_opENS9_16wrapped_functionINS8_7greaterIsEEbEEEE10hipError_tPvRmT1_T2_T3_mmT4_T5_P12ihipStream_tbEUlRKsE_EESS_SW_SX_mSY_S11_bEUlT_E_NS1_11comp_targetILNS1_3genE0ELNS1_11target_archE4294967295ELNS1_3gpuE0ELNS1_3repE0EEENS1_30default_config_static_selectorELNS0_4arch9wavefront6targetE0EEEvSV_.uses_flat_scratch, 0
	.set _ZN7rocprim17ROCPRIM_400000_NS6detail17trampoline_kernelINS0_14default_configENS1_29binary_search_config_selectorIsiEEZNS1_14transform_implILb0ES3_S5_N6thrust23THRUST_200600_302600_NS6detail15normal_iteratorINS8_7pointerIsNS8_11hip_rocprim3tagENS8_11use_defaultESE_EEEENSA_INSB_IiSD_SE_SE_EEEEZNS1_13binary_searchIS3_S5_NSA_INS8_10device_ptrIsEEEESG_SI_NS1_16binary_search_opENS9_16wrapped_functionINS8_7greaterIsEEbEEEE10hipError_tPvRmT1_T2_T3_mmT4_T5_P12ihipStream_tbEUlRKsE_EESS_SW_SX_mSY_S11_bEUlT_E_NS1_11comp_targetILNS1_3genE0ELNS1_11target_archE4294967295ELNS1_3gpuE0ELNS1_3repE0EEENS1_30default_config_static_selectorELNS0_4arch9wavefront6targetE0EEEvSV_.has_dyn_sized_stack, 0
	.set _ZN7rocprim17ROCPRIM_400000_NS6detail17trampoline_kernelINS0_14default_configENS1_29binary_search_config_selectorIsiEEZNS1_14transform_implILb0ES3_S5_N6thrust23THRUST_200600_302600_NS6detail15normal_iteratorINS8_7pointerIsNS8_11hip_rocprim3tagENS8_11use_defaultESE_EEEENSA_INSB_IiSD_SE_SE_EEEEZNS1_13binary_searchIS3_S5_NSA_INS8_10device_ptrIsEEEESG_SI_NS1_16binary_search_opENS9_16wrapped_functionINS8_7greaterIsEEbEEEE10hipError_tPvRmT1_T2_T3_mmT4_T5_P12ihipStream_tbEUlRKsE_EESS_SW_SX_mSY_S11_bEUlT_E_NS1_11comp_targetILNS1_3genE0ELNS1_11target_archE4294967295ELNS1_3gpuE0ELNS1_3repE0EEENS1_30default_config_static_selectorELNS0_4arch9wavefront6targetE0EEEvSV_.has_recursion, 0
	.set _ZN7rocprim17ROCPRIM_400000_NS6detail17trampoline_kernelINS0_14default_configENS1_29binary_search_config_selectorIsiEEZNS1_14transform_implILb0ES3_S5_N6thrust23THRUST_200600_302600_NS6detail15normal_iteratorINS8_7pointerIsNS8_11hip_rocprim3tagENS8_11use_defaultESE_EEEENSA_INSB_IiSD_SE_SE_EEEEZNS1_13binary_searchIS3_S5_NSA_INS8_10device_ptrIsEEEESG_SI_NS1_16binary_search_opENS9_16wrapped_functionINS8_7greaterIsEEbEEEE10hipError_tPvRmT1_T2_T3_mmT4_T5_P12ihipStream_tbEUlRKsE_EESS_SW_SX_mSY_S11_bEUlT_E_NS1_11comp_targetILNS1_3genE0ELNS1_11target_archE4294967295ELNS1_3gpuE0ELNS1_3repE0EEENS1_30default_config_static_selectorELNS0_4arch9wavefront6targetE0EEEvSV_.has_indirect_call, 0
	.section	.AMDGPU.csdata,"",@progbits
; Kernel info:
; codeLenInByte = 700
; TotalNumSgprs: 20
; NumVgprs: 12
; ScratchSize: 0
; MemoryBound: 0
; FloatMode: 240
; IeeeMode: 1
; LDSByteSize: 0 bytes/workgroup (compile time only)
; SGPRBlocks: 0
; VGPRBlocks: 0
; NumSGPRsForWavesPerEU: 20
; NumVGPRsForWavesPerEU: 12
; NamedBarCnt: 0
; Occupancy: 16
; WaveLimiterHint : 0
; COMPUTE_PGM_RSRC2:SCRATCH_EN: 0
; COMPUTE_PGM_RSRC2:USER_SGPR: 2
; COMPUTE_PGM_RSRC2:TRAP_HANDLER: 0
; COMPUTE_PGM_RSRC2:TGID_X_EN: 1
; COMPUTE_PGM_RSRC2:TGID_Y_EN: 0
; COMPUTE_PGM_RSRC2:TGID_Z_EN: 0
; COMPUTE_PGM_RSRC2:TIDIG_COMP_CNT: 0
	.section	.text._ZN7rocprim17ROCPRIM_400000_NS6detail17trampoline_kernelINS0_14default_configENS1_29binary_search_config_selectorIsiEEZNS1_14transform_implILb0ES3_S5_N6thrust23THRUST_200600_302600_NS6detail15normal_iteratorINS8_7pointerIsNS8_11hip_rocprim3tagENS8_11use_defaultESE_EEEENSA_INSB_IiSD_SE_SE_EEEEZNS1_13binary_searchIS3_S5_NSA_INS8_10device_ptrIsEEEESG_SI_NS1_16binary_search_opENS9_16wrapped_functionINS8_7greaterIsEEbEEEE10hipError_tPvRmT1_T2_T3_mmT4_T5_P12ihipStream_tbEUlRKsE_EESS_SW_SX_mSY_S11_bEUlT_E_NS1_11comp_targetILNS1_3genE5ELNS1_11target_archE942ELNS1_3gpuE9ELNS1_3repE0EEENS1_30default_config_static_selectorELNS0_4arch9wavefront6targetE0EEEvSV_,"axG",@progbits,_ZN7rocprim17ROCPRIM_400000_NS6detail17trampoline_kernelINS0_14default_configENS1_29binary_search_config_selectorIsiEEZNS1_14transform_implILb0ES3_S5_N6thrust23THRUST_200600_302600_NS6detail15normal_iteratorINS8_7pointerIsNS8_11hip_rocprim3tagENS8_11use_defaultESE_EEEENSA_INSB_IiSD_SE_SE_EEEEZNS1_13binary_searchIS3_S5_NSA_INS8_10device_ptrIsEEEESG_SI_NS1_16binary_search_opENS9_16wrapped_functionINS8_7greaterIsEEbEEEE10hipError_tPvRmT1_T2_T3_mmT4_T5_P12ihipStream_tbEUlRKsE_EESS_SW_SX_mSY_S11_bEUlT_E_NS1_11comp_targetILNS1_3genE5ELNS1_11target_archE942ELNS1_3gpuE9ELNS1_3repE0EEENS1_30default_config_static_selectorELNS0_4arch9wavefront6targetE0EEEvSV_,comdat
	.protected	_ZN7rocprim17ROCPRIM_400000_NS6detail17trampoline_kernelINS0_14default_configENS1_29binary_search_config_selectorIsiEEZNS1_14transform_implILb0ES3_S5_N6thrust23THRUST_200600_302600_NS6detail15normal_iteratorINS8_7pointerIsNS8_11hip_rocprim3tagENS8_11use_defaultESE_EEEENSA_INSB_IiSD_SE_SE_EEEEZNS1_13binary_searchIS3_S5_NSA_INS8_10device_ptrIsEEEESG_SI_NS1_16binary_search_opENS9_16wrapped_functionINS8_7greaterIsEEbEEEE10hipError_tPvRmT1_T2_T3_mmT4_T5_P12ihipStream_tbEUlRKsE_EESS_SW_SX_mSY_S11_bEUlT_E_NS1_11comp_targetILNS1_3genE5ELNS1_11target_archE942ELNS1_3gpuE9ELNS1_3repE0EEENS1_30default_config_static_selectorELNS0_4arch9wavefront6targetE0EEEvSV_ ; -- Begin function _ZN7rocprim17ROCPRIM_400000_NS6detail17trampoline_kernelINS0_14default_configENS1_29binary_search_config_selectorIsiEEZNS1_14transform_implILb0ES3_S5_N6thrust23THRUST_200600_302600_NS6detail15normal_iteratorINS8_7pointerIsNS8_11hip_rocprim3tagENS8_11use_defaultESE_EEEENSA_INSB_IiSD_SE_SE_EEEEZNS1_13binary_searchIS3_S5_NSA_INS8_10device_ptrIsEEEESG_SI_NS1_16binary_search_opENS9_16wrapped_functionINS8_7greaterIsEEbEEEE10hipError_tPvRmT1_T2_T3_mmT4_T5_P12ihipStream_tbEUlRKsE_EESS_SW_SX_mSY_S11_bEUlT_E_NS1_11comp_targetILNS1_3genE5ELNS1_11target_archE942ELNS1_3gpuE9ELNS1_3repE0EEENS1_30default_config_static_selectorELNS0_4arch9wavefront6targetE0EEEvSV_
	.globl	_ZN7rocprim17ROCPRIM_400000_NS6detail17trampoline_kernelINS0_14default_configENS1_29binary_search_config_selectorIsiEEZNS1_14transform_implILb0ES3_S5_N6thrust23THRUST_200600_302600_NS6detail15normal_iteratorINS8_7pointerIsNS8_11hip_rocprim3tagENS8_11use_defaultESE_EEEENSA_INSB_IiSD_SE_SE_EEEEZNS1_13binary_searchIS3_S5_NSA_INS8_10device_ptrIsEEEESG_SI_NS1_16binary_search_opENS9_16wrapped_functionINS8_7greaterIsEEbEEEE10hipError_tPvRmT1_T2_T3_mmT4_T5_P12ihipStream_tbEUlRKsE_EESS_SW_SX_mSY_S11_bEUlT_E_NS1_11comp_targetILNS1_3genE5ELNS1_11target_archE942ELNS1_3gpuE9ELNS1_3repE0EEENS1_30default_config_static_selectorELNS0_4arch9wavefront6targetE0EEEvSV_
	.p2align	8
	.type	_ZN7rocprim17ROCPRIM_400000_NS6detail17trampoline_kernelINS0_14default_configENS1_29binary_search_config_selectorIsiEEZNS1_14transform_implILb0ES3_S5_N6thrust23THRUST_200600_302600_NS6detail15normal_iteratorINS8_7pointerIsNS8_11hip_rocprim3tagENS8_11use_defaultESE_EEEENSA_INSB_IiSD_SE_SE_EEEEZNS1_13binary_searchIS3_S5_NSA_INS8_10device_ptrIsEEEESG_SI_NS1_16binary_search_opENS9_16wrapped_functionINS8_7greaterIsEEbEEEE10hipError_tPvRmT1_T2_T3_mmT4_T5_P12ihipStream_tbEUlRKsE_EESS_SW_SX_mSY_S11_bEUlT_E_NS1_11comp_targetILNS1_3genE5ELNS1_11target_archE942ELNS1_3gpuE9ELNS1_3repE0EEENS1_30default_config_static_selectorELNS0_4arch9wavefront6targetE0EEEvSV_,@function
_ZN7rocprim17ROCPRIM_400000_NS6detail17trampoline_kernelINS0_14default_configENS1_29binary_search_config_selectorIsiEEZNS1_14transform_implILb0ES3_S5_N6thrust23THRUST_200600_302600_NS6detail15normal_iteratorINS8_7pointerIsNS8_11hip_rocprim3tagENS8_11use_defaultESE_EEEENSA_INSB_IiSD_SE_SE_EEEEZNS1_13binary_searchIS3_S5_NSA_INS8_10device_ptrIsEEEESG_SI_NS1_16binary_search_opENS9_16wrapped_functionINS8_7greaterIsEEbEEEE10hipError_tPvRmT1_T2_T3_mmT4_T5_P12ihipStream_tbEUlRKsE_EESS_SW_SX_mSY_S11_bEUlT_E_NS1_11comp_targetILNS1_3genE5ELNS1_11target_archE942ELNS1_3gpuE9ELNS1_3repE0EEENS1_30default_config_static_selectorELNS0_4arch9wavefront6targetE0EEEvSV_: ; @_ZN7rocprim17ROCPRIM_400000_NS6detail17trampoline_kernelINS0_14default_configENS1_29binary_search_config_selectorIsiEEZNS1_14transform_implILb0ES3_S5_N6thrust23THRUST_200600_302600_NS6detail15normal_iteratorINS8_7pointerIsNS8_11hip_rocprim3tagENS8_11use_defaultESE_EEEENSA_INSB_IiSD_SE_SE_EEEEZNS1_13binary_searchIS3_S5_NSA_INS8_10device_ptrIsEEEESG_SI_NS1_16binary_search_opENS9_16wrapped_functionINS8_7greaterIsEEbEEEE10hipError_tPvRmT1_T2_T3_mmT4_T5_P12ihipStream_tbEUlRKsE_EESS_SW_SX_mSY_S11_bEUlT_E_NS1_11comp_targetILNS1_3genE5ELNS1_11target_archE942ELNS1_3gpuE9ELNS1_3repE0EEENS1_30default_config_static_selectorELNS0_4arch9wavefront6targetE0EEEvSV_
; %bb.0:
	.section	.rodata,"a",@progbits
	.p2align	6, 0x0
	.amdhsa_kernel _ZN7rocprim17ROCPRIM_400000_NS6detail17trampoline_kernelINS0_14default_configENS1_29binary_search_config_selectorIsiEEZNS1_14transform_implILb0ES3_S5_N6thrust23THRUST_200600_302600_NS6detail15normal_iteratorINS8_7pointerIsNS8_11hip_rocprim3tagENS8_11use_defaultESE_EEEENSA_INSB_IiSD_SE_SE_EEEEZNS1_13binary_searchIS3_S5_NSA_INS8_10device_ptrIsEEEESG_SI_NS1_16binary_search_opENS9_16wrapped_functionINS8_7greaterIsEEbEEEE10hipError_tPvRmT1_T2_T3_mmT4_T5_P12ihipStream_tbEUlRKsE_EESS_SW_SX_mSY_S11_bEUlT_E_NS1_11comp_targetILNS1_3genE5ELNS1_11target_archE942ELNS1_3gpuE9ELNS1_3repE0EEENS1_30default_config_static_selectorELNS0_4arch9wavefront6targetE0EEEvSV_
		.amdhsa_group_segment_fixed_size 0
		.amdhsa_private_segment_fixed_size 0
		.amdhsa_kernarg_size 56
		.amdhsa_user_sgpr_count 2
		.amdhsa_user_sgpr_dispatch_ptr 0
		.amdhsa_user_sgpr_queue_ptr 0
		.amdhsa_user_sgpr_kernarg_segment_ptr 1
		.amdhsa_user_sgpr_dispatch_id 0
		.amdhsa_user_sgpr_kernarg_preload_length 0
		.amdhsa_user_sgpr_kernarg_preload_offset 0
		.amdhsa_user_sgpr_private_segment_size 0
		.amdhsa_wavefront_size32 1
		.amdhsa_uses_dynamic_stack 0
		.amdhsa_enable_private_segment 0
		.amdhsa_system_sgpr_workgroup_id_x 1
		.amdhsa_system_sgpr_workgroup_id_y 0
		.amdhsa_system_sgpr_workgroup_id_z 0
		.amdhsa_system_sgpr_workgroup_info 0
		.amdhsa_system_vgpr_workitem_id 0
		.amdhsa_next_free_vgpr 1
		.amdhsa_next_free_sgpr 1
		.amdhsa_named_barrier_count 0
		.amdhsa_reserve_vcc 0
		.amdhsa_float_round_mode_32 0
		.amdhsa_float_round_mode_16_64 0
		.amdhsa_float_denorm_mode_32 3
		.amdhsa_float_denorm_mode_16_64 3
		.amdhsa_fp16_overflow 0
		.amdhsa_memory_ordered 1
		.amdhsa_forward_progress 1
		.amdhsa_inst_pref_size 0
		.amdhsa_round_robin_scheduling 0
		.amdhsa_exception_fp_ieee_invalid_op 0
		.amdhsa_exception_fp_denorm_src 0
		.amdhsa_exception_fp_ieee_div_zero 0
		.amdhsa_exception_fp_ieee_overflow 0
		.amdhsa_exception_fp_ieee_underflow 0
		.amdhsa_exception_fp_ieee_inexact 0
		.amdhsa_exception_int_div_zero 0
	.end_amdhsa_kernel
	.section	.text._ZN7rocprim17ROCPRIM_400000_NS6detail17trampoline_kernelINS0_14default_configENS1_29binary_search_config_selectorIsiEEZNS1_14transform_implILb0ES3_S5_N6thrust23THRUST_200600_302600_NS6detail15normal_iteratorINS8_7pointerIsNS8_11hip_rocprim3tagENS8_11use_defaultESE_EEEENSA_INSB_IiSD_SE_SE_EEEEZNS1_13binary_searchIS3_S5_NSA_INS8_10device_ptrIsEEEESG_SI_NS1_16binary_search_opENS9_16wrapped_functionINS8_7greaterIsEEbEEEE10hipError_tPvRmT1_T2_T3_mmT4_T5_P12ihipStream_tbEUlRKsE_EESS_SW_SX_mSY_S11_bEUlT_E_NS1_11comp_targetILNS1_3genE5ELNS1_11target_archE942ELNS1_3gpuE9ELNS1_3repE0EEENS1_30default_config_static_selectorELNS0_4arch9wavefront6targetE0EEEvSV_,"axG",@progbits,_ZN7rocprim17ROCPRIM_400000_NS6detail17trampoline_kernelINS0_14default_configENS1_29binary_search_config_selectorIsiEEZNS1_14transform_implILb0ES3_S5_N6thrust23THRUST_200600_302600_NS6detail15normal_iteratorINS8_7pointerIsNS8_11hip_rocprim3tagENS8_11use_defaultESE_EEEENSA_INSB_IiSD_SE_SE_EEEEZNS1_13binary_searchIS3_S5_NSA_INS8_10device_ptrIsEEEESG_SI_NS1_16binary_search_opENS9_16wrapped_functionINS8_7greaterIsEEbEEEE10hipError_tPvRmT1_T2_T3_mmT4_T5_P12ihipStream_tbEUlRKsE_EESS_SW_SX_mSY_S11_bEUlT_E_NS1_11comp_targetILNS1_3genE5ELNS1_11target_archE942ELNS1_3gpuE9ELNS1_3repE0EEENS1_30default_config_static_selectorELNS0_4arch9wavefront6targetE0EEEvSV_,comdat
.Lfunc_end150:
	.size	_ZN7rocprim17ROCPRIM_400000_NS6detail17trampoline_kernelINS0_14default_configENS1_29binary_search_config_selectorIsiEEZNS1_14transform_implILb0ES3_S5_N6thrust23THRUST_200600_302600_NS6detail15normal_iteratorINS8_7pointerIsNS8_11hip_rocprim3tagENS8_11use_defaultESE_EEEENSA_INSB_IiSD_SE_SE_EEEEZNS1_13binary_searchIS3_S5_NSA_INS8_10device_ptrIsEEEESG_SI_NS1_16binary_search_opENS9_16wrapped_functionINS8_7greaterIsEEbEEEE10hipError_tPvRmT1_T2_T3_mmT4_T5_P12ihipStream_tbEUlRKsE_EESS_SW_SX_mSY_S11_bEUlT_E_NS1_11comp_targetILNS1_3genE5ELNS1_11target_archE942ELNS1_3gpuE9ELNS1_3repE0EEENS1_30default_config_static_selectorELNS0_4arch9wavefront6targetE0EEEvSV_, .Lfunc_end150-_ZN7rocprim17ROCPRIM_400000_NS6detail17trampoline_kernelINS0_14default_configENS1_29binary_search_config_selectorIsiEEZNS1_14transform_implILb0ES3_S5_N6thrust23THRUST_200600_302600_NS6detail15normal_iteratorINS8_7pointerIsNS8_11hip_rocprim3tagENS8_11use_defaultESE_EEEENSA_INSB_IiSD_SE_SE_EEEEZNS1_13binary_searchIS3_S5_NSA_INS8_10device_ptrIsEEEESG_SI_NS1_16binary_search_opENS9_16wrapped_functionINS8_7greaterIsEEbEEEE10hipError_tPvRmT1_T2_T3_mmT4_T5_P12ihipStream_tbEUlRKsE_EESS_SW_SX_mSY_S11_bEUlT_E_NS1_11comp_targetILNS1_3genE5ELNS1_11target_archE942ELNS1_3gpuE9ELNS1_3repE0EEENS1_30default_config_static_selectorELNS0_4arch9wavefront6targetE0EEEvSV_
                                        ; -- End function
	.set _ZN7rocprim17ROCPRIM_400000_NS6detail17trampoline_kernelINS0_14default_configENS1_29binary_search_config_selectorIsiEEZNS1_14transform_implILb0ES3_S5_N6thrust23THRUST_200600_302600_NS6detail15normal_iteratorINS8_7pointerIsNS8_11hip_rocprim3tagENS8_11use_defaultESE_EEEENSA_INSB_IiSD_SE_SE_EEEEZNS1_13binary_searchIS3_S5_NSA_INS8_10device_ptrIsEEEESG_SI_NS1_16binary_search_opENS9_16wrapped_functionINS8_7greaterIsEEbEEEE10hipError_tPvRmT1_T2_T3_mmT4_T5_P12ihipStream_tbEUlRKsE_EESS_SW_SX_mSY_S11_bEUlT_E_NS1_11comp_targetILNS1_3genE5ELNS1_11target_archE942ELNS1_3gpuE9ELNS1_3repE0EEENS1_30default_config_static_selectorELNS0_4arch9wavefront6targetE0EEEvSV_.num_vgpr, 0
	.set _ZN7rocprim17ROCPRIM_400000_NS6detail17trampoline_kernelINS0_14default_configENS1_29binary_search_config_selectorIsiEEZNS1_14transform_implILb0ES3_S5_N6thrust23THRUST_200600_302600_NS6detail15normal_iteratorINS8_7pointerIsNS8_11hip_rocprim3tagENS8_11use_defaultESE_EEEENSA_INSB_IiSD_SE_SE_EEEEZNS1_13binary_searchIS3_S5_NSA_INS8_10device_ptrIsEEEESG_SI_NS1_16binary_search_opENS9_16wrapped_functionINS8_7greaterIsEEbEEEE10hipError_tPvRmT1_T2_T3_mmT4_T5_P12ihipStream_tbEUlRKsE_EESS_SW_SX_mSY_S11_bEUlT_E_NS1_11comp_targetILNS1_3genE5ELNS1_11target_archE942ELNS1_3gpuE9ELNS1_3repE0EEENS1_30default_config_static_selectorELNS0_4arch9wavefront6targetE0EEEvSV_.num_agpr, 0
	.set _ZN7rocprim17ROCPRIM_400000_NS6detail17trampoline_kernelINS0_14default_configENS1_29binary_search_config_selectorIsiEEZNS1_14transform_implILb0ES3_S5_N6thrust23THRUST_200600_302600_NS6detail15normal_iteratorINS8_7pointerIsNS8_11hip_rocprim3tagENS8_11use_defaultESE_EEEENSA_INSB_IiSD_SE_SE_EEEEZNS1_13binary_searchIS3_S5_NSA_INS8_10device_ptrIsEEEESG_SI_NS1_16binary_search_opENS9_16wrapped_functionINS8_7greaterIsEEbEEEE10hipError_tPvRmT1_T2_T3_mmT4_T5_P12ihipStream_tbEUlRKsE_EESS_SW_SX_mSY_S11_bEUlT_E_NS1_11comp_targetILNS1_3genE5ELNS1_11target_archE942ELNS1_3gpuE9ELNS1_3repE0EEENS1_30default_config_static_selectorELNS0_4arch9wavefront6targetE0EEEvSV_.numbered_sgpr, 0
	.set _ZN7rocprim17ROCPRIM_400000_NS6detail17trampoline_kernelINS0_14default_configENS1_29binary_search_config_selectorIsiEEZNS1_14transform_implILb0ES3_S5_N6thrust23THRUST_200600_302600_NS6detail15normal_iteratorINS8_7pointerIsNS8_11hip_rocprim3tagENS8_11use_defaultESE_EEEENSA_INSB_IiSD_SE_SE_EEEEZNS1_13binary_searchIS3_S5_NSA_INS8_10device_ptrIsEEEESG_SI_NS1_16binary_search_opENS9_16wrapped_functionINS8_7greaterIsEEbEEEE10hipError_tPvRmT1_T2_T3_mmT4_T5_P12ihipStream_tbEUlRKsE_EESS_SW_SX_mSY_S11_bEUlT_E_NS1_11comp_targetILNS1_3genE5ELNS1_11target_archE942ELNS1_3gpuE9ELNS1_3repE0EEENS1_30default_config_static_selectorELNS0_4arch9wavefront6targetE0EEEvSV_.num_named_barrier, 0
	.set _ZN7rocprim17ROCPRIM_400000_NS6detail17trampoline_kernelINS0_14default_configENS1_29binary_search_config_selectorIsiEEZNS1_14transform_implILb0ES3_S5_N6thrust23THRUST_200600_302600_NS6detail15normal_iteratorINS8_7pointerIsNS8_11hip_rocprim3tagENS8_11use_defaultESE_EEEENSA_INSB_IiSD_SE_SE_EEEEZNS1_13binary_searchIS3_S5_NSA_INS8_10device_ptrIsEEEESG_SI_NS1_16binary_search_opENS9_16wrapped_functionINS8_7greaterIsEEbEEEE10hipError_tPvRmT1_T2_T3_mmT4_T5_P12ihipStream_tbEUlRKsE_EESS_SW_SX_mSY_S11_bEUlT_E_NS1_11comp_targetILNS1_3genE5ELNS1_11target_archE942ELNS1_3gpuE9ELNS1_3repE0EEENS1_30default_config_static_selectorELNS0_4arch9wavefront6targetE0EEEvSV_.private_seg_size, 0
	.set _ZN7rocprim17ROCPRIM_400000_NS6detail17trampoline_kernelINS0_14default_configENS1_29binary_search_config_selectorIsiEEZNS1_14transform_implILb0ES3_S5_N6thrust23THRUST_200600_302600_NS6detail15normal_iteratorINS8_7pointerIsNS8_11hip_rocprim3tagENS8_11use_defaultESE_EEEENSA_INSB_IiSD_SE_SE_EEEEZNS1_13binary_searchIS3_S5_NSA_INS8_10device_ptrIsEEEESG_SI_NS1_16binary_search_opENS9_16wrapped_functionINS8_7greaterIsEEbEEEE10hipError_tPvRmT1_T2_T3_mmT4_T5_P12ihipStream_tbEUlRKsE_EESS_SW_SX_mSY_S11_bEUlT_E_NS1_11comp_targetILNS1_3genE5ELNS1_11target_archE942ELNS1_3gpuE9ELNS1_3repE0EEENS1_30default_config_static_selectorELNS0_4arch9wavefront6targetE0EEEvSV_.uses_vcc, 0
	.set _ZN7rocprim17ROCPRIM_400000_NS6detail17trampoline_kernelINS0_14default_configENS1_29binary_search_config_selectorIsiEEZNS1_14transform_implILb0ES3_S5_N6thrust23THRUST_200600_302600_NS6detail15normal_iteratorINS8_7pointerIsNS8_11hip_rocprim3tagENS8_11use_defaultESE_EEEENSA_INSB_IiSD_SE_SE_EEEEZNS1_13binary_searchIS3_S5_NSA_INS8_10device_ptrIsEEEESG_SI_NS1_16binary_search_opENS9_16wrapped_functionINS8_7greaterIsEEbEEEE10hipError_tPvRmT1_T2_T3_mmT4_T5_P12ihipStream_tbEUlRKsE_EESS_SW_SX_mSY_S11_bEUlT_E_NS1_11comp_targetILNS1_3genE5ELNS1_11target_archE942ELNS1_3gpuE9ELNS1_3repE0EEENS1_30default_config_static_selectorELNS0_4arch9wavefront6targetE0EEEvSV_.uses_flat_scratch, 0
	.set _ZN7rocprim17ROCPRIM_400000_NS6detail17trampoline_kernelINS0_14default_configENS1_29binary_search_config_selectorIsiEEZNS1_14transform_implILb0ES3_S5_N6thrust23THRUST_200600_302600_NS6detail15normal_iteratorINS8_7pointerIsNS8_11hip_rocprim3tagENS8_11use_defaultESE_EEEENSA_INSB_IiSD_SE_SE_EEEEZNS1_13binary_searchIS3_S5_NSA_INS8_10device_ptrIsEEEESG_SI_NS1_16binary_search_opENS9_16wrapped_functionINS8_7greaterIsEEbEEEE10hipError_tPvRmT1_T2_T3_mmT4_T5_P12ihipStream_tbEUlRKsE_EESS_SW_SX_mSY_S11_bEUlT_E_NS1_11comp_targetILNS1_3genE5ELNS1_11target_archE942ELNS1_3gpuE9ELNS1_3repE0EEENS1_30default_config_static_selectorELNS0_4arch9wavefront6targetE0EEEvSV_.has_dyn_sized_stack, 0
	.set _ZN7rocprim17ROCPRIM_400000_NS6detail17trampoline_kernelINS0_14default_configENS1_29binary_search_config_selectorIsiEEZNS1_14transform_implILb0ES3_S5_N6thrust23THRUST_200600_302600_NS6detail15normal_iteratorINS8_7pointerIsNS8_11hip_rocprim3tagENS8_11use_defaultESE_EEEENSA_INSB_IiSD_SE_SE_EEEEZNS1_13binary_searchIS3_S5_NSA_INS8_10device_ptrIsEEEESG_SI_NS1_16binary_search_opENS9_16wrapped_functionINS8_7greaterIsEEbEEEE10hipError_tPvRmT1_T2_T3_mmT4_T5_P12ihipStream_tbEUlRKsE_EESS_SW_SX_mSY_S11_bEUlT_E_NS1_11comp_targetILNS1_3genE5ELNS1_11target_archE942ELNS1_3gpuE9ELNS1_3repE0EEENS1_30default_config_static_selectorELNS0_4arch9wavefront6targetE0EEEvSV_.has_recursion, 0
	.set _ZN7rocprim17ROCPRIM_400000_NS6detail17trampoline_kernelINS0_14default_configENS1_29binary_search_config_selectorIsiEEZNS1_14transform_implILb0ES3_S5_N6thrust23THRUST_200600_302600_NS6detail15normal_iteratorINS8_7pointerIsNS8_11hip_rocprim3tagENS8_11use_defaultESE_EEEENSA_INSB_IiSD_SE_SE_EEEEZNS1_13binary_searchIS3_S5_NSA_INS8_10device_ptrIsEEEESG_SI_NS1_16binary_search_opENS9_16wrapped_functionINS8_7greaterIsEEbEEEE10hipError_tPvRmT1_T2_T3_mmT4_T5_P12ihipStream_tbEUlRKsE_EESS_SW_SX_mSY_S11_bEUlT_E_NS1_11comp_targetILNS1_3genE5ELNS1_11target_archE942ELNS1_3gpuE9ELNS1_3repE0EEENS1_30default_config_static_selectorELNS0_4arch9wavefront6targetE0EEEvSV_.has_indirect_call, 0
	.section	.AMDGPU.csdata,"",@progbits
; Kernel info:
; codeLenInByte = 0
; TotalNumSgprs: 0
; NumVgprs: 0
; ScratchSize: 0
; MemoryBound: 0
; FloatMode: 240
; IeeeMode: 1
; LDSByteSize: 0 bytes/workgroup (compile time only)
; SGPRBlocks: 0
; VGPRBlocks: 0
; NumSGPRsForWavesPerEU: 1
; NumVGPRsForWavesPerEU: 1
; NamedBarCnt: 0
; Occupancy: 16
; WaveLimiterHint : 0
; COMPUTE_PGM_RSRC2:SCRATCH_EN: 0
; COMPUTE_PGM_RSRC2:USER_SGPR: 2
; COMPUTE_PGM_RSRC2:TRAP_HANDLER: 0
; COMPUTE_PGM_RSRC2:TGID_X_EN: 1
; COMPUTE_PGM_RSRC2:TGID_Y_EN: 0
; COMPUTE_PGM_RSRC2:TGID_Z_EN: 0
; COMPUTE_PGM_RSRC2:TIDIG_COMP_CNT: 0
	.section	.text._ZN7rocprim17ROCPRIM_400000_NS6detail17trampoline_kernelINS0_14default_configENS1_29binary_search_config_selectorIsiEEZNS1_14transform_implILb0ES3_S5_N6thrust23THRUST_200600_302600_NS6detail15normal_iteratorINS8_7pointerIsNS8_11hip_rocprim3tagENS8_11use_defaultESE_EEEENSA_INSB_IiSD_SE_SE_EEEEZNS1_13binary_searchIS3_S5_NSA_INS8_10device_ptrIsEEEESG_SI_NS1_16binary_search_opENS9_16wrapped_functionINS8_7greaterIsEEbEEEE10hipError_tPvRmT1_T2_T3_mmT4_T5_P12ihipStream_tbEUlRKsE_EESS_SW_SX_mSY_S11_bEUlT_E_NS1_11comp_targetILNS1_3genE4ELNS1_11target_archE910ELNS1_3gpuE8ELNS1_3repE0EEENS1_30default_config_static_selectorELNS0_4arch9wavefront6targetE0EEEvSV_,"axG",@progbits,_ZN7rocprim17ROCPRIM_400000_NS6detail17trampoline_kernelINS0_14default_configENS1_29binary_search_config_selectorIsiEEZNS1_14transform_implILb0ES3_S5_N6thrust23THRUST_200600_302600_NS6detail15normal_iteratorINS8_7pointerIsNS8_11hip_rocprim3tagENS8_11use_defaultESE_EEEENSA_INSB_IiSD_SE_SE_EEEEZNS1_13binary_searchIS3_S5_NSA_INS8_10device_ptrIsEEEESG_SI_NS1_16binary_search_opENS9_16wrapped_functionINS8_7greaterIsEEbEEEE10hipError_tPvRmT1_T2_T3_mmT4_T5_P12ihipStream_tbEUlRKsE_EESS_SW_SX_mSY_S11_bEUlT_E_NS1_11comp_targetILNS1_3genE4ELNS1_11target_archE910ELNS1_3gpuE8ELNS1_3repE0EEENS1_30default_config_static_selectorELNS0_4arch9wavefront6targetE0EEEvSV_,comdat
	.protected	_ZN7rocprim17ROCPRIM_400000_NS6detail17trampoline_kernelINS0_14default_configENS1_29binary_search_config_selectorIsiEEZNS1_14transform_implILb0ES3_S5_N6thrust23THRUST_200600_302600_NS6detail15normal_iteratorINS8_7pointerIsNS8_11hip_rocprim3tagENS8_11use_defaultESE_EEEENSA_INSB_IiSD_SE_SE_EEEEZNS1_13binary_searchIS3_S5_NSA_INS8_10device_ptrIsEEEESG_SI_NS1_16binary_search_opENS9_16wrapped_functionINS8_7greaterIsEEbEEEE10hipError_tPvRmT1_T2_T3_mmT4_T5_P12ihipStream_tbEUlRKsE_EESS_SW_SX_mSY_S11_bEUlT_E_NS1_11comp_targetILNS1_3genE4ELNS1_11target_archE910ELNS1_3gpuE8ELNS1_3repE0EEENS1_30default_config_static_selectorELNS0_4arch9wavefront6targetE0EEEvSV_ ; -- Begin function _ZN7rocprim17ROCPRIM_400000_NS6detail17trampoline_kernelINS0_14default_configENS1_29binary_search_config_selectorIsiEEZNS1_14transform_implILb0ES3_S5_N6thrust23THRUST_200600_302600_NS6detail15normal_iteratorINS8_7pointerIsNS8_11hip_rocprim3tagENS8_11use_defaultESE_EEEENSA_INSB_IiSD_SE_SE_EEEEZNS1_13binary_searchIS3_S5_NSA_INS8_10device_ptrIsEEEESG_SI_NS1_16binary_search_opENS9_16wrapped_functionINS8_7greaterIsEEbEEEE10hipError_tPvRmT1_T2_T3_mmT4_T5_P12ihipStream_tbEUlRKsE_EESS_SW_SX_mSY_S11_bEUlT_E_NS1_11comp_targetILNS1_3genE4ELNS1_11target_archE910ELNS1_3gpuE8ELNS1_3repE0EEENS1_30default_config_static_selectorELNS0_4arch9wavefront6targetE0EEEvSV_
	.globl	_ZN7rocprim17ROCPRIM_400000_NS6detail17trampoline_kernelINS0_14default_configENS1_29binary_search_config_selectorIsiEEZNS1_14transform_implILb0ES3_S5_N6thrust23THRUST_200600_302600_NS6detail15normal_iteratorINS8_7pointerIsNS8_11hip_rocprim3tagENS8_11use_defaultESE_EEEENSA_INSB_IiSD_SE_SE_EEEEZNS1_13binary_searchIS3_S5_NSA_INS8_10device_ptrIsEEEESG_SI_NS1_16binary_search_opENS9_16wrapped_functionINS8_7greaterIsEEbEEEE10hipError_tPvRmT1_T2_T3_mmT4_T5_P12ihipStream_tbEUlRKsE_EESS_SW_SX_mSY_S11_bEUlT_E_NS1_11comp_targetILNS1_3genE4ELNS1_11target_archE910ELNS1_3gpuE8ELNS1_3repE0EEENS1_30default_config_static_selectorELNS0_4arch9wavefront6targetE0EEEvSV_
	.p2align	8
	.type	_ZN7rocprim17ROCPRIM_400000_NS6detail17trampoline_kernelINS0_14default_configENS1_29binary_search_config_selectorIsiEEZNS1_14transform_implILb0ES3_S5_N6thrust23THRUST_200600_302600_NS6detail15normal_iteratorINS8_7pointerIsNS8_11hip_rocprim3tagENS8_11use_defaultESE_EEEENSA_INSB_IiSD_SE_SE_EEEEZNS1_13binary_searchIS3_S5_NSA_INS8_10device_ptrIsEEEESG_SI_NS1_16binary_search_opENS9_16wrapped_functionINS8_7greaterIsEEbEEEE10hipError_tPvRmT1_T2_T3_mmT4_T5_P12ihipStream_tbEUlRKsE_EESS_SW_SX_mSY_S11_bEUlT_E_NS1_11comp_targetILNS1_3genE4ELNS1_11target_archE910ELNS1_3gpuE8ELNS1_3repE0EEENS1_30default_config_static_selectorELNS0_4arch9wavefront6targetE0EEEvSV_,@function
_ZN7rocprim17ROCPRIM_400000_NS6detail17trampoline_kernelINS0_14default_configENS1_29binary_search_config_selectorIsiEEZNS1_14transform_implILb0ES3_S5_N6thrust23THRUST_200600_302600_NS6detail15normal_iteratorINS8_7pointerIsNS8_11hip_rocprim3tagENS8_11use_defaultESE_EEEENSA_INSB_IiSD_SE_SE_EEEEZNS1_13binary_searchIS3_S5_NSA_INS8_10device_ptrIsEEEESG_SI_NS1_16binary_search_opENS9_16wrapped_functionINS8_7greaterIsEEbEEEE10hipError_tPvRmT1_T2_T3_mmT4_T5_P12ihipStream_tbEUlRKsE_EESS_SW_SX_mSY_S11_bEUlT_E_NS1_11comp_targetILNS1_3genE4ELNS1_11target_archE910ELNS1_3gpuE8ELNS1_3repE0EEENS1_30default_config_static_selectorELNS0_4arch9wavefront6targetE0EEEvSV_: ; @_ZN7rocprim17ROCPRIM_400000_NS6detail17trampoline_kernelINS0_14default_configENS1_29binary_search_config_selectorIsiEEZNS1_14transform_implILb0ES3_S5_N6thrust23THRUST_200600_302600_NS6detail15normal_iteratorINS8_7pointerIsNS8_11hip_rocprim3tagENS8_11use_defaultESE_EEEENSA_INSB_IiSD_SE_SE_EEEEZNS1_13binary_searchIS3_S5_NSA_INS8_10device_ptrIsEEEESG_SI_NS1_16binary_search_opENS9_16wrapped_functionINS8_7greaterIsEEbEEEE10hipError_tPvRmT1_T2_T3_mmT4_T5_P12ihipStream_tbEUlRKsE_EESS_SW_SX_mSY_S11_bEUlT_E_NS1_11comp_targetILNS1_3genE4ELNS1_11target_archE910ELNS1_3gpuE8ELNS1_3repE0EEENS1_30default_config_static_selectorELNS0_4arch9wavefront6targetE0EEEvSV_
; %bb.0:
	.section	.rodata,"a",@progbits
	.p2align	6, 0x0
	.amdhsa_kernel _ZN7rocprim17ROCPRIM_400000_NS6detail17trampoline_kernelINS0_14default_configENS1_29binary_search_config_selectorIsiEEZNS1_14transform_implILb0ES3_S5_N6thrust23THRUST_200600_302600_NS6detail15normal_iteratorINS8_7pointerIsNS8_11hip_rocprim3tagENS8_11use_defaultESE_EEEENSA_INSB_IiSD_SE_SE_EEEEZNS1_13binary_searchIS3_S5_NSA_INS8_10device_ptrIsEEEESG_SI_NS1_16binary_search_opENS9_16wrapped_functionINS8_7greaterIsEEbEEEE10hipError_tPvRmT1_T2_T3_mmT4_T5_P12ihipStream_tbEUlRKsE_EESS_SW_SX_mSY_S11_bEUlT_E_NS1_11comp_targetILNS1_3genE4ELNS1_11target_archE910ELNS1_3gpuE8ELNS1_3repE0EEENS1_30default_config_static_selectorELNS0_4arch9wavefront6targetE0EEEvSV_
		.amdhsa_group_segment_fixed_size 0
		.amdhsa_private_segment_fixed_size 0
		.amdhsa_kernarg_size 56
		.amdhsa_user_sgpr_count 2
		.amdhsa_user_sgpr_dispatch_ptr 0
		.amdhsa_user_sgpr_queue_ptr 0
		.amdhsa_user_sgpr_kernarg_segment_ptr 1
		.amdhsa_user_sgpr_dispatch_id 0
		.amdhsa_user_sgpr_kernarg_preload_length 0
		.amdhsa_user_sgpr_kernarg_preload_offset 0
		.amdhsa_user_sgpr_private_segment_size 0
		.amdhsa_wavefront_size32 1
		.amdhsa_uses_dynamic_stack 0
		.amdhsa_enable_private_segment 0
		.amdhsa_system_sgpr_workgroup_id_x 1
		.amdhsa_system_sgpr_workgroup_id_y 0
		.amdhsa_system_sgpr_workgroup_id_z 0
		.amdhsa_system_sgpr_workgroup_info 0
		.amdhsa_system_vgpr_workitem_id 0
		.amdhsa_next_free_vgpr 1
		.amdhsa_next_free_sgpr 1
		.amdhsa_named_barrier_count 0
		.amdhsa_reserve_vcc 0
		.amdhsa_float_round_mode_32 0
		.amdhsa_float_round_mode_16_64 0
		.amdhsa_float_denorm_mode_32 3
		.amdhsa_float_denorm_mode_16_64 3
		.amdhsa_fp16_overflow 0
		.amdhsa_memory_ordered 1
		.amdhsa_forward_progress 1
		.amdhsa_inst_pref_size 0
		.amdhsa_round_robin_scheduling 0
		.amdhsa_exception_fp_ieee_invalid_op 0
		.amdhsa_exception_fp_denorm_src 0
		.amdhsa_exception_fp_ieee_div_zero 0
		.amdhsa_exception_fp_ieee_overflow 0
		.amdhsa_exception_fp_ieee_underflow 0
		.amdhsa_exception_fp_ieee_inexact 0
		.amdhsa_exception_int_div_zero 0
	.end_amdhsa_kernel
	.section	.text._ZN7rocprim17ROCPRIM_400000_NS6detail17trampoline_kernelINS0_14default_configENS1_29binary_search_config_selectorIsiEEZNS1_14transform_implILb0ES3_S5_N6thrust23THRUST_200600_302600_NS6detail15normal_iteratorINS8_7pointerIsNS8_11hip_rocprim3tagENS8_11use_defaultESE_EEEENSA_INSB_IiSD_SE_SE_EEEEZNS1_13binary_searchIS3_S5_NSA_INS8_10device_ptrIsEEEESG_SI_NS1_16binary_search_opENS9_16wrapped_functionINS8_7greaterIsEEbEEEE10hipError_tPvRmT1_T2_T3_mmT4_T5_P12ihipStream_tbEUlRKsE_EESS_SW_SX_mSY_S11_bEUlT_E_NS1_11comp_targetILNS1_3genE4ELNS1_11target_archE910ELNS1_3gpuE8ELNS1_3repE0EEENS1_30default_config_static_selectorELNS0_4arch9wavefront6targetE0EEEvSV_,"axG",@progbits,_ZN7rocprim17ROCPRIM_400000_NS6detail17trampoline_kernelINS0_14default_configENS1_29binary_search_config_selectorIsiEEZNS1_14transform_implILb0ES3_S5_N6thrust23THRUST_200600_302600_NS6detail15normal_iteratorINS8_7pointerIsNS8_11hip_rocprim3tagENS8_11use_defaultESE_EEEENSA_INSB_IiSD_SE_SE_EEEEZNS1_13binary_searchIS3_S5_NSA_INS8_10device_ptrIsEEEESG_SI_NS1_16binary_search_opENS9_16wrapped_functionINS8_7greaterIsEEbEEEE10hipError_tPvRmT1_T2_T3_mmT4_T5_P12ihipStream_tbEUlRKsE_EESS_SW_SX_mSY_S11_bEUlT_E_NS1_11comp_targetILNS1_3genE4ELNS1_11target_archE910ELNS1_3gpuE8ELNS1_3repE0EEENS1_30default_config_static_selectorELNS0_4arch9wavefront6targetE0EEEvSV_,comdat
.Lfunc_end151:
	.size	_ZN7rocprim17ROCPRIM_400000_NS6detail17trampoline_kernelINS0_14default_configENS1_29binary_search_config_selectorIsiEEZNS1_14transform_implILb0ES3_S5_N6thrust23THRUST_200600_302600_NS6detail15normal_iteratorINS8_7pointerIsNS8_11hip_rocprim3tagENS8_11use_defaultESE_EEEENSA_INSB_IiSD_SE_SE_EEEEZNS1_13binary_searchIS3_S5_NSA_INS8_10device_ptrIsEEEESG_SI_NS1_16binary_search_opENS9_16wrapped_functionINS8_7greaterIsEEbEEEE10hipError_tPvRmT1_T2_T3_mmT4_T5_P12ihipStream_tbEUlRKsE_EESS_SW_SX_mSY_S11_bEUlT_E_NS1_11comp_targetILNS1_3genE4ELNS1_11target_archE910ELNS1_3gpuE8ELNS1_3repE0EEENS1_30default_config_static_selectorELNS0_4arch9wavefront6targetE0EEEvSV_, .Lfunc_end151-_ZN7rocprim17ROCPRIM_400000_NS6detail17trampoline_kernelINS0_14default_configENS1_29binary_search_config_selectorIsiEEZNS1_14transform_implILb0ES3_S5_N6thrust23THRUST_200600_302600_NS6detail15normal_iteratorINS8_7pointerIsNS8_11hip_rocprim3tagENS8_11use_defaultESE_EEEENSA_INSB_IiSD_SE_SE_EEEEZNS1_13binary_searchIS3_S5_NSA_INS8_10device_ptrIsEEEESG_SI_NS1_16binary_search_opENS9_16wrapped_functionINS8_7greaterIsEEbEEEE10hipError_tPvRmT1_T2_T3_mmT4_T5_P12ihipStream_tbEUlRKsE_EESS_SW_SX_mSY_S11_bEUlT_E_NS1_11comp_targetILNS1_3genE4ELNS1_11target_archE910ELNS1_3gpuE8ELNS1_3repE0EEENS1_30default_config_static_selectorELNS0_4arch9wavefront6targetE0EEEvSV_
                                        ; -- End function
	.set _ZN7rocprim17ROCPRIM_400000_NS6detail17trampoline_kernelINS0_14default_configENS1_29binary_search_config_selectorIsiEEZNS1_14transform_implILb0ES3_S5_N6thrust23THRUST_200600_302600_NS6detail15normal_iteratorINS8_7pointerIsNS8_11hip_rocprim3tagENS8_11use_defaultESE_EEEENSA_INSB_IiSD_SE_SE_EEEEZNS1_13binary_searchIS3_S5_NSA_INS8_10device_ptrIsEEEESG_SI_NS1_16binary_search_opENS9_16wrapped_functionINS8_7greaterIsEEbEEEE10hipError_tPvRmT1_T2_T3_mmT4_T5_P12ihipStream_tbEUlRKsE_EESS_SW_SX_mSY_S11_bEUlT_E_NS1_11comp_targetILNS1_3genE4ELNS1_11target_archE910ELNS1_3gpuE8ELNS1_3repE0EEENS1_30default_config_static_selectorELNS0_4arch9wavefront6targetE0EEEvSV_.num_vgpr, 0
	.set _ZN7rocprim17ROCPRIM_400000_NS6detail17trampoline_kernelINS0_14default_configENS1_29binary_search_config_selectorIsiEEZNS1_14transform_implILb0ES3_S5_N6thrust23THRUST_200600_302600_NS6detail15normal_iteratorINS8_7pointerIsNS8_11hip_rocprim3tagENS8_11use_defaultESE_EEEENSA_INSB_IiSD_SE_SE_EEEEZNS1_13binary_searchIS3_S5_NSA_INS8_10device_ptrIsEEEESG_SI_NS1_16binary_search_opENS9_16wrapped_functionINS8_7greaterIsEEbEEEE10hipError_tPvRmT1_T2_T3_mmT4_T5_P12ihipStream_tbEUlRKsE_EESS_SW_SX_mSY_S11_bEUlT_E_NS1_11comp_targetILNS1_3genE4ELNS1_11target_archE910ELNS1_3gpuE8ELNS1_3repE0EEENS1_30default_config_static_selectorELNS0_4arch9wavefront6targetE0EEEvSV_.num_agpr, 0
	.set _ZN7rocprim17ROCPRIM_400000_NS6detail17trampoline_kernelINS0_14default_configENS1_29binary_search_config_selectorIsiEEZNS1_14transform_implILb0ES3_S5_N6thrust23THRUST_200600_302600_NS6detail15normal_iteratorINS8_7pointerIsNS8_11hip_rocprim3tagENS8_11use_defaultESE_EEEENSA_INSB_IiSD_SE_SE_EEEEZNS1_13binary_searchIS3_S5_NSA_INS8_10device_ptrIsEEEESG_SI_NS1_16binary_search_opENS9_16wrapped_functionINS8_7greaterIsEEbEEEE10hipError_tPvRmT1_T2_T3_mmT4_T5_P12ihipStream_tbEUlRKsE_EESS_SW_SX_mSY_S11_bEUlT_E_NS1_11comp_targetILNS1_3genE4ELNS1_11target_archE910ELNS1_3gpuE8ELNS1_3repE0EEENS1_30default_config_static_selectorELNS0_4arch9wavefront6targetE0EEEvSV_.numbered_sgpr, 0
	.set _ZN7rocprim17ROCPRIM_400000_NS6detail17trampoline_kernelINS0_14default_configENS1_29binary_search_config_selectorIsiEEZNS1_14transform_implILb0ES3_S5_N6thrust23THRUST_200600_302600_NS6detail15normal_iteratorINS8_7pointerIsNS8_11hip_rocprim3tagENS8_11use_defaultESE_EEEENSA_INSB_IiSD_SE_SE_EEEEZNS1_13binary_searchIS3_S5_NSA_INS8_10device_ptrIsEEEESG_SI_NS1_16binary_search_opENS9_16wrapped_functionINS8_7greaterIsEEbEEEE10hipError_tPvRmT1_T2_T3_mmT4_T5_P12ihipStream_tbEUlRKsE_EESS_SW_SX_mSY_S11_bEUlT_E_NS1_11comp_targetILNS1_3genE4ELNS1_11target_archE910ELNS1_3gpuE8ELNS1_3repE0EEENS1_30default_config_static_selectorELNS0_4arch9wavefront6targetE0EEEvSV_.num_named_barrier, 0
	.set _ZN7rocprim17ROCPRIM_400000_NS6detail17trampoline_kernelINS0_14default_configENS1_29binary_search_config_selectorIsiEEZNS1_14transform_implILb0ES3_S5_N6thrust23THRUST_200600_302600_NS6detail15normal_iteratorINS8_7pointerIsNS8_11hip_rocprim3tagENS8_11use_defaultESE_EEEENSA_INSB_IiSD_SE_SE_EEEEZNS1_13binary_searchIS3_S5_NSA_INS8_10device_ptrIsEEEESG_SI_NS1_16binary_search_opENS9_16wrapped_functionINS8_7greaterIsEEbEEEE10hipError_tPvRmT1_T2_T3_mmT4_T5_P12ihipStream_tbEUlRKsE_EESS_SW_SX_mSY_S11_bEUlT_E_NS1_11comp_targetILNS1_3genE4ELNS1_11target_archE910ELNS1_3gpuE8ELNS1_3repE0EEENS1_30default_config_static_selectorELNS0_4arch9wavefront6targetE0EEEvSV_.private_seg_size, 0
	.set _ZN7rocprim17ROCPRIM_400000_NS6detail17trampoline_kernelINS0_14default_configENS1_29binary_search_config_selectorIsiEEZNS1_14transform_implILb0ES3_S5_N6thrust23THRUST_200600_302600_NS6detail15normal_iteratorINS8_7pointerIsNS8_11hip_rocprim3tagENS8_11use_defaultESE_EEEENSA_INSB_IiSD_SE_SE_EEEEZNS1_13binary_searchIS3_S5_NSA_INS8_10device_ptrIsEEEESG_SI_NS1_16binary_search_opENS9_16wrapped_functionINS8_7greaterIsEEbEEEE10hipError_tPvRmT1_T2_T3_mmT4_T5_P12ihipStream_tbEUlRKsE_EESS_SW_SX_mSY_S11_bEUlT_E_NS1_11comp_targetILNS1_3genE4ELNS1_11target_archE910ELNS1_3gpuE8ELNS1_3repE0EEENS1_30default_config_static_selectorELNS0_4arch9wavefront6targetE0EEEvSV_.uses_vcc, 0
	.set _ZN7rocprim17ROCPRIM_400000_NS6detail17trampoline_kernelINS0_14default_configENS1_29binary_search_config_selectorIsiEEZNS1_14transform_implILb0ES3_S5_N6thrust23THRUST_200600_302600_NS6detail15normal_iteratorINS8_7pointerIsNS8_11hip_rocprim3tagENS8_11use_defaultESE_EEEENSA_INSB_IiSD_SE_SE_EEEEZNS1_13binary_searchIS3_S5_NSA_INS8_10device_ptrIsEEEESG_SI_NS1_16binary_search_opENS9_16wrapped_functionINS8_7greaterIsEEbEEEE10hipError_tPvRmT1_T2_T3_mmT4_T5_P12ihipStream_tbEUlRKsE_EESS_SW_SX_mSY_S11_bEUlT_E_NS1_11comp_targetILNS1_3genE4ELNS1_11target_archE910ELNS1_3gpuE8ELNS1_3repE0EEENS1_30default_config_static_selectorELNS0_4arch9wavefront6targetE0EEEvSV_.uses_flat_scratch, 0
	.set _ZN7rocprim17ROCPRIM_400000_NS6detail17trampoline_kernelINS0_14default_configENS1_29binary_search_config_selectorIsiEEZNS1_14transform_implILb0ES3_S5_N6thrust23THRUST_200600_302600_NS6detail15normal_iteratorINS8_7pointerIsNS8_11hip_rocprim3tagENS8_11use_defaultESE_EEEENSA_INSB_IiSD_SE_SE_EEEEZNS1_13binary_searchIS3_S5_NSA_INS8_10device_ptrIsEEEESG_SI_NS1_16binary_search_opENS9_16wrapped_functionINS8_7greaterIsEEbEEEE10hipError_tPvRmT1_T2_T3_mmT4_T5_P12ihipStream_tbEUlRKsE_EESS_SW_SX_mSY_S11_bEUlT_E_NS1_11comp_targetILNS1_3genE4ELNS1_11target_archE910ELNS1_3gpuE8ELNS1_3repE0EEENS1_30default_config_static_selectorELNS0_4arch9wavefront6targetE0EEEvSV_.has_dyn_sized_stack, 0
	.set _ZN7rocprim17ROCPRIM_400000_NS6detail17trampoline_kernelINS0_14default_configENS1_29binary_search_config_selectorIsiEEZNS1_14transform_implILb0ES3_S5_N6thrust23THRUST_200600_302600_NS6detail15normal_iteratorINS8_7pointerIsNS8_11hip_rocprim3tagENS8_11use_defaultESE_EEEENSA_INSB_IiSD_SE_SE_EEEEZNS1_13binary_searchIS3_S5_NSA_INS8_10device_ptrIsEEEESG_SI_NS1_16binary_search_opENS9_16wrapped_functionINS8_7greaterIsEEbEEEE10hipError_tPvRmT1_T2_T3_mmT4_T5_P12ihipStream_tbEUlRKsE_EESS_SW_SX_mSY_S11_bEUlT_E_NS1_11comp_targetILNS1_3genE4ELNS1_11target_archE910ELNS1_3gpuE8ELNS1_3repE0EEENS1_30default_config_static_selectorELNS0_4arch9wavefront6targetE0EEEvSV_.has_recursion, 0
	.set _ZN7rocprim17ROCPRIM_400000_NS6detail17trampoline_kernelINS0_14default_configENS1_29binary_search_config_selectorIsiEEZNS1_14transform_implILb0ES3_S5_N6thrust23THRUST_200600_302600_NS6detail15normal_iteratorINS8_7pointerIsNS8_11hip_rocprim3tagENS8_11use_defaultESE_EEEENSA_INSB_IiSD_SE_SE_EEEEZNS1_13binary_searchIS3_S5_NSA_INS8_10device_ptrIsEEEESG_SI_NS1_16binary_search_opENS9_16wrapped_functionINS8_7greaterIsEEbEEEE10hipError_tPvRmT1_T2_T3_mmT4_T5_P12ihipStream_tbEUlRKsE_EESS_SW_SX_mSY_S11_bEUlT_E_NS1_11comp_targetILNS1_3genE4ELNS1_11target_archE910ELNS1_3gpuE8ELNS1_3repE0EEENS1_30default_config_static_selectorELNS0_4arch9wavefront6targetE0EEEvSV_.has_indirect_call, 0
	.section	.AMDGPU.csdata,"",@progbits
; Kernel info:
; codeLenInByte = 0
; TotalNumSgprs: 0
; NumVgprs: 0
; ScratchSize: 0
; MemoryBound: 0
; FloatMode: 240
; IeeeMode: 1
; LDSByteSize: 0 bytes/workgroup (compile time only)
; SGPRBlocks: 0
; VGPRBlocks: 0
; NumSGPRsForWavesPerEU: 1
; NumVGPRsForWavesPerEU: 1
; NamedBarCnt: 0
; Occupancy: 16
; WaveLimiterHint : 0
; COMPUTE_PGM_RSRC2:SCRATCH_EN: 0
; COMPUTE_PGM_RSRC2:USER_SGPR: 2
; COMPUTE_PGM_RSRC2:TRAP_HANDLER: 0
; COMPUTE_PGM_RSRC2:TGID_X_EN: 1
; COMPUTE_PGM_RSRC2:TGID_Y_EN: 0
; COMPUTE_PGM_RSRC2:TGID_Z_EN: 0
; COMPUTE_PGM_RSRC2:TIDIG_COMP_CNT: 0
	.section	.text._ZN7rocprim17ROCPRIM_400000_NS6detail17trampoline_kernelINS0_14default_configENS1_29binary_search_config_selectorIsiEEZNS1_14transform_implILb0ES3_S5_N6thrust23THRUST_200600_302600_NS6detail15normal_iteratorINS8_7pointerIsNS8_11hip_rocprim3tagENS8_11use_defaultESE_EEEENSA_INSB_IiSD_SE_SE_EEEEZNS1_13binary_searchIS3_S5_NSA_INS8_10device_ptrIsEEEESG_SI_NS1_16binary_search_opENS9_16wrapped_functionINS8_7greaterIsEEbEEEE10hipError_tPvRmT1_T2_T3_mmT4_T5_P12ihipStream_tbEUlRKsE_EESS_SW_SX_mSY_S11_bEUlT_E_NS1_11comp_targetILNS1_3genE3ELNS1_11target_archE908ELNS1_3gpuE7ELNS1_3repE0EEENS1_30default_config_static_selectorELNS0_4arch9wavefront6targetE0EEEvSV_,"axG",@progbits,_ZN7rocprim17ROCPRIM_400000_NS6detail17trampoline_kernelINS0_14default_configENS1_29binary_search_config_selectorIsiEEZNS1_14transform_implILb0ES3_S5_N6thrust23THRUST_200600_302600_NS6detail15normal_iteratorINS8_7pointerIsNS8_11hip_rocprim3tagENS8_11use_defaultESE_EEEENSA_INSB_IiSD_SE_SE_EEEEZNS1_13binary_searchIS3_S5_NSA_INS8_10device_ptrIsEEEESG_SI_NS1_16binary_search_opENS9_16wrapped_functionINS8_7greaterIsEEbEEEE10hipError_tPvRmT1_T2_T3_mmT4_T5_P12ihipStream_tbEUlRKsE_EESS_SW_SX_mSY_S11_bEUlT_E_NS1_11comp_targetILNS1_3genE3ELNS1_11target_archE908ELNS1_3gpuE7ELNS1_3repE0EEENS1_30default_config_static_selectorELNS0_4arch9wavefront6targetE0EEEvSV_,comdat
	.protected	_ZN7rocprim17ROCPRIM_400000_NS6detail17trampoline_kernelINS0_14default_configENS1_29binary_search_config_selectorIsiEEZNS1_14transform_implILb0ES3_S5_N6thrust23THRUST_200600_302600_NS6detail15normal_iteratorINS8_7pointerIsNS8_11hip_rocprim3tagENS8_11use_defaultESE_EEEENSA_INSB_IiSD_SE_SE_EEEEZNS1_13binary_searchIS3_S5_NSA_INS8_10device_ptrIsEEEESG_SI_NS1_16binary_search_opENS9_16wrapped_functionINS8_7greaterIsEEbEEEE10hipError_tPvRmT1_T2_T3_mmT4_T5_P12ihipStream_tbEUlRKsE_EESS_SW_SX_mSY_S11_bEUlT_E_NS1_11comp_targetILNS1_3genE3ELNS1_11target_archE908ELNS1_3gpuE7ELNS1_3repE0EEENS1_30default_config_static_selectorELNS0_4arch9wavefront6targetE0EEEvSV_ ; -- Begin function _ZN7rocprim17ROCPRIM_400000_NS6detail17trampoline_kernelINS0_14default_configENS1_29binary_search_config_selectorIsiEEZNS1_14transform_implILb0ES3_S5_N6thrust23THRUST_200600_302600_NS6detail15normal_iteratorINS8_7pointerIsNS8_11hip_rocprim3tagENS8_11use_defaultESE_EEEENSA_INSB_IiSD_SE_SE_EEEEZNS1_13binary_searchIS3_S5_NSA_INS8_10device_ptrIsEEEESG_SI_NS1_16binary_search_opENS9_16wrapped_functionINS8_7greaterIsEEbEEEE10hipError_tPvRmT1_T2_T3_mmT4_T5_P12ihipStream_tbEUlRKsE_EESS_SW_SX_mSY_S11_bEUlT_E_NS1_11comp_targetILNS1_3genE3ELNS1_11target_archE908ELNS1_3gpuE7ELNS1_3repE0EEENS1_30default_config_static_selectorELNS0_4arch9wavefront6targetE0EEEvSV_
	.globl	_ZN7rocprim17ROCPRIM_400000_NS6detail17trampoline_kernelINS0_14default_configENS1_29binary_search_config_selectorIsiEEZNS1_14transform_implILb0ES3_S5_N6thrust23THRUST_200600_302600_NS6detail15normal_iteratorINS8_7pointerIsNS8_11hip_rocprim3tagENS8_11use_defaultESE_EEEENSA_INSB_IiSD_SE_SE_EEEEZNS1_13binary_searchIS3_S5_NSA_INS8_10device_ptrIsEEEESG_SI_NS1_16binary_search_opENS9_16wrapped_functionINS8_7greaterIsEEbEEEE10hipError_tPvRmT1_T2_T3_mmT4_T5_P12ihipStream_tbEUlRKsE_EESS_SW_SX_mSY_S11_bEUlT_E_NS1_11comp_targetILNS1_3genE3ELNS1_11target_archE908ELNS1_3gpuE7ELNS1_3repE0EEENS1_30default_config_static_selectorELNS0_4arch9wavefront6targetE0EEEvSV_
	.p2align	8
	.type	_ZN7rocprim17ROCPRIM_400000_NS6detail17trampoline_kernelINS0_14default_configENS1_29binary_search_config_selectorIsiEEZNS1_14transform_implILb0ES3_S5_N6thrust23THRUST_200600_302600_NS6detail15normal_iteratorINS8_7pointerIsNS8_11hip_rocprim3tagENS8_11use_defaultESE_EEEENSA_INSB_IiSD_SE_SE_EEEEZNS1_13binary_searchIS3_S5_NSA_INS8_10device_ptrIsEEEESG_SI_NS1_16binary_search_opENS9_16wrapped_functionINS8_7greaterIsEEbEEEE10hipError_tPvRmT1_T2_T3_mmT4_T5_P12ihipStream_tbEUlRKsE_EESS_SW_SX_mSY_S11_bEUlT_E_NS1_11comp_targetILNS1_3genE3ELNS1_11target_archE908ELNS1_3gpuE7ELNS1_3repE0EEENS1_30default_config_static_selectorELNS0_4arch9wavefront6targetE0EEEvSV_,@function
_ZN7rocprim17ROCPRIM_400000_NS6detail17trampoline_kernelINS0_14default_configENS1_29binary_search_config_selectorIsiEEZNS1_14transform_implILb0ES3_S5_N6thrust23THRUST_200600_302600_NS6detail15normal_iteratorINS8_7pointerIsNS8_11hip_rocprim3tagENS8_11use_defaultESE_EEEENSA_INSB_IiSD_SE_SE_EEEEZNS1_13binary_searchIS3_S5_NSA_INS8_10device_ptrIsEEEESG_SI_NS1_16binary_search_opENS9_16wrapped_functionINS8_7greaterIsEEbEEEE10hipError_tPvRmT1_T2_T3_mmT4_T5_P12ihipStream_tbEUlRKsE_EESS_SW_SX_mSY_S11_bEUlT_E_NS1_11comp_targetILNS1_3genE3ELNS1_11target_archE908ELNS1_3gpuE7ELNS1_3repE0EEENS1_30default_config_static_selectorELNS0_4arch9wavefront6targetE0EEEvSV_: ; @_ZN7rocprim17ROCPRIM_400000_NS6detail17trampoline_kernelINS0_14default_configENS1_29binary_search_config_selectorIsiEEZNS1_14transform_implILb0ES3_S5_N6thrust23THRUST_200600_302600_NS6detail15normal_iteratorINS8_7pointerIsNS8_11hip_rocprim3tagENS8_11use_defaultESE_EEEENSA_INSB_IiSD_SE_SE_EEEEZNS1_13binary_searchIS3_S5_NSA_INS8_10device_ptrIsEEEESG_SI_NS1_16binary_search_opENS9_16wrapped_functionINS8_7greaterIsEEbEEEE10hipError_tPvRmT1_T2_T3_mmT4_T5_P12ihipStream_tbEUlRKsE_EESS_SW_SX_mSY_S11_bEUlT_E_NS1_11comp_targetILNS1_3genE3ELNS1_11target_archE908ELNS1_3gpuE7ELNS1_3repE0EEENS1_30default_config_static_selectorELNS0_4arch9wavefront6targetE0EEEvSV_
; %bb.0:
	.section	.rodata,"a",@progbits
	.p2align	6, 0x0
	.amdhsa_kernel _ZN7rocprim17ROCPRIM_400000_NS6detail17trampoline_kernelINS0_14default_configENS1_29binary_search_config_selectorIsiEEZNS1_14transform_implILb0ES3_S5_N6thrust23THRUST_200600_302600_NS6detail15normal_iteratorINS8_7pointerIsNS8_11hip_rocprim3tagENS8_11use_defaultESE_EEEENSA_INSB_IiSD_SE_SE_EEEEZNS1_13binary_searchIS3_S5_NSA_INS8_10device_ptrIsEEEESG_SI_NS1_16binary_search_opENS9_16wrapped_functionINS8_7greaterIsEEbEEEE10hipError_tPvRmT1_T2_T3_mmT4_T5_P12ihipStream_tbEUlRKsE_EESS_SW_SX_mSY_S11_bEUlT_E_NS1_11comp_targetILNS1_3genE3ELNS1_11target_archE908ELNS1_3gpuE7ELNS1_3repE0EEENS1_30default_config_static_selectorELNS0_4arch9wavefront6targetE0EEEvSV_
		.amdhsa_group_segment_fixed_size 0
		.amdhsa_private_segment_fixed_size 0
		.amdhsa_kernarg_size 56
		.amdhsa_user_sgpr_count 2
		.amdhsa_user_sgpr_dispatch_ptr 0
		.amdhsa_user_sgpr_queue_ptr 0
		.amdhsa_user_sgpr_kernarg_segment_ptr 1
		.amdhsa_user_sgpr_dispatch_id 0
		.amdhsa_user_sgpr_kernarg_preload_length 0
		.amdhsa_user_sgpr_kernarg_preload_offset 0
		.amdhsa_user_sgpr_private_segment_size 0
		.amdhsa_wavefront_size32 1
		.amdhsa_uses_dynamic_stack 0
		.amdhsa_enable_private_segment 0
		.amdhsa_system_sgpr_workgroup_id_x 1
		.amdhsa_system_sgpr_workgroup_id_y 0
		.amdhsa_system_sgpr_workgroup_id_z 0
		.amdhsa_system_sgpr_workgroup_info 0
		.amdhsa_system_vgpr_workitem_id 0
		.amdhsa_next_free_vgpr 1
		.amdhsa_next_free_sgpr 1
		.amdhsa_named_barrier_count 0
		.amdhsa_reserve_vcc 0
		.amdhsa_float_round_mode_32 0
		.amdhsa_float_round_mode_16_64 0
		.amdhsa_float_denorm_mode_32 3
		.amdhsa_float_denorm_mode_16_64 3
		.amdhsa_fp16_overflow 0
		.amdhsa_memory_ordered 1
		.amdhsa_forward_progress 1
		.amdhsa_inst_pref_size 0
		.amdhsa_round_robin_scheduling 0
		.amdhsa_exception_fp_ieee_invalid_op 0
		.amdhsa_exception_fp_denorm_src 0
		.amdhsa_exception_fp_ieee_div_zero 0
		.amdhsa_exception_fp_ieee_overflow 0
		.amdhsa_exception_fp_ieee_underflow 0
		.amdhsa_exception_fp_ieee_inexact 0
		.amdhsa_exception_int_div_zero 0
	.end_amdhsa_kernel
	.section	.text._ZN7rocprim17ROCPRIM_400000_NS6detail17trampoline_kernelINS0_14default_configENS1_29binary_search_config_selectorIsiEEZNS1_14transform_implILb0ES3_S5_N6thrust23THRUST_200600_302600_NS6detail15normal_iteratorINS8_7pointerIsNS8_11hip_rocprim3tagENS8_11use_defaultESE_EEEENSA_INSB_IiSD_SE_SE_EEEEZNS1_13binary_searchIS3_S5_NSA_INS8_10device_ptrIsEEEESG_SI_NS1_16binary_search_opENS9_16wrapped_functionINS8_7greaterIsEEbEEEE10hipError_tPvRmT1_T2_T3_mmT4_T5_P12ihipStream_tbEUlRKsE_EESS_SW_SX_mSY_S11_bEUlT_E_NS1_11comp_targetILNS1_3genE3ELNS1_11target_archE908ELNS1_3gpuE7ELNS1_3repE0EEENS1_30default_config_static_selectorELNS0_4arch9wavefront6targetE0EEEvSV_,"axG",@progbits,_ZN7rocprim17ROCPRIM_400000_NS6detail17trampoline_kernelINS0_14default_configENS1_29binary_search_config_selectorIsiEEZNS1_14transform_implILb0ES3_S5_N6thrust23THRUST_200600_302600_NS6detail15normal_iteratorINS8_7pointerIsNS8_11hip_rocprim3tagENS8_11use_defaultESE_EEEENSA_INSB_IiSD_SE_SE_EEEEZNS1_13binary_searchIS3_S5_NSA_INS8_10device_ptrIsEEEESG_SI_NS1_16binary_search_opENS9_16wrapped_functionINS8_7greaterIsEEbEEEE10hipError_tPvRmT1_T2_T3_mmT4_T5_P12ihipStream_tbEUlRKsE_EESS_SW_SX_mSY_S11_bEUlT_E_NS1_11comp_targetILNS1_3genE3ELNS1_11target_archE908ELNS1_3gpuE7ELNS1_3repE0EEENS1_30default_config_static_selectorELNS0_4arch9wavefront6targetE0EEEvSV_,comdat
.Lfunc_end152:
	.size	_ZN7rocprim17ROCPRIM_400000_NS6detail17trampoline_kernelINS0_14default_configENS1_29binary_search_config_selectorIsiEEZNS1_14transform_implILb0ES3_S5_N6thrust23THRUST_200600_302600_NS6detail15normal_iteratorINS8_7pointerIsNS8_11hip_rocprim3tagENS8_11use_defaultESE_EEEENSA_INSB_IiSD_SE_SE_EEEEZNS1_13binary_searchIS3_S5_NSA_INS8_10device_ptrIsEEEESG_SI_NS1_16binary_search_opENS9_16wrapped_functionINS8_7greaterIsEEbEEEE10hipError_tPvRmT1_T2_T3_mmT4_T5_P12ihipStream_tbEUlRKsE_EESS_SW_SX_mSY_S11_bEUlT_E_NS1_11comp_targetILNS1_3genE3ELNS1_11target_archE908ELNS1_3gpuE7ELNS1_3repE0EEENS1_30default_config_static_selectorELNS0_4arch9wavefront6targetE0EEEvSV_, .Lfunc_end152-_ZN7rocprim17ROCPRIM_400000_NS6detail17trampoline_kernelINS0_14default_configENS1_29binary_search_config_selectorIsiEEZNS1_14transform_implILb0ES3_S5_N6thrust23THRUST_200600_302600_NS6detail15normal_iteratorINS8_7pointerIsNS8_11hip_rocprim3tagENS8_11use_defaultESE_EEEENSA_INSB_IiSD_SE_SE_EEEEZNS1_13binary_searchIS3_S5_NSA_INS8_10device_ptrIsEEEESG_SI_NS1_16binary_search_opENS9_16wrapped_functionINS8_7greaterIsEEbEEEE10hipError_tPvRmT1_T2_T3_mmT4_T5_P12ihipStream_tbEUlRKsE_EESS_SW_SX_mSY_S11_bEUlT_E_NS1_11comp_targetILNS1_3genE3ELNS1_11target_archE908ELNS1_3gpuE7ELNS1_3repE0EEENS1_30default_config_static_selectorELNS0_4arch9wavefront6targetE0EEEvSV_
                                        ; -- End function
	.set _ZN7rocprim17ROCPRIM_400000_NS6detail17trampoline_kernelINS0_14default_configENS1_29binary_search_config_selectorIsiEEZNS1_14transform_implILb0ES3_S5_N6thrust23THRUST_200600_302600_NS6detail15normal_iteratorINS8_7pointerIsNS8_11hip_rocprim3tagENS8_11use_defaultESE_EEEENSA_INSB_IiSD_SE_SE_EEEEZNS1_13binary_searchIS3_S5_NSA_INS8_10device_ptrIsEEEESG_SI_NS1_16binary_search_opENS9_16wrapped_functionINS8_7greaterIsEEbEEEE10hipError_tPvRmT1_T2_T3_mmT4_T5_P12ihipStream_tbEUlRKsE_EESS_SW_SX_mSY_S11_bEUlT_E_NS1_11comp_targetILNS1_3genE3ELNS1_11target_archE908ELNS1_3gpuE7ELNS1_3repE0EEENS1_30default_config_static_selectorELNS0_4arch9wavefront6targetE0EEEvSV_.num_vgpr, 0
	.set _ZN7rocprim17ROCPRIM_400000_NS6detail17trampoline_kernelINS0_14default_configENS1_29binary_search_config_selectorIsiEEZNS1_14transform_implILb0ES3_S5_N6thrust23THRUST_200600_302600_NS6detail15normal_iteratorINS8_7pointerIsNS8_11hip_rocprim3tagENS8_11use_defaultESE_EEEENSA_INSB_IiSD_SE_SE_EEEEZNS1_13binary_searchIS3_S5_NSA_INS8_10device_ptrIsEEEESG_SI_NS1_16binary_search_opENS9_16wrapped_functionINS8_7greaterIsEEbEEEE10hipError_tPvRmT1_T2_T3_mmT4_T5_P12ihipStream_tbEUlRKsE_EESS_SW_SX_mSY_S11_bEUlT_E_NS1_11comp_targetILNS1_3genE3ELNS1_11target_archE908ELNS1_3gpuE7ELNS1_3repE0EEENS1_30default_config_static_selectorELNS0_4arch9wavefront6targetE0EEEvSV_.num_agpr, 0
	.set _ZN7rocprim17ROCPRIM_400000_NS6detail17trampoline_kernelINS0_14default_configENS1_29binary_search_config_selectorIsiEEZNS1_14transform_implILb0ES3_S5_N6thrust23THRUST_200600_302600_NS6detail15normal_iteratorINS8_7pointerIsNS8_11hip_rocprim3tagENS8_11use_defaultESE_EEEENSA_INSB_IiSD_SE_SE_EEEEZNS1_13binary_searchIS3_S5_NSA_INS8_10device_ptrIsEEEESG_SI_NS1_16binary_search_opENS9_16wrapped_functionINS8_7greaterIsEEbEEEE10hipError_tPvRmT1_T2_T3_mmT4_T5_P12ihipStream_tbEUlRKsE_EESS_SW_SX_mSY_S11_bEUlT_E_NS1_11comp_targetILNS1_3genE3ELNS1_11target_archE908ELNS1_3gpuE7ELNS1_3repE0EEENS1_30default_config_static_selectorELNS0_4arch9wavefront6targetE0EEEvSV_.numbered_sgpr, 0
	.set _ZN7rocprim17ROCPRIM_400000_NS6detail17trampoline_kernelINS0_14default_configENS1_29binary_search_config_selectorIsiEEZNS1_14transform_implILb0ES3_S5_N6thrust23THRUST_200600_302600_NS6detail15normal_iteratorINS8_7pointerIsNS8_11hip_rocprim3tagENS8_11use_defaultESE_EEEENSA_INSB_IiSD_SE_SE_EEEEZNS1_13binary_searchIS3_S5_NSA_INS8_10device_ptrIsEEEESG_SI_NS1_16binary_search_opENS9_16wrapped_functionINS8_7greaterIsEEbEEEE10hipError_tPvRmT1_T2_T3_mmT4_T5_P12ihipStream_tbEUlRKsE_EESS_SW_SX_mSY_S11_bEUlT_E_NS1_11comp_targetILNS1_3genE3ELNS1_11target_archE908ELNS1_3gpuE7ELNS1_3repE0EEENS1_30default_config_static_selectorELNS0_4arch9wavefront6targetE0EEEvSV_.num_named_barrier, 0
	.set _ZN7rocprim17ROCPRIM_400000_NS6detail17trampoline_kernelINS0_14default_configENS1_29binary_search_config_selectorIsiEEZNS1_14transform_implILb0ES3_S5_N6thrust23THRUST_200600_302600_NS6detail15normal_iteratorINS8_7pointerIsNS8_11hip_rocprim3tagENS8_11use_defaultESE_EEEENSA_INSB_IiSD_SE_SE_EEEEZNS1_13binary_searchIS3_S5_NSA_INS8_10device_ptrIsEEEESG_SI_NS1_16binary_search_opENS9_16wrapped_functionINS8_7greaterIsEEbEEEE10hipError_tPvRmT1_T2_T3_mmT4_T5_P12ihipStream_tbEUlRKsE_EESS_SW_SX_mSY_S11_bEUlT_E_NS1_11comp_targetILNS1_3genE3ELNS1_11target_archE908ELNS1_3gpuE7ELNS1_3repE0EEENS1_30default_config_static_selectorELNS0_4arch9wavefront6targetE0EEEvSV_.private_seg_size, 0
	.set _ZN7rocprim17ROCPRIM_400000_NS6detail17trampoline_kernelINS0_14default_configENS1_29binary_search_config_selectorIsiEEZNS1_14transform_implILb0ES3_S5_N6thrust23THRUST_200600_302600_NS6detail15normal_iteratorINS8_7pointerIsNS8_11hip_rocprim3tagENS8_11use_defaultESE_EEEENSA_INSB_IiSD_SE_SE_EEEEZNS1_13binary_searchIS3_S5_NSA_INS8_10device_ptrIsEEEESG_SI_NS1_16binary_search_opENS9_16wrapped_functionINS8_7greaterIsEEbEEEE10hipError_tPvRmT1_T2_T3_mmT4_T5_P12ihipStream_tbEUlRKsE_EESS_SW_SX_mSY_S11_bEUlT_E_NS1_11comp_targetILNS1_3genE3ELNS1_11target_archE908ELNS1_3gpuE7ELNS1_3repE0EEENS1_30default_config_static_selectorELNS0_4arch9wavefront6targetE0EEEvSV_.uses_vcc, 0
	.set _ZN7rocprim17ROCPRIM_400000_NS6detail17trampoline_kernelINS0_14default_configENS1_29binary_search_config_selectorIsiEEZNS1_14transform_implILb0ES3_S5_N6thrust23THRUST_200600_302600_NS6detail15normal_iteratorINS8_7pointerIsNS8_11hip_rocprim3tagENS8_11use_defaultESE_EEEENSA_INSB_IiSD_SE_SE_EEEEZNS1_13binary_searchIS3_S5_NSA_INS8_10device_ptrIsEEEESG_SI_NS1_16binary_search_opENS9_16wrapped_functionINS8_7greaterIsEEbEEEE10hipError_tPvRmT1_T2_T3_mmT4_T5_P12ihipStream_tbEUlRKsE_EESS_SW_SX_mSY_S11_bEUlT_E_NS1_11comp_targetILNS1_3genE3ELNS1_11target_archE908ELNS1_3gpuE7ELNS1_3repE0EEENS1_30default_config_static_selectorELNS0_4arch9wavefront6targetE0EEEvSV_.uses_flat_scratch, 0
	.set _ZN7rocprim17ROCPRIM_400000_NS6detail17trampoline_kernelINS0_14default_configENS1_29binary_search_config_selectorIsiEEZNS1_14transform_implILb0ES3_S5_N6thrust23THRUST_200600_302600_NS6detail15normal_iteratorINS8_7pointerIsNS8_11hip_rocprim3tagENS8_11use_defaultESE_EEEENSA_INSB_IiSD_SE_SE_EEEEZNS1_13binary_searchIS3_S5_NSA_INS8_10device_ptrIsEEEESG_SI_NS1_16binary_search_opENS9_16wrapped_functionINS8_7greaterIsEEbEEEE10hipError_tPvRmT1_T2_T3_mmT4_T5_P12ihipStream_tbEUlRKsE_EESS_SW_SX_mSY_S11_bEUlT_E_NS1_11comp_targetILNS1_3genE3ELNS1_11target_archE908ELNS1_3gpuE7ELNS1_3repE0EEENS1_30default_config_static_selectorELNS0_4arch9wavefront6targetE0EEEvSV_.has_dyn_sized_stack, 0
	.set _ZN7rocprim17ROCPRIM_400000_NS6detail17trampoline_kernelINS0_14default_configENS1_29binary_search_config_selectorIsiEEZNS1_14transform_implILb0ES3_S5_N6thrust23THRUST_200600_302600_NS6detail15normal_iteratorINS8_7pointerIsNS8_11hip_rocprim3tagENS8_11use_defaultESE_EEEENSA_INSB_IiSD_SE_SE_EEEEZNS1_13binary_searchIS3_S5_NSA_INS8_10device_ptrIsEEEESG_SI_NS1_16binary_search_opENS9_16wrapped_functionINS8_7greaterIsEEbEEEE10hipError_tPvRmT1_T2_T3_mmT4_T5_P12ihipStream_tbEUlRKsE_EESS_SW_SX_mSY_S11_bEUlT_E_NS1_11comp_targetILNS1_3genE3ELNS1_11target_archE908ELNS1_3gpuE7ELNS1_3repE0EEENS1_30default_config_static_selectorELNS0_4arch9wavefront6targetE0EEEvSV_.has_recursion, 0
	.set _ZN7rocprim17ROCPRIM_400000_NS6detail17trampoline_kernelINS0_14default_configENS1_29binary_search_config_selectorIsiEEZNS1_14transform_implILb0ES3_S5_N6thrust23THRUST_200600_302600_NS6detail15normal_iteratorINS8_7pointerIsNS8_11hip_rocprim3tagENS8_11use_defaultESE_EEEENSA_INSB_IiSD_SE_SE_EEEEZNS1_13binary_searchIS3_S5_NSA_INS8_10device_ptrIsEEEESG_SI_NS1_16binary_search_opENS9_16wrapped_functionINS8_7greaterIsEEbEEEE10hipError_tPvRmT1_T2_T3_mmT4_T5_P12ihipStream_tbEUlRKsE_EESS_SW_SX_mSY_S11_bEUlT_E_NS1_11comp_targetILNS1_3genE3ELNS1_11target_archE908ELNS1_3gpuE7ELNS1_3repE0EEENS1_30default_config_static_selectorELNS0_4arch9wavefront6targetE0EEEvSV_.has_indirect_call, 0
	.section	.AMDGPU.csdata,"",@progbits
; Kernel info:
; codeLenInByte = 0
; TotalNumSgprs: 0
; NumVgprs: 0
; ScratchSize: 0
; MemoryBound: 0
; FloatMode: 240
; IeeeMode: 1
; LDSByteSize: 0 bytes/workgroup (compile time only)
; SGPRBlocks: 0
; VGPRBlocks: 0
; NumSGPRsForWavesPerEU: 1
; NumVGPRsForWavesPerEU: 1
; NamedBarCnt: 0
; Occupancy: 16
; WaveLimiterHint : 0
; COMPUTE_PGM_RSRC2:SCRATCH_EN: 0
; COMPUTE_PGM_RSRC2:USER_SGPR: 2
; COMPUTE_PGM_RSRC2:TRAP_HANDLER: 0
; COMPUTE_PGM_RSRC2:TGID_X_EN: 1
; COMPUTE_PGM_RSRC2:TGID_Y_EN: 0
; COMPUTE_PGM_RSRC2:TGID_Z_EN: 0
; COMPUTE_PGM_RSRC2:TIDIG_COMP_CNT: 0
	.section	.text._ZN7rocprim17ROCPRIM_400000_NS6detail17trampoline_kernelINS0_14default_configENS1_29binary_search_config_selectorIsiEEZNS1_14transform_implILb0ES3_S5_N6thrust23THRUST_200600_302600_NS6detail15normal_iteratorINS8_7pointerIsNS8_11hip_rocprim3tagENS8_11use_defaultESE_EEEENSA_INSB_IiSD_SE_SE_EEEEZNS1_13binary_searchIS3_S5_NSA_INS8_10device_ptrIsEEEESG_SI_NS1_16binary_search_opENS9_16wrapped_functionINS8_7greaterIsEEbEEEE10hipError_tPvRmT1_T2_T3_mmT4_T5_P12ihipStream_tbEUlRKsE_EESS_SW_SX_mSY_S11_bEUlT_E_NS1_11comp_targetILNS1_3genE2ELNS1_11target_archE906ELNS1_3gpuE6ELNS1_3repE0EEENS1_30default_config_static_selectorELNS0_4arch9wavefront6targetE0EEEvSV_,"axG",@progbits,_ZN7rocprim17ROCPRIM_400000_NS6detail17trampoline_kernelINS0_14default_configENS1_29binary_search_config_selectorIsiEEZNS1_14transform_implILb0ES3_S5_N6thrust23THRUST_200600_302600_NS6detail15normal_iteratorINS8_7pointerIsNS8_11hip_rocprim3tagENS8_11use_defaultESE_EEEENSA_INSB_IiSD_SE_SE_EEEEZNS1_13binary_searchIS3_S5_NSA_INS8_10device_ptrIsEEEESG_SI_NS1_16binary_search_opENS9_16wrapped_functionINS8_7greaterIsEEbEEEE10hipError_tPvRmT1_T2_T3_mmT4_T5_P12ihipStream_tbEUlRKsE_EESS_SW_SX_mSY_S11_bEUlT_E_NS1_11comp_targetILNS1_3genE2ELNS1_11target_archE906ELNS1_3gpuE6ELNS1_3repE0EEENS1_30default_config_static_selectorELNS0_4arch9wavefront6targetE0EEEvSV_,comdat
	.protected	_ZN7rocprim17ROCPRIM_400000_NS6detail17trampoline_kernelINS0_14default_configENS1_29binary_search_config_selectorIsiEEZNS1_14transform_implILb0ES3_S5_N6thrust23THRUST_200600_302600_NS6detail15normal_iteratorINS8_7pointerIsNS8_11hip_rocprim3tagENS8_11use_defaultESE_EEEENSA_INSB_IiSD_SE_SE_EEEEZNS1_13binary_searchIS3_S5_NSA_INS8_10device_ptrIsEEEESG_SI_NS1_16binary_search_opENS9_16wrapped_functionINS8_7greaterIsEEbEEEE10hipError_tPvRmT1_T2_T3_mmT4_T5_P12ihipStream_tbEUlRKsE_EESS_SW_SX_mSY_S11_bEUlT_E_NS1_11comp_targetILNS1_3genE2ELNS1_11target_archE906ELNS1_3gpuE6ELNS1_3repE0EEENS1_30default_config_static_selectorELNS0_4arch9wavefront6targetE0EEEvSV_ ; -- Begin function _ZN7rocprim17ROCPRIM_400000_NS6detail17trampoline_kernelINS0_14default_configENS1_29binary_search_config_selectorIsiEEZNS1_14transform_implILb0ES3_S5_N6thrust23THRUST_200600_302600_NS6detail15normal_iteratorINS8_7pointerIsNS8_11hip_rocprim3tagENS8_11use_defaultESE_EEEENSA_INSB_IiSD_SE_SE_EEEEZNS1_13binary_searchIS3_S5_NSA_INS8_10device_ptrIsEEEESG_SI_NS1_16binary_search_opENS9_16wrapped_functionINS8_7greaterIsEEbEEEE10hipError_tPvRmT1_T2_T3_mmT4_T5_P12ihipStream_tbEUlRKsE_EESS_SW_SX_mSY_S11_bEUlT_E_NS1_11comp_targetILNS1_3genE2ELNS1_11target_archE906ELNS1_3gpuE6ELNS1_3repE0EEENS1_30default_config_static_selectorELNS0_4arch9wavefront6targetE0EEEvSV_
	.globl	_ZN7rocprim17ROCPRIM_400000_NS6detail17trampoline_kernelINS0_14default_configENS1_29binary_search_config_selectorIsiEEZNS1_14transform_implILb0ES3_S5_N6thrust23THRUST_200600_302600_NS6detail15normal_iteratorINS8_7pointerIsNS8_11hip_rocprim3tagENS8_11use_defaultESE_EEEENSA_INSB_IiSD_SE_SE_EEEEZNS1_13binary_searchIS3_S5_NSA_INS8_10device_ptrIsEEEESG_SI_NS1_16binary_search_opENS9_16wrapped_functionINS8_7greaterIsEEbEEEE10hipError_tPvRmT1_T2_T3_mmT4_T5_P12ihipStream_tbEUlRKsE_EESS_SW_SX_mSY_S11_bEUlT_E_NS1_11comp_targetILNS1_3genE2ELNS1_11target_archE906ELNS1_3gpuE6ELNS1_3repE0EEENS1_30default_config_static_selectorELNS0_4arch9wavefront6targetE0EEEvSV_
	.p2align	8
	.type	_ZN7rocprim17ROCPRIM_400000_NS6detail17trampoline_kernelINS0_14default_configENS1_29binary_search_config_selectorIsiEEZNS1_14transform_implILb0ES3_S5_N6thrust23THRUST_200600_302600_NS6detail15normal_iteratorINS8_7pointerIsNS8_11hip_rocprim3tagENS8_11use_defaultESE_EEEENSA_INSB_IiSD_SE_SE_EEEEZNS1_13binary_searchIS3_S5_NSA_INS8_10device_ptrIsEEEESG_SI_NS1_16binary_search_opENS9_16wrapped_functionINS8_7greaterIsEEbEEEE10hipError_tPvRmT1_T2_T3_mmT4_T5_P12ihipStream_tbEUlRKsE_EESS_SW_SX_mSY_S11_bEUlT_E_NS1_11comp_targetILNS1_3genE2ELNS1_11target_archE906ELNS1_3gpuE6ELNS1_3repE0EEENS1_30default_config_static_selectorELNS0_4arch9wavefront6targetE0EEEvSV_,@function
_ZN7rocprim17ROCPRIM_400000_NS6detail17trampoline_kernelINS0_14default_configENS1_29binary_search_config_selectorIsiEEZNS1_14transform_implILb0ES3_S5_N6thrust23THRUST_200600_302600_NS6detail15normal_iteratorINS8_7pointerIsNS8_11hip_rocprim3tagENS8_11use_defaultESE_EEEENSA_INSB_IiSD_SE_SE_EEEEZNS1_13binary_searchIS3_S5_NSA_INS8_10device_ptrIsEEEESG_SI_NS1_16binary_search_opENS9_16wrapped_functionINS8_7greaterIsEEbEEEE10hipError_tPvRmT1_T2_T3_mmT4_T5_P12ihipStream_tbEUlRKsE_EESS_SW_SX_mSY_S11_bEUlT_E_NS1_11comp_targetILNS1_3genE2ELNS1_11target_archE906ELNS1_3gpuE6ELNS1_3repE0EEENS1_30default_config_static_selectorELNS0_4arch9wavefront6targetE0EEEvSV_: ; @_ZN7rocprim17ROCPRIM_400000_NS6detail17trampoline_kernelINS0_14default_configENS1_29binary_search_config_selectorIsiEEZNS1_14transform_implILb0ES3_S5_N6thrust23THRUST_200600_302600_NS6detail15normal_iteratorINS8_7pointerIsNS8_11hip_rocprim3tagENS8_11use_defaultESE_EEEENSA_INSB_IiSD_SE_SE_EEEEZNS1_13binary_searchIS3_S5_NSA_INS8_10device_ptrIsEEEESG_SI_NS1_16binary_search_opENS9_16wrapped_functionINS8_7greaterIsEEbEEEE10hipError_tPvRmT1_T2_T3_mmT4_T5_P12ihipStream_tbEUlRKsE_EESS_SW_SX_mSY_S11_bEUlT_E_NS1_11comp_targetILNS1_3genE2ELNS1_11target_archE906ELNS1_3gpuE6ELNS1_3repE0EEENS1_30default_config_static_selectorELNS0_4arch9wavefront6targetE0EEEvSV_
; %bb.0:
	.section	.rodata,"a",@progbits
	.p2align	6, 0x0
	.amdhsa_kernel _ZN7rocprim17ROCPRIM_400000_NS6detail17trampoline_kernelINS0_14default_configENS1_29binary_search_config_selectorIsiEEZNS1_14transform_implILb0ES3_S5_N6thrust23THRUST_200600_302600_NS6detail15normal_iteratorINS8_7pointerIsNS8_11hip_rocprim3tagENS8_11use_defaultESE_EEEENSA_INSB_IiSD_SE_SE_EEEEZNS1_13binary_searchIS3_S5_NSA_INS8_10device_ptrIsEEEESG_SI_NS1_16binary_search_opENS9_16wrapped_functionINS8_7greaterIsEEbEEEE10hipError_tPvRmT1_T2_T3_mmT4_T5_P12ihipStream_tbEUlRKsE_EESS_SW_SX_mSY_S11_bEUlT_E_NS1_11comp_targetILNS1_3genE2ELNS1_11target_archE906ELNS1_3gpuE6ELNS1_3repE0EEENS1_30default_config_static_selectorELNS0_4arch9wavefront6targetE0EEEvSV_
		.amdhsa_group_segment_fixed_size 0
		.amdhsa_private_segment_fixed_size 0
		.amdhsa_kernarg_size 56
		.amdhsa_user_sgpr_count 2
		.amdhsa_user_sgpr_dispatch_ptr 0
		.amdhsa_user_sgpr_queue_ptr 0
		.amdhsa_user_sgpr_kernarg_segment_ptr 1
		.amdhsa_user_sgpr_dispatch_id 0
		.amdhsa_user_sgpr_kernarg_preload_length 0
		.amdhsa_user_sgpr_kernarg_preload_offset 0
		.amdhsa_user_sgpr_private_segment_size 0
		.amdhsa_wavefront_size32 1
		.amdhsa_uses_dynamic_stack 0
		.amdhsa_enable_private_segment 0
		.amdhsa_system_sgpr_workgroup_id_x 1
		.amdhsa_system_sgpr_workgroup_id_y 0
		.amdhsa_system_sgpr_workgroup_id_z 0
		.amdhsa_system_sgpr_workgroup_info 0
		.amdhsa_system_vgpr_workitem_id 0
		.amdhsa_next_free_vgpr 1
		.amdhsa_next_free_sgpr 1
		.amdhsa_named_barrier_count 0
		.amdhsa_reserve_vcc 0
		.amdhsa_float_round_mode_32 0
		.amdhsa_float_round_mode_16_64 0
		.amdhsa_float_denorm_mode_32 3
		.amdhsa_float_denorm_mode_16_64 3
		.amdhsa_fp16_overflow 0
		.amdhsa_memory_ordered 1
		.amdhsa_forward_progress 1
		.amdhsa_inst_pref_size 0
		.amdhsa_round_robin_scheduling 0
		.amdhsa_exception_fp_ieee_invalid_op 0
		.amdhsa_exception_fp_denorm_src 0
		.amdhsa_exception_fp_ieee_div_zero 0
		.amdhsa_exception_fp_ieee_overflow 0
		.amdhsa_exception_fp_ieee_underflow 0
		.amdhsa_exception_fp_ieee_inexact 0
		.amdhsa_exception_int_div_zero 0
	.end_amdhsa_kernel
	.section	.text._ZN7rocprim17ROCPRIM_400000_NS6detail17trampoline_kernelINS0_14default_configENS1_29binary_search_config_selectorIsiEEZNS1_14transform_implILb0ES3_S5_N6thrust23THRUST_200600_302600_NS6detail15normal_iteratorINS8_7pointerIsNS8_11hip_rocprim3tagENS8_11use_defaultESE_EEEENSA_INSB_IiSD_SE_SE_EEEEZNS1_13binary_searchIS3_S5_NSA_INS8_10device_ptrIsEEEESG_SI_NS1_16binary_search_opENS9_16wrapped_functionINS8_7greaterIsEEbEEEE10hipError_tPvRmT1_T2_T3_mmT4_T5_P12ihipStream_tbEUlRKsE_EESS_SW_SX_mSY_S11_bEUlT_E_NS1_11comp_targetILNS1_3genE2ELNS1_11target_archE906ELNS1_3gpuE6ELNS1_3repE0EEENS1_30default_config_static_selectorELNS0_4arch9wavefront6targetE0EEEvSV_,"axG",@progbits,_ZN7rocprim17ROCPRIM_400000_NS6detail17trampoline_kernelINS0_14default_configENS1_29binary_search_config_selectorIsiEEZNS1_14transform_implILb0ES3_S5_N6thrust23THRUST_200600_302600_NS6detail15normal_iteratorINS8_7pointerIsNS8_11hip_rocprim3tagENS8_11use_defaultESE_EEEENSA_INSB_IiSD_SE_SE_EEEEZNS1_13binary_searchIS3_S5_NSA_INS8_10device_ptrIsEEEESG_SI_NS1_16binary_search_opENS9_16wrapped_functionINS8_7greaterIsEEbEEEE10hipError_tPvRmT1_T2_T3_mmT4_T5_P12ihipStream_tbEUlRKsE_EESS_SW_SX_mSY_S11_bEUlT_E_NS1_11comp_targetILNS1_3genE2ELNS1_11target_archE906ELNS1_3gpuE6ELNS1_3repE0EEENS1_30default_config_static_selectorELNS0_4arch9wavefront6targetE0EEEvSV_,comdat
.Lfunc_end153:
	.size	_ZN7rocprim17ROCPRIM_400000_NS6detail17trampoline_kernelINS0_14default_configENS1_29binary_search_config_selectorIsiEEZNS1_14transform_implILb0ES3_S5_N6thrust23THRUST_200600_302600_NS6detail15normal_iteratorINS8_7pointerIsNS8_11hip_rocprim3tagENS8_11use_defaultESE_EEEENSA_INSB_IiSD_SE_SE_EEEEZNS1_13binary_searchIS3_S5_NSA_INS8_10device_ptrIsEEEESG_SI_NS1_16binary_search_opENS9_16wrapped_functionINS8_7greaterIsEEbEEEE10hipError_tPvRmT1_T2_T3_mmT4_T5_P12ihipStream_tbEUlRKsE_EESS_SW_SX_mSY_S11_bEUlT_E_NS1_11comp_targetILNS1_3genE2ELNS1_11target_archE906ELNS1_3gpuE6ELNS1_3repE0EEENS1_30default_config_static_selectorELNS0_4arch9wavefront6targetE0EEEvSV_, .Lfunc_end153-_ZN7rocprim17ROCPRIM_400000_NS6detail17trampoline_kernelINS0_14default_configENS1_29binary_search_config_selectorIsiEEZNS1_14transform_implILb0ES3_S5_N6thrust23THRUST_200600_302600_NS6detail15normal_iteratorINS8_7pointerIsNS8_11hip_rocprim3tagENS8_11use_defaultESE_EEEENSA_INSB_IiSD_SE_SE_EEEEZNS1_13binary_searchIS3_S5_NSA_INS8_10device_ptrIsEEEESG_SI_NS1_16binary_search_opENS9_16wrapped_functionINS8_7greaterIsEEbEEEE10hipError_tPvRmT1_T2_T3_mmT4_T5_P12ihipStream_tbEUlRKsE_EESS_SW_SX_mSY_S11_bEUlT_E_NS1_11comp_targetILNS1_3genE2ELNS1_11target_archE906ELNS1_3gpuE6ELNS1_3repE0EEENS1_30default_config_static_selectorELNS0_4arch9wavefront6targetE0EEEvSV_
                                        ; -- End function
	.set _ZN7rocprim17ROCPRIM_400000_NS6detail17trampoline_kernelINS0_14default_configENS1_29binary_search_config_selectorIsiEEZNS1_14transform_implILb0ES3_S5_N6thrust23THRUST_200600_302600_NS6detail15normal_iteratorINS8_7pointerIsNS8_11hip_rocprim3tagENS8_11use_defaultESE_EEEENSA_INSB_IiSD_SE_SE_EEEEZNS1_13binary_searchIS3_S5_NSA_INS8_10device_ptrIsEEEESG_SI_NS1_16binary_search_opENS9_16wrapped_functionINS8_7greaterIsEEbEEEE10hipError_tPvRmT1_T2_T3_mmT4_T5_P12ihipStream_tbEUlRKsE_EESS_SW_SX_mSY_S11_bEUlT_E_NS1_11comp_targetILNS1_3genE2ELNS1_11target_archE906ELNS1_3gpuE6ELNS1_3repE0EEENS1_30default_config_static_selectorELNS0_4arch9wavefront6targetE0EEEvSV_.num_vgpr, 0
	.set _ZN7rocprim17ROCPRIM_400000_NS6detail17trampoline_kernelINS0_14default_configENS1_29binary_search_config_selectorIsiEEZNS1_14transform_implILb0ES3_S5_N6thrust23THRUST_200600_302600_NS6detail15normal_iteratorINS8_7pointerIsNS8_11hip_rocprim3tagENS8_11use_defaultESE_EEEENSA_INSB_IiSD_SE_SE_EEEEZNS1_13binary_searchIS3_S5_NSA_INS8_10device_ptrIsEEEESG_SI_NS1_16binary_search_opENS9_16wrapped_functionINS8_7greaterIsEEbEEEE10hipError_tPvRmT1_T2_T3_mmT4_T5_P12ihipStream_tbEUlRKsE_EESS_SW_SX_mSY_S11_bEUlT_E_NS1_11comp_targetILNS1_3genE2ELNS1_11target_archE906ELNS1_3gpuE6ELNS1_3repE0EEENS1_30default_config_static_selectorELNS0_4arch9wavefront6targetE0EEEvSV_.num_agpr, 0
	.set _ZN7rocprim17ROCPRIM_400000_NS6detail17trampoline_kernelINS0_14default_configENS1_29binary_search_config_selectorIsiEEZNS1_14transform_implILb0ES3_S5_N6thrust23THRUST_200600_302600_NS6detail15normal_iteratorINS8_7pointerIsNS8_11hip_rocprim3tagENS8_11use_defaultESE_EEEENSA_INSB_IiSD_SE_SE_EEEEZNS1_13binary_searchIS3_S5_NSA_INS8_10device_ptrIsEEEESG_SI_NS1_16binary_search_opENS9_16wrapped_functionINS8_7greaterIsEEbEEEE10hipError_tPvRmT1_T2_T3_mmT4_T5_P12ihipStream_tbEUlRKsE_EESS_SW_SX_mSY_S11_bEUlT_E_NS1_11comp_targetILNS1_3genE2ELNS1_11target_archE906ELNS1_3gpuE6ELNS1_3repE0EEENS1_30default_config_static_selectorELNS0_4arch9wavefront6targetE0EEEvSV_.numbered_sgpr, 0
	.set _ZN7rocprim17ROCPRIM_400000_NS6detail17trampoline_kernelINS0_14default_configENS1_29binary_search_config_selectorIsiEEZNS1_14transform_implILb0ES3_S5_N6thrust23THRUST_200600_302600_NS6detail15normal_iteratorINS8_7pointerIsNS8_11hip_rocprim3tagENS8_11use_defaultESE_EEEENSA_INSB_IiSD_SE_SE_EEEEZNS1_13binary_searchIS3_S5_NSA_INS8_10device_ptrIsEEEESG_SI_NS1_16binary_search_opENS9_16wrapped_functionINS8_7greaterIsEEbEEEE10hipError_tPvRmT1_T2_T3_mmT4_T5_P12ihipStream_tbEUlRKsE_EESS_SW_SX_mSY_S11_bEUlT_E_NS1_11comp_targetILNS1_3genE2ELNS1_11target_archE906ELNS1_3gpuE6ELNS1_3repE0EEENS1_30default_config_static_selectorELNS0_4arch9wavefront6targetE0EEEvSV_.num_named_barrier, 0
	.set _ZN7rocprim17ROCPRIM_400000_NS6detail17trampoline_kernelINS0_14default_configENS1_29binary_search_config_selectorIsiEEZNS1_14transform_implILb0ES3_S5_N6thrust23THRUST_200600_302600_NS6detail15normal_iteratorINS8_7pointerIsNS8_11hip_rocprim3tagENS8_11use_defaultESE_EEEENSA_INSB_IiSD_SE_SE_EEEEZNS1_13binary_searchIS3_S5_NSA_INS8_10device_ptrIsEEEESG_SI_NS1_16binary_search_opENS9_16wrapped_functionINS8_7greaterIsEEbEEEE10hipError_tPvRmT1_T2_T3_mmT4_T5_P12ihipStream_tbEUlRKsE_EESS_SW_SX_mSY_S11_bEUlT_E_NS1_11comp_targetILNS1_3genE2ELNS1_11target_archE906ELNS1_3gpuE6ELNS1_3repE0EEENS1_30default_config_static_selectorELNS0_4arch9wavefront6targetE0EEEvSV_.private_seg_size, 0
	.set _ZN7rocprim17ROCPRIM_400000_NS6detail17trampoline_kernelINS0_14default_configENS1_29binary_search_config_selectorIsiEEZNS1_14transform_implILb0ES3_S5_N6thrust23THRUST_200600_302600_NS6detail15normal_iteratorINS8_7pointerIsNS8_11hip_rocprim3tagENS8_11use_defaultESE_EEEENSA_INSB_IiSD_SE_SE_EEEEZNS1_13binary_searchIS3_S5_NSA_INS8_10device_ptrIsEEEESG_SI_NS1_16binary_search_opENS9_16wrapped_functionINS8_7greaterIsEEbEEEE10hipError_tPvRmT1_T2_T3_mmT4_T5_P12ihipStream_tbEUlRKsE_EESS_SW_SX_mSY_S11_bEUlT_E_NS1_11comp_targetILNS1_3genE2ELNS1_11target_archE906ELNS1_3gpuE6ELNS1_3repE0EEENS1_30default_config_static_selectorELNS0_4arch9wavefront6targetE0EEEvSV_.uses_vcc, 0
	.set _ZN7rocprim17ROCPRIM_400000_NS6detail17trampoline_kernelINS0_14default_configENS1_29binary_search_config_selectorIsiEEZNS1_14transform_implILb0ES3_S5_N6thrust23THRUST_200600_302600_NS6detail15normal_iteratorINS8_7pointerIsNS8_11hip_rocprim3tagENS8_11use_defaultESE_EEEENSA_INSB_IiSD_SE_SE_EEEEZNS1_13binary_searchIS3_S5_NSA_INS8_10device_ptrIsEEEESG_SI_NS1_16binary_search_opENS9_16wrapped_functionINS8_7greaterIsEEbEEEE10hipError_tPvRmT1_T2_T3_mmT4_T5_P12ihipStream_tbEUlRKsE_EESS_SW_SX_mSY_S11_bEUlT_E_NS1_11comp_targetILNS1_3genE2ELNS1_11target_archE906ELNS1_3gpuE6ELNS1_3repE0EEENS1_30default_config_static_selectorELNS0_4arch9wavefront6targetE0EEEvSV_.uses_flat_scratch, 0
	.set _ZN7rocprim17ROCPRIM_400000_NS6detail17trampoline_kernelINS0_14default_configENS1_29binary_search_config_selectorIsiEEZNS1_14transform_implILb0ES3_S5_N6thrust23THRUST_200600_302600_NS6detail15normal_iteratorINS8_7pointerIsNS8_11hip_rocprim3tagENS8_11use_defaultESE_EEEENSA_INSB_IiSD_SE_SE_EEEEZNS1_13binary_searchIS3_S5_NSA_INS8_10device_ptrIsEEEESG_SI_NS1_16binary_search_opENS9_16wrapped_functionINS8_7greaterIsEEbEEEE10hipError_tPvRmT1_T2_T3_mmT4_T5_P12ihipStream_tbEUlRKsE_EESS_SW_SX_mSY_S11_bEUlT_E_NS1_11comp_targetILNS1_3genE2ELNS1_11target_archE906ELNS1_3gpuE6ELNS1_3repE0EEENS1_30default_config_static_selectorELNS0_4arch9wavefront6targetE0EEEvSV_.has_dyn_sized_stack, 0
	.set _ZN7rocprim17ROCPRIM_400000_NS6detail17trampoline_kernelINS0_14default_configENS1_29binary_search_config_selectorIsiEEZNS1_14transform_implILb0ES3_S5_N6thrust23THRUST_200600_302600_NS6detail15normal_iteratorINS8_7pointerIsNS8_11hip_rocprim3tagENS8_11use_defaultESE_EEEENSA_INSB_IiSD_SE_SE_EEEEZNS1_13binary_searchIS3_S5_NSA_INS8_10device_ptrIsEEEESG_SI_NS1_16binary_search_opENS9_16wrapped_functionINS8_7greaterIsEEbEEEE10hipError_tPvRmT1_T2_T3_mmT4_T5_P12ihipStream_tbEUlRKsE_EESS_SW_SX_mSY_S11_bEUlT_E_NS1_11comp_targetILNS1_3genE2ELNS1_11target_archE906ELNS1_3gpuE6ELNS1_3repE0EEENS1_30default_config_static_selectorELNS0_4arch9wavefront6targetE0EEEvSV_.has_recursion, 0
	.set _ZN7rocprim17ROCPRIM_400000_NS6detail17trampoline_kernelINS0_14default_configENS1_29binary_search_config_selectorIsiEEZNS1_14transform_implILb0ES3_S5_N6thrust23THRUST_200600_302600_NS6detail15normal_iteratorINS8_7pointerIsNS8_11hip_rocprim3tagENS8_11use_defaultESE_EEEENSA_INSB_IiSD_SE_SE_EEEEZNS1_13binary_searchIS3_S5_NSA_INS8_10device_ptrIsEEEESG_SI_NS1_16binary_search_opENS9_16wrapped_functionINS8_7greaterIsEEbEEEE10hipError_tPvRmT1_T2_T3_mmT4_T5_P12ihipStream_tbEUlRKsE_EESS_SW_SX_mSY_S11_bEUlT_E_NS1_11comp_targetILNS1_3genE2ELNS1_11target_archE906ELNS1_3gpuE6ELNS1_3repE0EEENS1_30default_config_static_selectorELNS0_4arch9wavefront6targetE0EEEvSV_.has_indirect_call, 0
	.section	.AMDGPU.csdata,"",@progbits
; Kernel info:
; codeLenInByte = 0
; TotalNumSgprs: 0
; NumVgprs: 0
; ScratchSize: 0
; MemoryBound: 0
; FloatMode: 240
; IeeeMode: 1
; LDSByteSize: 0 bytes/workgroup (compile time only)
; SGPRBlocks: 0
; VGPRBlocks: 0
; NumSGPRsForWavesPerEU: 1
; NumVGPRsForWavesPerEU: 1
; NamedBarCnt: 0
; Occupancy: 16
; WaveLimiterHint : 0
; COMPUTE_PGM_RSRC2:SCRATCH_EN: 0
; COMPUTE_PGM_RSRC2:USER_SGPR: 2
; COMPUTE_PGM_RSRC2:TRAP_HANDLER: 0
; COMPUTE_PGM_RSRC2:TGID_X_EN: 1
; COMPUTE_PGM_RSRC2:TGID_Y_EN: 0
; COMPUTE_PGM_RSRC2:TGID_Z_EN: 0
; COMPUTE_PGM_RSRC2:TIDIG_COMP_CNT: 0
	.section	.text._ZN7rocprim17ROCPRIM_400000_NS6detail17trampoline_kernelINS0_14default_configENS1_29binary_search_config_selectorIsiEEZNS1_14transform_implILb0ES3_S5_N6thrust23THRUST_200600_302600_NS6detail15normal_iteratorINS8_7pointerIsNS8_11hip_rocprim3tagENS8_11use_defaultESE_EEEENSA_INSB_IiSD_SE_SE_EEEEZNS1_13binary_searchIS3_S5_NSA_INS8_10device_ptrIsEEEESG_SI_NS1_16binary_search_opENS9_16wrapped_functionINS8_7greaterIsEEbEEEE10hipError_tPvRmT1_T2_T3_mmT4_T5_P12ihipStream_tbEUlRKsE_EESS_SW_SX_mSY_S11_bEUlT_E_NS1_11comp_targetILNS1_3genE10ELNS1_11target_archE1201ELNS1_3gpuE5ELNS1_3repE0EEENS1_30default_config_static_selectorELNS0_4arch9wavefront6targetE0EEEvSV_,"axG",@progbits,_ZN7rocprim17ROCPRIM_400000_NS6detail17trampoline_kernelINS0_14default_configENS1_29binary_search_config_selectorIsiEEZNS1_14transform_implILb0ES3_S5_N6thrust23THRUST_200600_302600_NS6detail15normal_iteratorINS8_7pointerIsNS8_11hip_rocprim3tagENS8_11use_defaultESE_EEEENSA_INSB_IiSD_SE_SE_EEEEZNS1_13binary_searchIS3_S5_NSA_INS8_10device_ptrIsEEEESG_SI_NS1_16binary_search_opENS9_16wrapped_functionINS8_7greaterIsEEbEEEE10hipError_tPvRmT1_T2_T3_mmT4_T5_P12ihipStream_tbEUlRKsE_EESS_SW_SX_mSY_S11_bEUlT_E_NS1_11comp_targetILNS1_3genE10ELNS1_11target_archE1201ELNS1_3gpuE5ELNS1_3repE0EEENS1_30default_config_static_selectorELNS0_4arch9wavefront6targetE0EEEvSV_,comdat
	.protected	_ZN7rocprim17ROCPRIM_400000_NS6detail17trampoline_kernelINS0_14default_configENS1_29binary_search_config_selectorIsiEEZNS1_14transform_implILb0ES3_S5_N6thrust23THRUST_200600_302600_NS6detail15normal_iteratorINS8_7pointerIsNS8_11hip_rocprim3tagENS8_11use_defaultESE_EEEENSA_INSB_IiSD_SE_SE_EEEEZNS1_13binary_searchIS3_S5_NSA_INS8_10device_ptrIsEEEESG_SI_NS1_16binary_search_opENS9_16wrapped_functionINS8_7greaterIsEEbEEEE10hipError_tPvRmT1_T2_T3_mmT4_T5_P12ihipStream_tbEUlRKsE_EESS_SW_SX_mSY_S11_bEUlT_E_NS1_11comp_targetILNS1_3genE10ELNS1_11target_archE1201ELNS1_3gpuE5ELNS1_3repE0EEENS1_30default_config_static_selectorELNS0_4arch9wavefront6targetE0EEEvSV_ ; -- Begin function _ZN7rocprim17ROCPRIM_400000_NS6detail17trampoline_kernelINS0_14default_configENS1_29binary_search_config_selectorIsiEEZNS1_14transform_implILb0ES3_S5_N6thrust23THRUST_200600_302600_NS6detail15normal_iteratorINS8_7pointerIsNS8_11hip_rocprim3tagENS8_11use_defaultESE_EEEENSA_INSB_IiSD_SE_SE_EEEEZNS1_13binary_searchIS3_S5_NSA_INS8_10device_ptrIsEEEESG_SI_NS1_16binary_search_opENS9_16wrapped_functionINS8_7greaterIsEEbEEEE10hipError_tPvRmT1_T2_T3_mmT4_T5_P12ihipStream_tbEUlRKsE_EESS_SW_SX_mSY_S11_bEUlT_E_NS1_11comp_targetILNS1_3genE10ELNS1_11target_archE1201ELNS1_3gpuE5ELNS1_3repE0EEENS1_30default_config_static_selectorELNS0_4arch9wavefront6targetE0EEEvSV_
	.globl	_ZN7rocprim17ROCPRIM_400000_NS6detail17trampoline_kernelINS0_14default_configENS1_29binary_search_config_selectorIsiEEZNS1_14transform_implILb0ES3_S5_N6thrust23THRUST_200600_302600_NS6detail15normal_iteratorINS8_7pointerIsNS8_11hip_rocprim3tagENS8_11use_defaultESE_EEEENSA_INSB_IiSD_SE_SE_EEEEZNS1_13binary_searchIS3_S5_NSA_INS8_10device_ptrIsEEEESG_SI_NS1_16binary_search_opENS9_16wrapped_functionINS8_7greaterIsEEbEEEE10hipError_tPvRmT1_T2_T3_mmT4_T5_P12ihipStream_tbEUlRKsE_EESS_SW_SX_mSY_S11_bEUlT_E_NS1_11comp_targetILNS1_3genE10ELNS1_11target_archE1201ELNS1_3gpuE5ELNS1_3repE0EEENS1_30default_config_static_selectorELNS0_4arch9wavefront6targetE0EEEvSV_
	.p2align	8
	.type	_ZN7rocprim17ROCPRIM_400000_NS6detail17trampoline_kernelINS0_14default_configENS1_29binary_search_config_selectorIsiEEZNS1_14transform_implILb0ES3_S5_N6thrust23THRUST_200600_302600_NS6detail15normal_iteratorINS8_7pointerIsNS8_11hip_rocprim3tagENS8_11use_defaultESE_EEEENSA_INSB_IiSD_SE_SE_EEEEZNS1_13binary_searchIS3_S5_NSA_INS8_10device_ptrIsEEEESG_SI_NS1_16binary_search_opENS9_16wrapped_functionINS8_7greaterIsEEbEEEE10hipError_tPvRmT1_T2_T3_mmT4_T5_P12ihipStream_tbEUlRKsE_EESS_SW_SX_mSY_S11_bEUlT_E_NS1_11comp_targetILNS1_3genE10ELNS1_11target_archE1201ELNS1_3gpuE5ELNS1_3repE0EEENS1_30default_config_static_selectorELNS0_4arch9wavefront6targetE0EEEvSV_,@function
_ZN7rocprim17ROCPRIM_400000_NS6detail17trampoline_kernelINS0_14default_configENS1_29binary_search_config_selectorIsiEEZNS1_14transform_implILb0ES3_S5_N6thrust23THRUST_200600_302600_NS6detail15normal_iteratorINS8_7pointerIsNS8_11hip_rocprim3tagENS8_11use_defaultESE_EEEENSA_INSB_IiSD_SE_SE_EEEEZNS1_13binary_searchIS3_S5_NSA_INS8_10device_ptrIsEEEESG_SI_NS1_16binary_search_opENS9_16wrapped_functionINS8_7greaterIsEEbEEEE10hipError_tPvRmT1_T2_T3_mmT4_T5_P12ihipStream_tbEUlRKsE_EESS_SW_SX_mSY_S11_bEUlT_E_NS1_11comp_targetILNS1_3genE10ELNS1_11target_archE1201ELNS1_3gpuE5ELNS1_3repE0EEENS1_30default_config_static_selectorELNS0_4arch9wavefront6targetE0EEEvSV_: ; @_ZN7rocprim17ROCPRIM_400000_NS6detail17trampoline_kernelINS0_14default_configENS1_29binary_search_config_selectorIsiEEZNS1_14transform_implILb0ES3_S5_N6thrust23THRUST_200600_302600_NS6detail15normal_iteratorINS8_7pointerIsNS8_11hip_rocprim3tagENS8_11use_defaultESE_EEEENSA_INSB_IiSD_SE_SE_EEEEZNS1_13binary_searchIS3_S5_NSA_INS8_10device_ptrIsEEEESG_SI_NS1_16binary_search_opENS9_16wrapped_functionINS8_7greaterIsEEbEEEE10hipError_tPvRmT1_T2_T3_mmT4_T5_P12ihipStream_tbEUlRKsE_EESS_SW_SX_mSY_S11_bEUlT_E_NS1_11comp_targetILNS1_3genE10ELNS1_11target_archE1201ELNS1_3gpuE5ELNS1_3repE0EEENS1_30default_config_static_selectorELNS0_4arch9wavefront6targetE0EEEvSV_
; %bb.0:
	.section	.rodata,"a",@progbits
	.p2align	6, 0x0
	.amdhsa_kernel _ZN7rocprim17ROCPRIM_400000_NS6detail17trampoline_kernelINS0_14default_configENS1_29binary_search_config_selectorIsiEEZNS1_14transform_implILb0ES3_S5_N6thrust23THRUST_200600_302600_NS6detail15normal_iteratorINS8_7pointerIsNS8_11hip_rocprim3tagENS8_11use_defaultESE_EEEENSA_INSB_IiSD_SE_SE_EEEEZNS1_13binary_searchIS3_S5_NSA_INS8_10device_ptrIsEEEESG_SI_NS1_16binary_search_opENS9_16wrapped_functionINS8_7greaterIsEEbEEEE10hipError_tPvRmT1_T2_T3_mmT4_T5_P12ihipStream_tbEUlRKsE_EESS_SW_SX_mSY_S11_bEUlT_E_NS1_11comp_targetILNS1_3genE10ELNS1_11target_archE1201ELNS1_3gpuE5ELNS1_3repE0EEENS1_30default_config_static_selectorELNS0_4arch9wavefront6targetE0EEEvSV_
		.amdhsa_group_segment_fixed_size 0
		.amdhsa_private_segment_fixed_size 0
		.amdhsa_kernarg_size 56
		.amdhsa_user_sgpr_count 2
		.amdhsa_user_sgpr_dispatch_ptr 0
		.amdhsa_user_sgpr_queue_ptr 0
		.amdhsa_user_sgpr_kernarg_segment_ptr 1
		.amdhsa_user_sgpr_dispatch_id 0
		.amdhsa_user_sgpr_kernarg_preload_length 0
		.amdhsa_user_sgpr_kernarg_preload_offset 0
		.amdhsa_user_sgpr_private_segment_size 0
		.amdhsa_wavefront_size32 1
		.amdhsa_uses_dynamic_stack 0
		.amdhsa_enable_private_segment 0
		.amdhsa_system_sgpr_workgroup_id_x 1
		.amdhsa_system_sgpr_workgroup_id_y 0
		.amdhsa_system_sgpr_workgroup_id_z 0
		.amdhsa_system_sgpr_workgroup_info 0
		.amdhsa_system_vgpr_workitem_id 0
		.amdhsa_next_free_vgpr 1
		.amdhsa_next_free_sgpr 1
		.amdhsa_named_barrier_count 0
		.amdhsa_reserve_vcc 0
		.amdhsa_float_round_mode_32 0
		.amdhsa_float_round_mode_16_64 0
		.amdhsa_float_denorm_mode_32 3
		.amdhsa_float_denorm_mode_16_64 3
		.amdhsa_fp16_overflow 0
		.amdhsa_memory_ordered 1
		.amdhsa_forward_progress 1
		.amdhsa_inst_pref_size 0
		.amdhsa_round_robin_scheduling 0
		.amdhsa_exception_fp_ieee_invalid_op 0
		.amdhsa_exception_fp_denorm_src 0
		.amdhsa_exception_fp_ieee_div_zero 0
		.amdhsa_exception_fp_ieee_overflow 0
		.amdhsa_exception_fp_ieee_underflow 0
		.amdhsa_exception_fp_ieee_inexact 0
		.amdhsa_exception_int_div_zero 0
	.end_amdhsa_kernel
	.section	.text._ZN7rocprim17ROCPRIM_400000_NS6detail17trampoline_kernelINS0_14default_configENS1_29binary_search_config_selectorIsiEEZNS1_14transform_implILb0ES3_S5_N6thrust23THRUST_200600_302600_NS6detail15normal_iteratorINS8_7pointerIsNS8_11hip_rocprim3tagENS8_11use_defaultESE_EEEENSA_INSB_IiSD_SE_SE_EEEEZNS1_13binary_searchIS3_S5_NSA_INS8_10device_ptrIsEEEESG_SI_NS1_16binary_search_opENS9_16wrapped_functionINS8_7greaterIsEEbEEEE10hipError_tPvRmT1_T2_T3_mmT4_T5_P12ihipStream_tbEUlRKsE_EESS_SW_SX_mSY_S11_bEUlT_E_NS1_11comp_targetILNS1_3genE10ELNS1_11target_archE1201ELNS1_3gpuE5ELNS1_3repE0EEENS1_30default_config_static_selectorELNS0_4arch9wavefront6targetE0EEEvSV_,"axG",@progbits,_ZN7rocprim17ROCPRIM_400000_NS6detail17trampoline_kernelINS0_14default_configENS1_29binary_search_config_selectorIsiEEZNS1_14transform_implILb0ES3_S5_N6thrust23THRUST_200600_302600_NS6detail15normal_iteratorINS8_7pointerIsNS8_11hip_rocprim3tagENS8_11use_defaultESE_EEEENSA_INSB_IiSD_SE_SE_EEEEZNS1_13binary_searchIS3_S5_NSA_INS8_10device_ptrIsEEEESG_SI_NS1_16binary_search_opENS9_16wrapped_functionINS8_7greaterIsEEbEEEE10hipError_tPvRmT1_T2_T3_mmT4_T5_P12ihipStream_tbEUlRKsE_EESS_SW_SX_mSY_S11_bEUlT_E_NS1_11comp_targetILNS1_3genE10ELNS1_11target_archE1201ELNS1_3gpuE5ELNS1_3repE0EEENS1_30default_config_static_selectorELNS0_4arch9wavefront6targetE0EEEvSV_,comdat
.Lfunc_end154:
	.size	_ZN7rocprim17ROCPRIM_400000_NS6detail17trampoline_kernelINS0_14default_configENS1_29binary_search_config_selectorIsiEEZNS1_14transform_implILb0ES3_S5_N6thrust23THRUST_200600_302600_NS6detail15normal_iteratorINS8_7pointerIsNS8_11hip_rocprim3tagENS8_11use_defaultESE_EEEENSA_INSB_IiSD_SE_SE_EEEEZNS1_13binary_searchIS3_S5_NSA_INS8_10device_ptrIsEEEESG_SI_NS1_16binary_search_opENS9_16wrapped_functionINS8_7greaterIsEEbEEEE10hipError_tPvRmT1_T2_T3_mmT4_T5_P12ihipStream_tbEUlRKsE_EESS_SW_SX_mSY_S11_bEUlT_E_NS1_11comp_targetILNS1_3genE10ELNS1_11target_archE1201ELNS1_3gpuE5ELNS1_3repE0EEENS1_30default_config_static_selectorELNS0_4arch9wavefront6targetE0EEEvSV_, .Lfunc_end154-_ZN7rocprim17ROCPRIM_400000_NS6detail17trampoline_kernelINS0_14default_configENS1_29binary_search_config_selectorIsiEEZNS1_14transform_implILb0ES3_S5_N6thrust23THRUST_200600_302600_NS6detail15normal_iteratorINS8_7pointerIsNS8_11hip_rocprim3tagENS8_11use_defaultESE_EEEENSA_INSB_IiSD_SE_SE_EEEEZNS1_13binary_searchIS3_S5_NSA_INS8_10device_ptrIsEEEESG_SI_NS1_16binary_search_opENS9_16wrapped_functionINS8_7greaterIsEEbEEEE10hipError_tPvRmT1_T2_T3_mmT4_T5_P12ihipStream_tbEUlRKsE_EESS_SW_SX_mSY_S11_bEUlT_E_NS1_11comp_targetILNS1_3genE10ELNS1_11target_archE1201ELNS1_3gpuE5ELNS1_3repE0EEENS1_30default_config_static_selectorELNS0_4arch9wavefront6targetE0EEEvSV_
                                        ; -- End function
	.set _ZN7rocprim17ROCPRIM_400000_NS6detail17trampoline_kernelINS0_14default_configENS1_29binary_search_config_selectorIsiEEZNS1_14transform_implILb0ES3_S5_N6thrust23THRUST_200600_302600_NS6detail15normal_iteratorINS8_7pointerIsNS8_11hip_rocprim3tagENS8_11use_defaultESE_EEEENSA_INSB_IiSD_SE_SE_EEEEZNS1_13binary_searchIS3_S5_NSA_INS8_10device_ptrIsEEEESG_SI_NS1_16binary_search_opENS9_16wrapped_functionINS8_7greaterIsEEbEEEE10hipError_tPvRmT1_T2_T3_mmT4_T5_P12ihipStream_tbEUlRKsE_EESS_SW_SX_mSY_S11_bEUlT_E_NS1_11comp_targetILNS1_3genE10ELNS1_11target_archE1201ELNS1_3gpuE5ELNS1_3repE0EEENS1_30default_config_static_selectorELNS0_4arch9wavefront6targetE0EEEvSV_.num_vgpr, 0
	.set _ZN7rocprim17ROCPRIM_400000_NS6detail17trampoline_kernelINS0_14default_configENS1_29binary_search_config_selectorIsiEEZNS1_14transform_implILb0ES3_S5_N6thrust23THRUST_200600_302600_NS6detail15normal_iteratorINS8_7pointerIsNS8_11hip_rocprim3tagENS8_11use_defaultESE_EEEENSA_INSB_IiSD_SE_SE_EEEEZNS1_13binary_searchIS3_S5_NSA_INS8_10device_ptrIsEEEESG_SI_NS1_16binary_search_opENS9_16wrapped_functionINS8_7greaterIsEEbEEEE10hipError_tPvRmT1_T2_T3_mmT4_T5_P12ihipStream_tbEUlRKsE_EESS_SW_SX_mSY_S11_bEUlT_E_NS1_11comp_targetILNS1_3genE10ELNS1_11target_archE1201ELNS1_3gpuE5ELNS1_3repE0EEENS1_30default_config_static_selectorELNS0_4arch9wavefront6targetE0EEEvSV_.num_agpr, 0
	.set _ZN7rocprim17ROCPRIM_400000_NS6detail17trampoline_kernelINS0_14default_configENS1_29binary_search_config_selectorIsiEEZNS1_14transform_implILb0ES3_S5_N6thrust23THRUST_200600_302600_NS6detail15normal_iteratorINS8_7pointerIsNS8_11hip_rocprim3tagENS8_11use_defaultESE_EEEENSA_INSB_IiSD_SE_SE_EEEEZNS1_13binary_searchIS3_S5_NSA_INS8_10device_ptrIsEEEESG_SI_NS1_16binary_search_opENS9_16wrapped_functionINS8_7greaterIsEEbEEEE10hipError_tPvRmT1_T2_T3_mmT4_T5_P12ihipStream_tbEUlRKsE_EESS_SW_SX_mSY_S11_bEUlT_E_NS1_11comp_targetILNS1_3genE10ELNS1_11target_archE1201ELNS1_3gpuE5ELNS1_3repE0EEENS1_30default_config_static_selectorELNS0_4arch9wavefront6targetE0EEEvSV_.numbered_sgpr, 0
	.set _ZN7rocprim17ROCPRIM_400000_NS6detail17trampoline_kernelINS0_14default_configENS1_29binary_search_config_selectorIsiEEZNS1_14transform_implILb0ES3_S5_N6thrust23THRUST_200600_302600_NS6detail15normal_iteratorINS8_7pointerIsNS8_11hip_rocprim3tagENS8_11use_defaultESE_EEEENSA_INSB_IiSD_SE_SE_EEEEZNS1_13binary_searchIS3_S5_NSA_INS8_10device_ptrIsEEEESG_SI_NS1_16binary_search_opENS9_16wrapped_functionINS8_7greaterIsEEbEEEE10hipError_tPvRmT1_T2_T3_mmT4_T5_P12ihipStream_tbEUlRKsE_EESS_SW_SX_mSY_S11_bEUlT_E_NS1_11comp_targetILNS1_3genE10ELNS1_11target_archE1201ELNS1_3gpuE5ELNS1_3repE0EEENS1_30default_config_static_selectorELNS0_4arch9wavefront6targetE0EEEvSV_.num_named_barrier, 0
	.set _ZN7rocprim17ROCPRIM_400000_NS6detail17trampoline_kernelINS0_14default_configENS1_29binary_search_config_selectorIsiEEZNS1_14transform_implILb0ES3_S5_N6thrust23THRUST_200600_302600_NS6detail15normal_iteratorINS8_7pointerIsNS8_11hip_rocprim3tagENS8_11use_defaultESE_EEEENSA_INSB_IiSD_SE_SE_EEEEZNS1_13binary_searchIS3_S5_NSA_INS8_10device_ptrIsEEEESG_SI_NS1_16binary_search_opENS9_16wrapped_functionINS8_7greaterIsEEbEEEE10hipError_tPvRmT1_T2_T3_mmT4_T5_P12ihipStream_tbEUlRKsE_EESS_SW_SX_mSY_S11_bEUlT_E_NS1_11comp_targetILNS1_3genE10ELNS1_11target_archE1201ELNS1_3gpuE5ELNS1_3repE0EEENS1_30default_config_static_selectorELNS0_4arch9wavefront6targetE0EEEvSV_.private_seg_size, 0
	.set _ZN7rocprim17ROCPRIM_400000_NS6detail17trampoline_kernelINS0_14default_configENS1_29binary_search_config_selectorIsiEEZNS1_14transform_implILb0ES3_S5_N6thrust23THRUST_200600_302600_NS6detail15normal_iteratorINS8_7pointerIsNS8_11hip_rocprim3tagENS8_11use_defaultESE_EEEENSA_INSB_IiSD_SE_SE_EEEEZNS1_13binary_searchIS3_S5_NSA_INS8_10device_ptrIsEEEESG_SI_NS1_16binary_search_opENS9_16wrapped_functionINS8_7greaterIsEEbEEEE10hipError_tPvRmT1_T2_T3_mmT4_T5_P12ihipStream_tbEUlRKsE_EESS_SW_SX_mSY_S11_bEUlT_E_NS1_11comp_targetILNS1_3genE10ELNS1_11target_archE1201ELNS1_3gpuE5ELNS1_3repE0EEENS1_30default_config_static_selectorELNS0_4arch9wavefront6targetE0EEEvSV_.uses_vcc, 0
	.set _ZN7rocprim17ROCPRIM_400000_NS6detail17trampoline_kernelINS0_14default_configENS1_29binary_search_config_selectorIsiEEZNS1_14transform_implILb0ES3_S5_N6thrust23THRUST_200600_302600_NS6detail15normal_iteratorINS8_7pointerIsNS8_11hip_rocprim3tagENS8_11use_defaultESE_EEEENSA_INSB_IiSD_SE_SE_EEEEZNS1_13binary_searchIS3_S5_NSA_INS8_10device_ptrIsEEEESG_SI_NS1_16binary_search_opENS9_16wrapped_functionINS8_7greaterIsEEbEEEE10hipError_tPvRmT1_T2_T3_mmT4_T5_P12ihipStream_tbEUlRKsE_EESS_SW_SX_mSY_S11_bEUlT_E_NS1_11comp_targetILNS1_3genE10ELNS1_11target_archE1201ELNS1_3gpuE5ELNS1_3repE0EEENS1_30default_config_static_selectorELNS0_4arch9wavefront6targetE0EEEvSV_.uses_flat_scratch, 0
	.set _ZN7rocprim17ROCPRIM_400000_NS6detail17trampoline_kernelINS0_14default_configENS1_29binary_search_config_selectorIsiEEZNS1_14transform_implILb0ES3_S5_N6thrust23THRUST_200600_302600_NS6detail15normal_iteratorINS8_7pointerIsNS8_11hip_rocprim3tagENS8_11use_defaultESE_EEEENSA_INSB_IiSD_SE_SE_EEEEZNS1_13binary_searchIS3_S5_NSA_INS8_10device_ptrIsEEEESG_SI_NS1_16binary_search_opENS9_16wrapped_functionINS8_7greaterIsEEbEEEE10hipError_tPvRmT1_T2_T3_mmT4_T5_P12ihipStream_tbEUlRKsE_EESS_SW_SX_mSY_S11_bEUlT_E_NS1_11comp_targetILNS1_3genE10ELNS1_11target_archE1201ELNS1_3gpuE5ELNS1_3repE0EEENS1_30default_config_static_selectorELNS0_4arch9wavefront6targetE0EEEvSV_.has_dyn_sized_stack, 0
	.set _ZN7rocprim17ROCPRIM_400000_NS6detail17trampoline_kernelINS0_14default_configENS1_29binary_search_config_selectorIsiEEZNS1_14transform_implILb0ES3_S5_N6thrust23THRUST_200600_302600_NS6detail15normal_iteratorINS8_7pointerIsNS8_11hip_rocprim3tagENS8_11use_defaultESE_EEEENSA_INSB_IiSD_SE_SE_EEEEZNS1_13binary_searchIS3_S5_NSA_INS8_10device_ptrIsEEEESG_SI_NS1_16binary_search_opENS9_16wrapped_functionINS8_7greaterIsEEbEEEE10hipError_tPvRmT1_T2_T3_mmT4_T5_P12ihipStream_tbEUlRKsE_EESS_SW_SX_mSY_S11_bEUlT_E_NS1_11comp_targetILNS1_3genE10ELNS1_11target_archE1201ELNS1_3gpuE5ELNS1_3repE0EEENS1_30default_config_static_selectorELNS0_4arch9wavefront6targetE0EEEvSV_.has_recursion, 0
	.set _ZN7rocprim17ROCPRIM_400000_NS6detail17trampoline_kernelINS0_14default_configENS1_29binary_search_config_selectorIsiEEZNS1_14transform_implILb0ES3_S5_N6thrust23THRUST_200600_302600_NS6detail15normal_iteratorINS8_7pointerIsNS8_11hip_rocprim3tagENS8_11use_defaultESE_EEEENSA_INSB_IiSD_SE_SE_EEEEZNS1_13binary_searchIS3_S5_NSA_INS8_10device_ptrIsEEEESG_SI_NS1_16binary_search_opENS9_16wrapped_functionINS8_7greaterIsEEbEEEE10hipError_tPvRmT1_T2_T3_mmT4_T5_P12ihipStream_tbEUlRKsE_EESS_SW_SX_mSY_S11_bEUlT_E_NS1_11comp_targetILNS1_3genE10ELNS1_11target_archE1201ELNS1_3gpuE5ELNS1_3repE0EEENS1_30default_config_static_selectorELNS0_4arch9wavefront6targetE0EEEvSV_.has_indirect_call, 0
	.section	.AMDGPU.csdata,"",@progbits
; Kernel info:
; codeLenInByte = 0
; TotalNumSgprs: 0
; NumVgprs: 0
; ScratchSize: 0
; MemoryBound: 0
; FloatMode: 240
; IeeeMode: 1
; LDSByteSize: 0 bytes/workgroup (compile time only)
; SGPRBlocks: 0
; VGPRBlocks: 0
; NumSGPRsForWavesPerEU: 1
; NumVGPRsForWavesPerEU: 1
; NamedBarCnt: 0
; Occupancy: 16
; WaveLimiterHint : 0
; COMPUTE_PGM_RSRC2:SCRATCH_EN: 0
; COMPUTE_PGM_RSRC2:USER_SGPR: 2
; COMPUTE_PGM_RSRC2:TRAP_HANDLER: 0
; COMPUTE_PGM_RSRC2:TGID_X_EN: 1
; COMPUTE_PGM_RSRC2:TGID_Y_EN: 0
; COMPUTE_PGM_RSRC2:TGID_Z_EN: 0
; COMPUTE_PGM_RSRC2:TIDIG_COMP_CNT: 0
	.section	.text._ZN7rocprim17ROCPRIM_400000_NS6detail17trampoline_kernelINS0_14default_configENS1_29binary_search_config_selectorIsiEEZNS1_14transform_implILb0ES3_S5_N6thrust23THRUST_200600_302600_NS6detail15normal_iteratorINS8_7pointerIsNS8_11hip_rocprim3tagENS8_11use_defaultESE_EEEENSA_INSB_IiSD_SE_SE_EEEEZNS1_13binary_searchIS3_S5_NSA_INS8_10device_ptrIsEEEESG_SI_NS1_16binary_search_opENS9_16wrapped_functionINS8_7greaterIsEEbEEEE10hipError_tPvRmT1_T2_T3_mmT4_T5_P12ihipStream_tbEUlRKsE_EESS_SW_SX_mSY_S11_bEUlT_E_NS1_11comp_targetILNS1_3genE10ELNS1_11target_archE1200ELNS1_3gpuE4ELNS1_3repE0EEENS1_30default_config_static_selectorELNS0_4arch9wavefront6targetE0EEEvSV_,"axG",@progbits,_ZN7rocprim17ROCPRIM_400000_NS6detail17trampoline_kernelINS0_14default_configENS1_29binary_search_config_selectorIsiEEZNS1_14transform_implILb0ES3_S5_N6thrust23THRUST_200600_302600_NS6detail15normal_iteratorINS8_7pointerIsNS8_11hip_rocprim3tagENS8_11use_defaultESE_EEEENSA_INSB_IiSD_SE_SE_EEEEZNS1_13binary_searchIS3_S5_NSA_INS8_10device_ptrIsEEEESG_SI_NS1_16binary_search_opENS9_16wrapped_functionINS8_7greaterIsEEbEEEE10hipError_tPvRmT1_T2_T3_mmT4_T5_P12ihipStream_tbEUlRKsE_EESS_SW_SX_mSY_S11_bEUlT_E_NS1_11comp_targetILNS1_3genE10ELNS1_11target_archE1200ELNS1_3gpuE4ELNS1_3repE0EEENS1_30default_config_static_selectorELNS0_4arch9wavefront6targetE0EEEvSV_,comdat
	.protected	_ZN7rocprim17ROCPRIM_400000_NS6detail17trampoline_kernelINS0_14default_configENS1_29binary_search_config_selectorIsiEEZNS1_14transform_implILb0ES3_S5_N6thrust23THRUST_200600_302600_NS6detail15normal_iteratorINS8_7pointerIsNS8_11hip_rocprim3tagENS8_11use_defaultESE_EEEENSA_INSB_IiSD_SE_SE_EEEEZNS1_13binary_searchIS3_S5_NSA_INS8_10device_ptrIsEEEESG_SI_NS1_16binary_search_opENS9_16wrapped_functionINS8_7greaterIsEEbEEEE10hipError_tPvRmT1_T2_T3_mmT4_T5_P12ihipStream_tbEUlRKsE_EESS_SW_SX_mSY_S11_bEUlT_E_NS1_11comp_targetILNS1_3genE10ELNS1_11target_archE1200ELNS1_3gpuE4ELNS1_3repE0EEENS1_30default_config_static_selectorELNS0_4arch9wavefront6targetE0EEEvSV_ ; -- Begin function _ZN7rocprim17ROCPRIM_400000_NS6detail17trampoline_kernelINS0_14default_configENS1_29binary_search_config_selectorIsiEEZNS1_14transform_implILb0ES3_S5_N6thrust23THRUST_200600_302600_NS6detail15normal_iteratorINS8_7pointerIsNS8_11hip_rocprim3tagENS8_11use_defaultESE_EEEENSA_INSB_IiSD_SE_SE_EEEEZNS1_13binary_searchIS3_S5_NSA_INS8_10device_ptrIsEEEESG_SI_NS1_16binary_search_opENS9_16wrapped_functionINS8_7greaterIsEEbEEEE10hipError_tPvRmT1_T2_T3_mmT4_T5_P12ihipStream_tbEUlRKsE_EESS_SW_SX_mSY_S11_bEUlT_E_NS1_11comp_targetILNS1_3genE10ELNS1_11target_archE1200ELNS1_3gpuE4ELNS1_3repE0EEENS1_30default_config_static_selectorELNS0_4arch9wavefront6targetE0EEEvSV_
	.globl	_ZN7rocprim17ROCPRIM_400000_NS6detail17trampoline_kernelINS0_14default_configENS1_29binary_search_config_selectorIsiEEZNS1_14transform_implILb0ES3_S5_N6thrust23THRUST_200600_302600_NS6detail15normal_iteratorINS8_7pointerIsNS8_11hip_rocprim3tagENS8_11use_defaultESE_EEEENSA_INSB_IiSD_SE_SE_EEEEZNS1_13binary_searchIS3_S5_NSA_INS8_10device_ptrIsEEEESG_SI_NS1_16binary_search_opENS9_16wrapped_functionINS8_7greaterIsEEbEEEE10hipError_tPvRmT1_T2_T3_mmT4_T5_P12ihipStream_tbEUlRKsE_EESS_SW_SX_mSY_S11_bEUlT_E_NS1_11comp_targetILNS1_3genE10ELNS1_11target_archE1200ELNS1_3gpuE4ELNS1_3repE0EEENS1_30default_config_static_selectorELNS0_4arch9wavefront6targetE0EEEvSV_
	.p2align	8
	.type	_ZN7rocprim17ROCPRIM_400000_NS6detail17trampoline_kernelINS0_14default_configENS1_29binary_search_config_selectorIsiEEZNS1_14transform_implILb0ES3_S5_N6thrust23THRUST_200600_302600_NS6detail15normal_iteratorINS8_7pointerIsNS8_11hip_rocprim3tagENS8_11use_defaultESE_EEEENSA_INSB_IiSD_SE_SE_EEEEZNS1_13binary_searchIS3_S5_NSA_INS8_10device_ptrIsEEEESG_SI_NS1_16binary_search_opENS9_16wrapped_functionINS8_7greaterIsEEbEEEE10hipError_tPvRmT1_T2_T3_mmT4_T5_P12ihipStream_tbEUlRKsE_EESS_SW_SX_mSY_S11_bEUlT_E_NS1_11comp_targetILNS1_3genE10ELNS1_11target_archE1200ELNS1_3gpuE4ELNS1_3repE0EEENS1_30default_config_static_selectorELNS0_4arch9wavefront6targetE0EEEvSV_,@function
_ZN7rocprim17ROCPRIM_400000_NS6detail17trampoline_kernelINS0_14default_configENS1_29binary_search_config_selectorIsiEEZNS1_14transform_implILb0ES3_S5_N6thrust23THRUST_200600_302600_NS6detail15normal_iteratorINS8_7pointerIsNS8_11hip_rocprim3tagENS8_11use_defaultESE_EEEENSA_INSB_IiSD_SE_SE_EEEEZNS1_13binary_searchIS3_S5_NSA_INS8_10device_ptrIsEEEESG_SI_NS1_16binary_search_opENS9_16wrapped_functionINS8_7greaterIsEEbEEEE10hipError_tPvRmT1_T2_T3_mmT4_T5_P12ihipStream_tbEUlRKsE_EESS_SW_SX_mSY_S11_bEUlT_E_NS1_11comp_targetILNS1_3genE10ELNS1_11target_archE1200ELNS1_3gpuE4ELNS1_3repE0EEENS1_30default_config_static_selectorELNS0_4arch9wavefront6targetE0EEEvSV_: ; @_ZN7rocprim17ROCPRIM_400000_NS6detail17trampoline_kernelINS0_14default_configENS1_29binary_search_config_selectorIsiEEZNS1_14transform_implILb0ES3_S5_N6thrust23THRUST_200600_302600_NS6detail15normal_iteratorINS8_7pointerIsNS8_11hip_rocprim3tagENS8_11use_defaultESE_EEEENSA_INSB_IiSD_SE_SE_EEEEZNS1_13binary_searchIS3_S5_NSA_INS8_10device_ptrIsEEEESG_SI_NS1_16binary_search_opENS9_16wrapped_functionINS8_7greaterIsEEbEEEE10hipError_tPvRmT1_T2_T3_mmT4_T5_P12ihipStream_tbEUlRKsE_EESS_SW_SX_mSY_S11_bEUlT_E_NS1_11comp_targetILNS1_3genE10ELNS1_11target_archE1200ELNS1_3gpuE4ELNS1_3repE0EEENS1_30default_config_static_selectorELNS0_4arch9wavefront6targetE0EEEvSV_
; %bb.0:
	.section	.rodata,"a",@progbits
	.p2align	6, 0x0
	.amdhsa_kernel _ZN7rocprim17ROCPRIM_400000_NS6detail17trampoline_kernelINS0_14default_configENS1_29binary_search_config_selectorIsiEEZNS1_14transform_implILb0ES3_S5_N6thrust23THRUST_200600_302600_NS6detail15normal_iteratorINS8_7pointerIsNS8_11hip_rocprim3tagENS8_11use_defaultESE_EEEENSA_INSB_IiSD_SE_SE_EEEEZNS1_13binary_searchIS3_S5_NSA_INS8_10device_ptrIsEEEESG_SI_NS1_16binary_search_opENS9_16wrapped_functionINS8_7greaterIsEEbEEEE10hipError_tPvRmT1_T2_T3_mmT4_T5_P12ihipStream_tbEUlRKsE_EESS_SW_SX_mSY_S11_bEUlT_E_NS1_11comp_targetILNS1_3genE10ELNS1_11target_archE1200ELNS1_3gpuE4ELNS1_3repE0EEENS1_30default_config_static_selectorELNS0_4arch9wavefront6targetE0EEEvSV_
		.amdhsa_group_segment_fixed_size 0
		.amdhsa_private_segment_fixed_size 0
		.amdhsa_kernarg_size 56
		.amdhsa_user_sgpr_count 2
		.amdhsa_user_sgpr_dispatch_ptr 0
		.amdhsa_user_sgpr_queue_ptr 0
		.amdhsa_user_sgpr_kernarg_segment_ptr 1
		.amdhsa_user_sgpr_dispatch_id 0
		.amdhsa_user_sgpr_kernarg_preload_length 0
		.amdhsa_user_sgpr_kernarg_preload_offset 0
		.amdhsa_user_sgpr_private_segment_size 0
		.amdhsa_wavefront_size32 1
		.amdhsa_uses_dynamic_stack 0
		.amdhsa_enable_private_segment 0
		.amdhsa_system_sgpr_workgroup_id_x 1
		.amdhsa_system_sgpr_workgroup_id_y 0
		.amdhsa_system_sgpr_workgroup_id_z 0
		.amdhsa_system_sgpr_workgroup_info 0
		.amdhsa_system_vgpr_workitem_id 0
		.amdhsa_next_free_vgpr 1
		.amdhsa_next_free_sgpr 1
		.amdhsa_named_barrier_count 0
		.amdhsa_reserve_vcc 0
		.amdhsa_float_round_mode_32 0
		.amdhsa_float_round_mode_16_64 0
		.amdhsa_float_denorm_mode_32 3
		.amdhsa_float_denorm_mode_16_64 3
		.amdhsa_fp16_overflow 0
		.amdhsa_memory_ordered 1
		.amdhsa_forward_progress 1
		.amdhsa_inst_pref_size 0
		.amdhsa_round_robin_scheduling 0
		.amdhsa_exception_fp_ieee_invalid_op 0
		.amdhsa_exception_fp_denorm_src 0
		.amdhsa_exception_fp_ieee_div_zero 0
		.amdhsa_exception_fp_ieee_overflow 0
		.amdhsa_exception_fp_ieee_underflow 0
		.amdhsa_exception_fp_ieee_inexact 0
		.amdhsa_exception_int_div_zero 0
	.end_amdhsa_kernel
	.section	.text._ZN7rocprim17ROCPRIM_400000_NS6detail17trampoline_kernelINS0_14default_configENS1_29binary_search_config_selectorIsiEEZNS1_14transform_implILb0ES3_S5_N6thrust23THRUST_200600_302600_NS6detail15normal_iteratorINS8_7pointerIsNS8_11hip_rocprim3tagENS8_11use_defaultESE_EEEENSA_INSB_IiSD_SE_SE_EEEEZNS1_13binary_searchIS3_S5_NSA_INS8_10device_ptrIsEEEESG_SI_NS1_16binary_search_opENS9_16wrapped_functionINS8_7greaterIsEEbEEEE10hipError_tPvRmT1_T2_T3_mmT4_T5_P12ihipStream_tbEUlRKsE_EESS_SW_SX_mSY_S11_bEUlT_E_NS1_11comp_targetILNS1_3genE10ELNS1_11target_archE1200ELNS1_3gpuE4ELNS1_3repE0EEENS1_30default_config_static_selectorELNS0_4arch9wavefront6targetE0EEEvSV_,"axG",@progbits,_ZN7rocprim17ROCPRIM_400000_NS6detail17trampoline_kernelINS0_14default_configENS1_29binary_search_config_selectorIsiEEZNS1_14transform_implILb0ES3_S5_N6thrust23THRUST_200600_302600_NS6detail15normal_iteratorINS8_7pointerIsNS8_11hip_rocprim3tagENS8_11use_defaultESE_EEEENSA_INSB_IiSD_SE_SE_EEEEZNS1_13binary_searchIS3_S5_NSA_INS8_10device_ptrIsEEEESG_SI_NS1_16binary_search_opENS9_16wrapped_functionINS8_7greaterIsEEbEEEE10hipError_tPvRmT1_T2_T3_mmT4_T5_P12ihipStream_tbEUlRKsE_EESS_SW_SX_mSY_S11_bEUlT_E_NS1_11comp_targetILNS1_3genE10ELNS1_11target_archE1200ELNS1_3gpuE4ELNS1_3repE0EEENS1_30default_config_static_selectorELNS0_4arch9wavefront6targetE0EEEvSV_,comdat
.Lfunc_end155:
	.size	_ZN7rocprim17ROCPRIM_400000_NS6detail17trampoline_kernelINS0_14default_configENS1_29binary_search_config_selectorIsiEEZNS1_14transform_implILb0ES3_S5_N6thrust23THRUST_200600_302600_NS6detail15normal_iteratorINS8_7pointerIsNS8_11hip_rocprim3tagENS8_11use_defaultESE_EEEENSA_INSB_IiSD_SE_SE_EEEEZNS1_13binary_searchIS3_S5_NSA_INS8_10device_ptrIsEEEESG_SI_NS1_16binary_search_opENS9_16wrapped_functionINS8_7greaterIsEEbEEEE10hipError_tPvRmT1_T2_T3_mmT4_T5_P12ihipStream_tbEUlRKsE_EESS_SW_SX_mSY_S11_bEUlT_E_NS1_11comp_targetILNS1_3genE10ELNS1_11target_archE1200ELNS1_3gpuE4ELNS1_3repE0EEENS1_30default_config_static_selectorELNS0_4arch9wavefront6targetE0EEEvSV_, .Lfunc_end155-_ZN7rocprim17ROCPRIM_400000_NS6detail17trampoline_kernelINS0_14default_configENS1_29binary_search_config_selectorIsiEEZNS1_14transform_implILb0ES3_S5_N6thrust23THRUST_200600_302600_NS6detail15normal_iteratorINS8_7pointerIsNS8_11hip_rocprim3tagENS8_11use_defaultESE_EEEENSA_INSB_IiSD_SE_SE_EEEEZNS1_13binary_searchIS3_S5_NSA_INS8_10device_ptrIsEEEESG_SI_NS1_16binary_search_opENS9_16wrapped_functionINS8_7greaterIsEEbEEEE10hipError_tPvRmT1_T2_T3_mmT4_T5_P12ihipStream_tbEUlRKsE_EESS_SW_SX_mSY_S11_bEUlT_E_NS1_11comp_targetILNS1_3genE10ELNS1_11target_archE1200ELNS1_3gpuE4ELNS1_3repE0EEENS1_30default_config_static_selectorELNS0_4arch9wavefront6targetE0EEEvSV_
                                        ; -- End function
	.set _ZN7rocprim17ROCPRIM_400000_NS6detail17trampoline_kernelINS0_14default_configENS1_29binary_search_config_selectorIsiEEZNS1_14transform_implILb0ES3_S5_N6thrust23THRUST_200600_302600_NS6detail15normal_iteratorINS8_7pointerIsNS8_11hip_rocprim3tagENS8_11use_defaultESE_EEEENSA_INSB_IiSD_SE_SE_EEEEZNS1_13binary_searchIS3_S5_NSA_INS8_10device_ptrIsEEEESG_SI_NS1_16binary_search_opENS9_16wrapped_functionINS8_7greaterIsEEbEEEE10hipError_tPvRmT1_T2_T3_mmT4_T5_P12ihipStream_tbEUlRKsE_EESS_SW_SX_mSY_S11_bEUlT_E_NS1_11comp_targetILNS1_3genE10ELNS1_11target_archE1200ELNS1_3gpuE4ELNS1_3repE0EEENS1_30default_config_static_selectorELNS0_4arch9wavefront6targetE0EEEvSV_.num_vgpr, 0
	.set _ZN7rocprim17ROCPRIM_400000_NS6detail17trampoline_kernelINS0_14default_configENS1_29binary_search_config_selectorIsiEEZNS1_14transform_implILb0ES3_S5_N6thrust23THRUST_200600_302600_NS6detail15normal_iteratorINS8_7pointerIsNS8_11hip_rocprim3tagENS8_11use_defaultESE_EEEENSA_INSB_IiSD_SE_SE_EEEEZNS1_13binary_searchIS3_S5_NSA_INS8_10device_ptrIsEEEESG_SI_NS1_16binary_search_opENS9_16wrapped_functionINS8_7greaterIsEEbEEEE10hipError_tPvRmT1_T2_T3_mmT4_T5_P12ihipStream_tbEUlRKsE_EESS_SW_SX_mSY_S11_bEUlT_E_NS1_11comp_targetILNS1_3genE10ELNS1_11target_archE1200ELNS1_3gpuE4ELNS1_3repE0EEENS1_30default_config_static_selectorELNS0_4arch9wavefront6targetE0EEEvSV_.num_agpr, 0
	.set _ZN7rocprim17ROCPRIM_400000_NS6detail17trampoline_kernelINS0_14default_configENS1_29binary_search_config_selectorIsiEEZNS1_14transform_implILb0ES3_S5_N6thrust23THRUST_200600_302600_NS6detail15normal_iteratorINS8_7pointerIsNS8_11hip_rocprim3tagENS8_11use_defaultESE_EEEENSA_INSB_IiSD_SE_SE_EEEEZNS1_13binary_searchIS3_S5_NSA_INS8_10device_ptrIsEEEESG_SI_NS1_16binary_search_opENS9_16wrapped_functionINS8_7greaterIsEEbEEEE10hipError_tPvRmT1_T2_T3_mmT4_T5_P12ihipStream_tbEUlRKsE_EESS_SW_SX_mSY_S11_bEUlT_E_NS1_11comp_targetILNS1_3genE10ELNS1_11target_archE1200ELNS1_3gpuE4ELNS1_3repE0EEENS1_30default_config_static_selectorELNS0_4arch9wavefront6targetE0EEEvSV_.numbered_sgpr, 0
	.set _ZN7rocprim17ROCPRIM_400000_NS6detail17trampoline_kernelINS0_14default_configENS1_29binary_search_config_selectorIsiEEZNS1_14transform_implILb0ES3_S5_N6thrust23THRUST_200600_302600_NS6detail15normal_iteratorINS8_7pointerIsNS8_11hip_rocprim3tagENS8_11use_defaultESE_EEEENSA_INSB_IiSD_SE_SE_EEEEZNS1_13binary_searchIS3_S5_NSA_INS8_10device_ptrIsEEEESG_SI_NS1_16binary_search_opENS9_16wrapped_functionINS8_7greaterIsEEbEEEE10hipError_tPvRmT1_T2_T3_mmT4_T5_P12ihipStream_tbEUlRKsE_EESS_SW_SX_mSY_S11_bEUlT_E_NS1_11comp_targetILNS1_3genE10ELNS1_11target_archE1200ELNS1_3gpuE4ELNS1_3repE0EEENS1_30default_config_static_selectorELNS0_4arch9wavefront6targetE0EEEvSV_.num_named_barrier, 0
	.set _ZN7rocprim17ROCPRIM_400000_NS6detail17trampoline_kernelINS0_14default_configENS1_29binary_search_config_selectorIsiEEZNS1_14transform_implILb0ES3_S5_N6thrust23THRUST_200600_302600_NS6detail15normal_iteratorINS8_7pointerIsNS8_11hip_rocprim3tagENS8_11use_defaultESE_EEEENSA_INSB_IiSD_SE_SE_EEEEZNS1_13binary_searchIS3_S5_NSA_INS8_10device_ptrIsEEEESG_SI_NS1_16binary_search_opENS9_16wrapped_functionINS8_7greaterIsEEbEEEE10hipError_tPvRmT1_T2_T3_mmT4_T5_P12ihipStream_tbEUlRKsE_EESS_SW_SX_mSY_S11_bEUlT_E_NS1_11comp_targetILNS1_3genE10ELNS1_11target_archE1200ELNS1_3gpuE4ELNS1_3repE0EEENS1_30default_config_static_selectorELNS0_4arch9wavefront6targetE0EEEvSV_.private_seg_size, 0
	.set _ZN7rocprim17ROCPRIM_400000_NS6detail17trampoline_kernelINS0_14default_configENS1_29binary_search_config_selectorIsiEEZNS1_14transform_implILb0ES3_S5_N6thrust23THRUST_200600_302600_NS6detail15normal_iteratorINS8_7pointerIsNS8_11hip_rocprim3tagENS8_11use_defaultESE_EEEENSA_INSB_IiSD_SE_SE_EEEEZNS1_13binary_searchIS3_S5_NSA_INS8_10device_ptrIsEEEESG_SI_NS1_16binary_search_opENS9_16wrapped_functionINS8_7greaterIsEEbEEEE10hipError_tPvRmT1_T2_T3_mmT4_T5_P12ihipStream_tbEUlRKsE_EESS_SW_SX_mSY_S11_bEUlT_E_NS1_11comp_targetILNS1_3genE10ELNS1_11target_archE1200ELNS1_3gpuE4ELNS1_3repE0EEENS1_30default_config_static_selectorELNS0_4arch9wavefront6targetE0EEEvSV_.uses_vcc, 0
	.set _ZN7rocprim17ROCPRIM_400000_NS6detail17trampoline_kernelINS0_14default_configENS1_29binary_search_config_selectorIsiEEZNS1_14transform_implILb0ES3_S5_N6thrust23THRUST_200600_302600_NS6detail15normal_iteratorINS8_7pointerIsNS8_11hip_rocprim3tagENS8_11use_defaultESE_EEEENSA_INSB_IiSD_SE_SE_EEEEZNS1_13binary_searchIS3_S5_NSA_INS8_10device_ptrIsEEEESG_SI_NS1_16binary_search_opENS9_16wrapped_functionINS8_7greaterIsEEbEEEE10hipError_tPvRmT1_T2_T3_mmT4_T5_P12ihipStream_tbEUlRKsE_EESS_SW_SX_mSY_S11_bEUlT_E_NS1_11comp_targetILNS1_3genE10ELNS1_11target_archE1200ELNS1_3gpuE4ELNS1_3repE0EEENS1_30default_config_static_selectorELNS0_4arch9wavefront6targetE0EEEvSV_.uses_flat_scratch, 0
	.set _ZN7rocprim17ROCPRIM_400000_NS6detail17trampoline_kernelINS0_14default_configENS1_29binary_search_config_selectorIsiEEZNS1_14transform_implILb0ES3_S5_N6thrust23THRUST_200600_302600_NS6detail15normal_iteratorINS8_7pointerIsNS8_11hip_rocprim3tagENS8_11use_defaultESE_EEEENSA_INSB_IiSD_SE_SE_EEEEZNS1_13binary_searchIS3_S5_NSA_INS8_10device_ptrIsEEEESG_SI_NS1_16binary_search_opENS9_16wrapped_functionINS8_7greaterIsEEbEEEE10hipError_tPvRmT1_T2_T3_mmT4_T5_P12ihipStream_tbEUlRKsE_EESS_SW_SX_mSY_S11_bEUlT_E_NS1_11comp_targetILNS1_3genE10ELNS1_11target_archE1200ELNS1_3gpuE4ELNS1_3repE0EEENS1_30default_config_static_selectorELNS0_4arch9wavefront6targetE0EEEvSV_.has_dyn_sized_stack, 0
	.set _ZN7rocprim17ROCPRIM_400000_NS6detail17trampoline_kernelINS0_14default_configENS1_29binary_search_config_selectorIsiEEZNS1_14transform_implILb0ES3_S5_N6thrust23THRUST_200600_302600_NS6detail15normal_iteratorINS8_7pointerIsNS8_11hip_rocprim3tagENS8_11use_defaultESE_EEEENSA_INSB_IiSD_SE_SE_EEEEZNS1_13binary_searchIS3_S5_NSA_INS8_10device_ptrIsEEEESG_SI_NS1_16binary_search_opENS9_16wrapped_functionINS8_7greaterIsEEbEEEE10hipError_tPvRmT1_T2_T3_mmT4_T5_P12ihipStream_tbEUlRKsE_EESS_SW_SX_mSY_S11_bEUlT_E_NS1_11comp_targetILNS1_3genE10ELNS1_11target_archE1200ELNS1_3gpuE4ELNS1_3repE0EEENS1_30default_config_static_selectorELNS0_4arch9wavefront6targetE0EEEvSV_.has_recursion, 0
	.set _ZN7rocprim17ROCPRIM_400000_NS6detail17trampoline_kernelINS0_14default_configENS1_29binary_search_config_selectorIsiEEZNS1_14transform_implILb0ES3_S5_N6thrust23THRUST_200600_302600_NS6detail15normal_iteratorINS8_7pointerIsNS8_11hip_rocprim3tagENS8_11use_defaultESE_EEEENSA_INSB_IiSD_SE_SE_EEEEZNS1_13binary_searchIS3_S5_NSA_INS8_10device_ptrIsEEEESG_SI_NS1_16binary_search_opENS9_16wrapped_functionINS8_7greaterIsEEbEEEE10hipError_tPvRmT1_T2_T3_mmT4_T5_P12ihipStream_tbEUlRKsE_EESS_SW_SX_mSY_S11_bEUlT_E_NS1_11comp_targetILNS1_3genE10ELNS1_11target_archE1200ELNS1_3gpuE4ELNS1_3repE0EEENS1_30default_config_static_selectorELNS0_4arch9wavefront6targetE0EEEvSV_.has_indirect_call, 0
	.section	.AMDGPU.csdata,"",@progbits
; Kernel info:
; codeLenInByte = 0
; TotalNumSgprs: 0
; NumVgprs: 0
; ScratchSize: 0
; MemoryBound: 0
; FloatMode: 240
; IeeeMode: 1
; LDSByteSize: 0 bytes/workgroup (compile time only)
; SGPRBlocks: 0
; VGPRBlocks: 0
; NumSGPRsForWavesPerEU: 1
; NumVGPRsForWavesPerEU: 1
; NamedBarCnt: 0
; Occupancy: 16
; WaveLimiterHint : 0
; COMPUTE_PGM_RSRC2:SCRATCH_EN: 0
; COMPUTE_PGM_RSRC2:USER_SGPR: 2
; COMPUTE_PGM_RSRC2:TRAP_HANDLER: 0
; COMPUTE_PGM_RSRC2:TGID_X_EN: 1
; COMPUTE_PGM_RSRC2:TGID_Y_EN: 0
; COMPUTE_PGM_RSRC2:TGID_Z_EN: 0
; COMPUTE_PGM_RSRC2:TIDIG_COMP_CNT: 0
	.section	.text._ZN7rocprim17ROCPRIM_400000_NS6detail17trampoline_kernelINS0_14default_configENS1_29binary_search_config_selectorIsiEEZNS1_14transform_implILb0ES3_S5_N6thrust23THRUST_200600_302600_NS6detail15normal_iteratorINS8_7pointerIsNS8_11hip_rocprim3tagENS8_11use_defaultESE_EEEENSA_INSB_IiSD_SE_SE_EEEEZNS1_13binary_searchIS3_S5_NSA_INS8_10device_ptrIsEEEESG_SI_NS1_16binary_search_opENS9_16wrapped_functionINS8_7greaterIsEEbEEEE10hipError_tPvRmT1_T2_T3_mmT4_T5_P12ihipStream_tbEUlRKsE_EESS_SW_SX_mSY_S11_bEUlT_E_NS1_11comp_targetILNS1_3genE9ELNS1_11target_archE1100ELNS1_3gpuE3ELNS1_3repE0EEENS1_30default_config_static_selectorELNS0_4arch9wavefront6targetE0EEEvSV_,"axG",@progbits,_ZN7rocprim17ROCPRIM_400000_NS6detail17trampoline_kernelINS0_14default_configENS1_29binary_search_config_selectorIsiEEZNS1_14transform_implILb0ES3_S5_N6thrust23THRUST_200600_302600_NS6detail15normal_iteratorINS8_7pointerIsNS8_11hip_rocprim3tagENS8_11use_defaultESE_EEEENSA_INSB_IiSD_SE_SE_EEEEZNS1_13binary_searchIS3_S5_NSA_INS8_10device_ptrIsEEEESG_SI_NS1_16binary_search_opENS9_16wrapped_functionINS8_7greaterIsEEbEEEE10hipError_tPvRmT1_T2_T3_mmT4_T5_P12ihipStream_tbEUlRKsE_EESS_SW_SX_mSY_S11_bEUlT_E_NS1_11comp_targetILNS1_3genE9ELNS1_11target_archE1100ELNS1_3gpuE3ELNS1_3repE0EEENS1_30default_config_static_selectorELNS0_4arch9wavefront6targetE0EEEvSV_,comdat
	.protected	_ZN7rocprim17ROCPRIM_400000_NS6detail17trampoline_kernelINS0_14default_configENS1_29binary_search_config_selectorIsiEEZNS1_14transform_implILb0ES3_S5_N6thrust23THRUST_200600_302600_NS6detail15normal_iteratorINS8_7pointerIsNS8_11hip_rocprim3tagENS8_11use_defaultESE_EEEENSA_INSB_IiSD_SE_SE_EEEEZNS1_13binary_searchIS3_S5_NSA_INS8_10device_ptrIsEEEESG_SI_NS1_16binary_search_opENS9_16wrapped_functionINS8_7greaterIsEEbEEEE10hipError_tPvRmT1_T2_T3_mmT4_T5_P12ihipStream_tbEUlRKsE_EESS_SW_SX_mSY_S11_bEUlT_E_NS1_11comp_targetILNS1_3genE9ELNS1_11target_archE1100ELNS1_3gpuE3ELNS1_3repE0EEENS1_30default_config_static_selectorELNS0_4arch9wavefront6targetE0EEEvSV_ ; -- Begin function _ZN7rocprim17ROCPRIM_400000_NS6detail17trampoline_kernelINS0_14default_configENS1_29binary_search_config_selectorIsiEEZNS1_14transform_implILb0ES3_S5_N6thrust23THRUST_200600_302600_NS6detail15normal_iteratorINS8_7pointerIsNS8_11hip_rocprim3tagENS8_11use_defaultESE_EEEENSA_INSB_IiSD_SE_SE_EEEEZNS1_13binary_searchIS3_S5_NSA_INS8_10device_ptrIsEEEESG_SI_NS1_16binary_search_opENS9_16wrapped_functionINS8_7greaterIsEEbEEEE10hipError_tPvRmT1_T2_T3_mmT4_T5_P12ihipStream_tbEUlRKsE_EESS_SW_SX_mSY_S11_bEUlT_E_NS1_11comp_targetILNS1_3genE9ELNS1_11target_archE1100ELNS1_3gpuE3ELNS1_3repE0EEENS1_30default_config_static_selectorELNS0_4arch9wavefront6targetE0EEEvSV_
	.globl	_ZN7rocprim17ROCPRIM_400000_NS6detail17trampoline_kernelINS0_14default_configENS1_29binary_search_config_selectorIsiEEZNS1_14transform_implILb0ES3_S5_N6thrust23THRUST_200600_302600_NS6detail15normal_iteratorINS8_7pointerIsNS8_11hip_rocprim3tagENS8_11use_defaultESE_EEEENSA_INSB_IiSD_SE_SE_EEEEZNS1_13binary_searchIS3_S5_NSA_INS8_10device_ptrIsEEEESG_SI_NS1_16binary_search_opENS9_16wrapped_functionINS8_7greaterIsEEbEEEE10hipError_tPvRmT1_T2_T3_mmT4_T5_P12ihipStream_tbEUlRKsE_EESS_SW_SX_mSY_S11_bEUlT_E_NS1_11comp_targetILNS1_3genE9ELNS1_11target_archE1100ELNS1_3gpuE3ELNS1_3repE0EEENS1_30default_config_static_selectorELNS0_4arch9wavefront6targetE0EEEvSV_
	.p2align	8
	.type	_ZN7rocprim17ROCPRIM_400000_NS6detail17trampoline_kernelINS0_14default_configENS1_29binary_search_config_selectorIsiEEZNS1_14transform_implILb0ES3_S5_N6thrust23THRUST_200600_302600_NS6detail15normal_iteratorINS8_7pointerIsNS8_11hip_rocprim3tagENS8_11use_defaultESE_EEEENSA_INSB_IiSD_SE_SE_EEEEZNS1_13binary_searchIS3_S5_NSA_INS8_10device_ptrIsEEEESG_SI_NS1_16binary_search_opENS9_16wrapped_functionINS8_7greaterIsEEbEEEE10hipError_tPvRmT1_T2_T3_mmT4_T5_P12ihipStream_tbEUlRKsE_EESS_SW_SX_mSY_S11_bEUlT_E_NS1_11comp_targetILNS1_3genE9ELNS1_11target_archE1100ELNS1_3gpuE3ELNS1_3repE0EEENS1_30default_config_static_selectorELNS0_4arch9wavefront6targetE0EEEvSV_,@function
_ZN7rocprim17ROCPRIM_400000_NS6detail17trampoline_kernelINS0_14default_configENS1_29binary_search_config_selectorIsiEEZNS1_14transform_implILb0ES3_S5_N6thrust23THRUST_200600_302600_NS6detail15normal_iteratorINS8_7pointerIsNS8_11hip_rocprim3tagENS8_11use_defaultESE_EEEENSA_INSB_IiSD_SE_SE_EEEEZNS1_13binary_searchIS3_S5_NSA_INS8_10device_ptrIsEEEESG_SI_NS1_16binary_search_opENS9_16wrapped_functionINS8_7greaterIsEEbEEEE10hipError_tPvRmT1_T2_T3_mmT4_T5_P12ihipStream_tbEUlRKsE_EESS_SW_SX_mSY_S11_bEUlT_E_NS1_11comp_targetILNS1_3genE9ELNS1_11target_archE1100ELNS1_3gpuE3ELNS1_3repE0EEENS1_30default_config_static_selectorELNS0_4arch9wavefront6targetE0EEEvSV_: ; @_ZN7rocprim17ROCPRIM_400000_NS6detail17trampoline_kernelINS0_14default_configENS1_29binary_search_config_selectorIsiEEZNS1_14transform_implILb0ES3_S5_N6thrust23THRUST_200600_302600_NS6detail15normal_iteratorINS8_7pointerIsNS8_11hip_rocprim3tagENS8_11use_defaultESE_EEEENSA_INSB_IiSD_SE_SE_EEEEZNS1_13binary_searchIS3_S5_NSA_INS8_10device_ptrIsEEEESG_SI_NS1_16binary_search_opENS9_16wrapped_functionINS8_7greaterIsEEbEEEE10hipError_tPvRmT1_T2_T3_mmT4_T5_P12ihipStream_tbEUlRKsE_EESS_SW_SX_mSY_S11_bEUlT_E_NS1_11comp_targetILNS1_3genE9ELNS1_11target_archE1100ELNS1_3gpuE3ELNS1_3repE0EEENS1_30default_config_static_selectorELNS0_4arch9wavefront6targetE0EEEvSV_
; %bb.0:
	.section	.rodata,"a",@progbits
	.p2align	6, 0x0
	.amdhsa_kernel _ZN7rocprim17ROCPRIM_400000_NS6detail17trampoline_kernelINS0_14default_configENS1_29binary_search_config_selectorIsiEEZNS1_14transform_implILb0ES3_S5_N6thrust23THRUST_200600_302600_NS6detail15normal_iteratorINS8_7pointerIsNS8_11hip_rocprim3tagENS8_11use_defaultESE_EEEENSA_INSB_IiSD_SE_SE_EEEEZNS1_13binary_searchIS3_S5_NSA_INS8_10device_ptrIsEEEESG_SI_NS1_16binary_search_opENS9_16wrapped_functionINS8_7greaterIsEEbEEEE10hipError_tPvRmT1_T2_T3_mmT4_T5_P12ihipStream_tbEUlRKsE_EESS_SW_SX_mSY_S11_bEUlT_E_NS1_11comp_targetILNS1_3genE9ELNS1_11target_archE1100ELNS1_3gpuE3ELNS1_3repE0EEENS1_30default_config_static_selectorELNS0_4arch9wavefront6targetE0EEEvSV_
		.amdhsa_group_segment_fixed_size 0
		.amdhsa_private_segment_fixed_size 0
		.amdhsa_kernarg_size 56
		.amdhsa_user_sgpr_count 2
		.amdhsa_user_sgpr_dispatch_ptr 0
		.amdhsa_user_sgpr_queue_ptr 0
		.amdhsa_user_sgpr_kernarg_segment_ptr 1
		.amdhsa_user_sgpr_dispatch_id 0
		.amdhsa_user_sgpr_kernarg_preload_length 0
		.amdhsa_user_sgpr_kernarg_preload_offset 0
		.amdhsa_user_sgpr_private_segment_size 0
		.amdhsa_wavefront_size32 1
		.amdhsa_uses_dynamic_stack 0
		.amdhsa_enable_private_segment 0
		.amdhsa_system_sgpr_workgroup_id_x 1
		.amdhsa_system_sgpr_workgroup_id_y 0
		.amdhsa_system_sgpr_workgroup_id_z 0
		.amdhsa_system_sgpr_workgroup_info 0
		.amdhsa_system_vgpr_workitem_id 0
		.amdhsa_next_free_vgpr 1
		.amdhsa_next_free_sgpr 1
		.amdhsa_named_barrier_count 0
		.amdhsa_reserve_vcc 0
		.amdhsa_float_round_mode_32 0
		.amdhsa_float_round_mode_16_64 0
		.amdhsa_float_denorm_mode_32 3
		.amdhsa_float_denorm_mode_16_64 3
		.amdhsa_fp16_overflow 0
		.amdhsa_memory_ordered 1
		.amdhsa_forward_progress 1
		.amdhsa_inst_pref_size 0
		.amdhsa_round_robin_scheduling 0
		.amdhsa_exception_fp_ieee_invalid_op 0
		.amdhsa_exception_fp_denorm_src 0
		.amdhsa_exception_fp_ieee_div_zero 0
		.amdhsa_exception_fp_ieee_overflow 0
		.amdhsa_exception_fp_ieee_underflow 0
		.amdhsa_exception_fp_ieee_inexact 0
		.amdhsa_exception_int_div_zero 0
	.end_amdhsa_kernel
	.section	.text._ZN7rocprim17ROCPRIM_400000_NS6detail17trampoline_kernelINS0_14default_configENS1_29binary_search_config_selectorIsiEEZNS1_14transform_implILb0ES3_S5_N6thrust23THRUST_200600_302600_NS6detail15normal_iteratorINS8_7pointerIsNS8_11hip_rocprim3tagENS8_11use_defaultESE_EEEENSA_INSB_IiSD_SE_SE_EEEEZNS1_13binary_searchIS3_S5_NSA_INS8_10device_ptrIsEEEESG_SI_NS1_16binary_search_opENS9_16wrapped_functionINS8_7greaterIsEEbEEEE10hipError_tPvRmT1_T2_T3_mmT4_T5_P12ihipStream_tbEUlRKsE_EESS_SW_SX_mSY_S11_bEUlT_E_NS1_11comp_targetILNS1_3genE9ELNS1_11target_archE1100ELNS1_3gpuE3ELNS1_3repE0EEENS1_30default_config_static_selectorELNS0_4arch9wavefront6targetE0EEEvSV_,"axG",@progbits,_ZN7rocprim17ROCPRIM_400000_NS6detail17trampoline_kernelINS0_14default_configENS1_29binary_search_config_selectorIsiEEZNS1_14transform_implILb0ES3_S5_N6thrust23THRUST_200600_302600_NS6detail15normal_iteratorINS8_7pointerIsNS8_11hip_rocprim3tagENS8_11use_defaultESE_EEEENSA_INSB_IiSD_SE_SE_EEEEZNS1_13binary_searchIS3_S5_NSA_INS8_10device_ptrIsEEEESG_SI_NS1_16binary_search_opENS9_16wrapped_functionINS8_7greaterIsEEbEEEE10hipError_tPvRmT1_T2_T3_mmT4_T5_P12ihipStream_tbEUlRKsE_EESS_SW_SX_mSY_S11_bEUlT_E_NS1_11comp_targetILNS1_3genE9ELNS1_11target_archE1100ELNS1_3gpuE3ELNS1_3repE0EEENS1_30default_config_static_selectorELNS0_4arch9wavefront6targetE0EEEvSV_,comdat
.Lfunc_end156:
	.size	_ZN7rocprim17ROCPRIM_400000_NS6detail17trampoline_kernelINS0_14default_configENS1_29binary_search_config_selectorIsiEEZNS1_14transform_implILb0ES3_S5_N6thrust23THRUST_200600_302600_NS6detail15normal_iteratorINS8_7pointerIsNS8_11hip_rocprim3tagENS8_11use_defaultESE_EEEENSA_INSB_IiSD_SE_SE_EEEEZNS1_13binary_searchIS3_S5_NSA_INS8_10device_ptrIsEEEESG_SI_NS1_16binary_search_opENS9_16wrapped_functionINS8_7greaterIsEEbEEEE10hipError_tPvRmT1_T2_T3_mmT4_T5_P12ihipStream_tbEUlRKsE_EESS_SW_SX_mSY_S11_bEUlT_E_NS1_11comp_targetILNS1_3genE9ELNS1_11target_archE1100ELNS1_3gpuE3ELNS1_3repE0EEENS1_30default_config_static_selectorELNS0_4arch9wavefront6targetE0EEEvSV_, .Lfunc_end156-_ZN7rocprim17ROCPRIM_400000_NS6detail17trampoline_kernelINS0_14default_configENS1_29binary_search_config_selectorIsiEEZNS1_14transform_implILb0ES3_S5_N6thrust23THRUST_200600_302600_NS6detail15normal_iteratorINS8_7pointerIsNS8_11hip_rocprim3tagENS8_11use_defaultESE_EEEENSA_INSB_IiSD_SE_SE_EEEEZNS1_13binary_searchIS3_S5_NSA_INS8_10device_ptrIsEEEESG_SI_NS1_16binary_search_opENS9_16wrapped_functionINS8_7greaterIsEEbEEEE10hipError_tPvRmT1_T2_T3_mmT4_T5_P12ihipStream_tbEUlRKsE_EESS_SW_SX_mSY_S11_bEUlT_E_NS1_11comp_targetILNS1_3genE9ELNS1_11target_archE1100ELNS1_3gpuE3ELNS1_3repE0EEENS1_30default_config_static_selectorELNS0_4arch9wavefront6targetE0EEEvSV_
                                        ; -- End function
	.set _ZN7rocprim17ROCPRIM_400000_NS6detail17trampoline_kernelINS0_14default_configENS1_29binary_search_config_selectorIsiEEZNS1_14transform_implILb0ES3_S5_N6thrust23THRUST_200600_302600_NS6detail15normal_iteratorINS8_7pointerIsNS8_11hip_rocprim3tagENS8_11use_defaultESE_EEEENSA_INSB_IiSD_SE_SE_EEEEZNS1_13binary_searchIS3_S5_NSA_INS8_10device_ptrIsEEEESG_SI_NS1_16binary_search_opENS9_16wrapped_functionINS8_7greaterIsEEbEEEE10hipError_tPvRmT1_T2_T3_mmT4_T5_P12ihipStream_tbEUlRKsE_EESS_SW_SX_mSY_S11_bEUlT_E_NS1_11comp_targetILNS1_3genE9ELNS1_11target_archE1100ELNS1_3gpuE3ELNS1_3repE0EEENS1_30default_config_static_selectorELNS0_4arch9wavefront6targetE0EEEvSV_.num_vgpr, 0
	.set _ZN7rocprim17ROCPRIM_400000_NS6detail17trampoline_kernelINS0_14default_configENS1_29binary_search_config_selectorIsiEEZNS1_14transform_implILb0ES3_S5_N6thrust23THRUST_200600_302600_NS6detail15normal_iteratorINS8_7pointerIsNS8_11hip_rocprim3tagENS8_11use_defaultESE_EEEENSA_INSB_IiSD_SE_SE_EEEEZNS1_13binary_searchIS3_S5_NSA_INS8_10device_ptrIsEEEESG_SI_NS1_16binary_search_opENS9_16wrapped_functionINS8_7greaterIsEEbEEEE10hipError_tPvRmT1_T2_T3_mmT4_T5_P12ihipStream_tbEUlRKsE_EESS_SW_SX_mSY_S11_bEUlT_E_NS1_11comp_targetILNS1_3genE9ELNS1_11target_archE1100ELNS1_3gpuE3ELNS1_3repE0EEENS1_30default_config_static_selectorELNS0_4arch9wavefront6targetE0EEEvSV_.num_agpr, 0
	.set _ZN7rocprim17ROCPRIM_400000_NS6detail17trampoline_kernelINS0_14default_configENS1_29binary_search_config_selectorIsiEEZNS1_14transform_implILb0ES3_S5_N6thrust23THRUST_200600_302600_NS6detail15normal_iteratorINS8_7pointerIsNS8_11hip_rocprim3tagENS8_11use_defaultESE_EEEENSA_INSB_IiSD_SE_SE_EEEEZNS1_13binary_searchIS3_S5_NSA_INS8_10device_ptrIsEEEESG_SI_NS1_16binary_search_opENS9_16wrapped_functionINS8_7greaterIsEEbEEEE10hipError_tPvRmT1_T2_T3_mmT4_T5_P12ihipStream_tbEUlRKsE_EESS_SW_SX_mSY_S11_bEUlT_E_NS1_11comp_targetILNS1_3genE9ELNS1_11target_archE1100ELNS1_3gpuE3ELNS1_3repE0EEENS1_30default_config_static_selectorELNS0_4arch9wavefront6targetE0EEEvSV_.numbered_sgpr, 0
	.set _ZN7rocprim17ROCPRIM_400000_NS6detail17trampoline_kernelINS0_14default_configENS1_29binary_search_config_selectorIsiEEZNS1_14transform_implILb0ES3_S5_N6thrust23THRUST_200600_302600_NS6detail15normal_iteratorINS8_7pointerIsNS8_11hip_rocprim3tagENS8_11use_defaultESE_EEEENSA_INSB_IiSD_SE_SE_EEEEZNS1_13binary_searchIS3_S5_NSA_INS8_10device_ptrIsEEEESG_SI_NS1_16binary_search_opENS9_16wrapped_functionINS8_7greaterIsEEbEEEE10hipError_tPvRmT1_T2_T3_mmT4_T5_P12ihipStream_tbEUlRKsE_EESS_SW_SX_mSY_S11_bEUlT_E_NS1_11comp_targetILNS1_3genE9ELNS1_11target_archE1100ELNS1_3gpuE3ELNS1_3repE0EEENS1_30default_config_static_selectorELNS0_4arch9wavefront6targetE0EEEvSV_.num_named_barrier, 0
	.set _ZN7rocprim17ROCPRIM_400000_NS6detail17trampoline_kernelINS0_14default_configENS1_29binary_search_config_selectorIsiEEZNS1_14transform_implILb0ES3_S5_N6thrust23THRUST_200600_302600_NS6detail15normal_iteratorINS8_7pointerIsNS8_11hip_rocprim3tagENS8_11use_defaultESE_EEEENSA_INSB_IiSD_SE_SE_EEEEZNS1_13binary_searchIS3_S5_NSA_INS8_10device_ptrIsEEEESG_SI_NS1_16binary_search_opENS9_16wrapped_functionINS8_7greaterIsEEbEEEE10hipError_tPvRmT1_T2_T3_mmT4_T5_P12ihipStream_tbEUlRKsE_EESS_SW_SX_mSY_S11_bEUlT_E_NS1_11comp_targetILNS1_3genE9ELNS1_11target_archE1100ELNS1_3gpuE3ELNS1_3repE0EEENS1_30default_config_static_selectorELNS0_4arch9wavefront6targetE0EEEvSV_.private_seg_size, 0
	.set _ZN7rocprim17ROCPRIM_400000_NS6detail17trampoline_kernelINS0_14default_configENS1_29binary_search_config_selectorIsiEEZNS1_14transform_implILb0ES3_S5_N6thrust23THRUST_200600_302600_NS6detail15normal_iteratorINS8_7pointerIsNS8_11hip_rocprim3tagENS8_11use_defaultESE_EEEENSA_INSB_IiSD_SE_SE_EEEEZNS1_13binary_searchIS3_S5_NSA_INS8_10device_ptrIsEEEESG_SI_NS1_16binary_search_opENS9_16wrapped_functionINS8_7greaterIsEEbEEEE10hipError_tPvRmT1_T2_T3_mmT4_T5_P12ihipStream_tbEUlRKsE_EESS_SW_SX_mSY_S11_bEUlT_E_NS1_11comp_targetILNS1_3genE9ELNS1_11target_archE1100ELNS1_3gpuE3ELNS1_3repE0EEENS1_30default_config_static_selectorELNS0_4arch9wavefront6targetE0EEEvSV_.uses_vcc, 0
	.set _ZN7rocprim17ROCPRIM_400000_NS6detail17trampoline_kernelINS0_14default_configENS1_29binary_search_config_selectorIsiEEZNS1_14transform_implILb0ES3_S5_N6thrust23THRUST_200600_302600_NS6detail15normal_iteratorINS8_7pointerIsNS8_11hip_rocprim3tagENS8_11use_defaultESE_EEEENSA_INSB_IiSD_SE_SE_EEEEZNS1_13binary_searchIS3_S5_NSA_INS8_10device_ptrIsEEEESG_SI_NS1_16binary_search_opENS9_16wrapped_functionINS8_7greaterIsEEbEEEE10hipError_tPvRmT1_T2_T3_mmT4_T5_P12ihipStream_tbEUlRKsE_EESS_SW_SX_mSY_S11_bEUlT_E_NS1_11comp_targetILNS1_3genE9ELNS1_11target_archE1100ELNS1_3gpuE3ELNS1_3repE0EEENS1_30default_config_static_selectorELNS0_4arch9wavefront6targetE0EEEvSV_.uses_flat_scratch, 0
	.set _ZN7rocprim17ROCPRIM_400000_NS6detail17trampoline_kernelINS0_14default_configENS1_29binary_search_config_selectorIsiEEZNS1_14transform_implILb0ES3_S5_N6thrust23THRUST_200600_302600_NS6detail15normal_iteratorINS8_7pointerIsNS8_11hip_rocprim3tagENS8_11use_defaultESE_EEEENSA_INSB_IiSD_SE_SE_EEEEZNS1_13binary_searchIS3_S5_NSA_INS8_10device_ptrIsEEEESG_SI_NS1_16binary_search_opENS9_16wrapped_functionINS8_7greaterIsEEbEEEE10hipError_tPvRmT1_T2_T3_mmT4_T5_P12ihipStream_tbEUlRKsE_EESS_SW_SX_mSY_S11_bEUlT_E_NS1_11comp_targetILNS1_3genE9ELNS1_11target_archE1100ELNS1_3gpuE3ELNS1_3repE0EEENS1_30default_config_static_selectorELNS0_4arch9wavefront6targetE0EEEvSV_.has_dyn_sized_stack, 0
	.set _ZN7rocprim17ROCPRIM_400000_NS6detail17trampoline_kernelINS0_14default_configENS1_29binary_search_config_selectorIsiEEZNS1_14transform_implILb0ES3_S5_N6thrust23THRUST_200600_302600_NS6detail15normal_iteratorINS8_7pointerIsNS8_11hip_rocprim3tagENS8_11use_defaultESE_EEEENSA_INSB_IiSD_SE_SE_EEEEZNS1_13binary_searchIS3_S5_NSA_INS8_10device_ptrIsEEEESG_SI_NS1_16binary_search_opENS9_16wrapped_functionINS8_7greaterIsEEbEEEE10hipError_tPvRmT1_T2_T3_mmT4_T5_P12ihipStream_tbEUlRKsE_EESS_SW_SX_mSY_S11_bEUlT_E_NS1_11comp_targetILNS1_3genE9ELNS1_11target_archE1100ELNS1_3gpuE3ELNS1_3repE0EEENS1_30default_config_static_selectorELNS0_4arch9wavefront6targetE0EEEvSV_.has_recursion, 0
	.set _ZN7rocprim17ROCPRIM_400000_NS6detail17trampoline_kernelINS0_14default_configENS1_29binary_search_config_selectorIsiEEZNS1_14transform_implILb0ES3_S5_N6thrust23THRUST_200600_302600_NS6detail15normal_iteratorINS8_7pointerIsNS8_11hip_rocprim3tagENS8_11use_defaultESE_EEEENSA_INSB_IiSD_SE_SE_EEEEZNS1_13binary_searchIS3_S5_NSA_INS8_10device_ptrIsEEEESG_SI_NS1_16binary_search_opENS9_16wrapped_functionINS8_7greaterIsEEbEEEE10hipError_tPvRmT1_T2_T3_mmT4_T5_P12ihipStream_tbEUlRKsE_EESS_SW_SX_mSY_S11_bEUlT_E_NS1_11comp_targetILNS1_3genE9ELNS1_11target_archE1100ELNS1_3gpuE3ELNS1_3repE0EEENS1_30default_config_static_selectorELNS0_4arch9wavefront6targetE0EEEvSV_.has_indirect_call, 0
	.section	.AMDGPU.csdata,"",@progbits
; Kernel info:
; codeLenInByte = 0
; TotalNumSgprs: 0
; NumVgprs: 0
; ScratchSize: 0
; MemoryBound: 0
; FloatMode: 240
; IeeeMode: 1
; LDSByteSize: 0 bytes/workgroup (compile time only)
; SGPRBlocks: 0
; VGPRBlocks: 0
; NumSGPRsForWavesPerEU: 1
; NumVGPRsForWavesPerEU: 1
; NamedBarCnt: 0
; Occupancy: 16
; WaveLimiterHint : 0
; COMPUTE_PGM_RSRC2:SCRATCH_EN: 0
; COMPUTE_PGM_RSRC2:USER_SGPR: 2
; COMPUTE_PGM_RSRC2:TRAP_HANDLER: 0
; COMPUTE_PGM_RSRC2:TGID_X_EN: 1
; COMPUTE_PGM_RSRC2:TGID_Y_EN: 0
; COMPUTE_PGM_RSRC2:TGID_Z_EN: 0
; COMPUTE_PGM_RSRC2:TIDIG_COMP_CNT: 0
	.section	.text._ZN7rocprim17ROCPRIM_400000_NS6detail17trampoline_kernelINS0_14default_configENS1_29binary_search_config_selectorIsiEEZNS1_14transform_implILb0ES3_S5_N6thrust23THRUST_200600_302600_NS6detail15normal_iteratorINS8_7pointerIsNS8_11hip_rocprim3tagENS8_11use_defaultESE_EEEENSA_INSB_IiSD_SE_SE_EEEEZNS1_13binary_searchIS3_S5_NSA_INS8_10device_ptrIsEEEESG_SI_NS1_16binary_search_opENS9_16wrapped_functionINS8_7greaterIsEEbEEEE10hipError_tPvRmT1_T2_T3_mmT4_T5_P12ihipStream_tbEUlRKsE_EESS_SW_SX_mSY_S11_bEUlT_E_NS1_11comp_targetILNS1_3genE8ELNS1_11target_archE1030ELNS1_3gpuE2ELNS1_3repE0EEENS1_30default_config_static_selectorELNS0_4arch9wavefront6targetE0EEEvSV_,"axG",@progbits,_ZN7rocprim17ROCPRIM_400000_NS6detail17trampoline_kernelINS0_14default_configENS1_29binary_search_config_selectorIsiEEZNS1_14transform_implILb0ES3_S5_N6thrust23THRUST_200600_302600_NS6detail15normal_iteratorINS8_7pointerIsNS8_11hip_rocprim3tagENS8_11use_defaultESE_EEEENSA_INSB_IiSD_SE_SE_EEEEZNS1_13binary_searchIS3_S5_NSA_INS8_10device_ptrIsEEEESG_SI_NS1_16binary_search_opENS9_16wrapped_functionINS8_7greaterIsEEbEEEE10hipError_tPvRmT1_T2_T3_mmT4_T5_P12ihipStream_tbEUlRKsE_EESS_SW_SX_mSY_S11_bEUlT_E_NS1_11comp_targetILNS1_3genE8ELNS1_11target_archE1030ELNS1_3gpuE2ELNS1_3repE0EEENS1_30default_config_static_selectorELNS0_4arch9wavefront6targetE0EEEvSV_,comdat
	.protected	_ZN7rocprim17ROCPRIM_400000_NS6detail17trampoline_kernelINS0_14default_configENS1_29binary_search_config_selectorIsiEEZNS1_14transform_implILb0ES3_S5_N6thrust23THRUST_200600_302600_NS6detail15normal_iteratorINS8_7pointerIsNS8_11hip_rocprim3tagENS8_11use_defaultESE_EEEENSA_INSB_IiSD_SE_SE_EEEEZNS1_13binary_searchIS3_S5_NSA_INS8_10device_ptrIsEEEESG_SI_NS1_16binary_search_opENS9_16wrapped_functionINS8_7greaterIsEEbEEEE10hipError_tPvRmT1_T2_T3_mmT4_T5_P12ihipStream_tbEUlRKsE_EESS_SW_SX_mSY_S11_bEUlT_E_NS1_11comp_targetILNS1_3genE8ELNS1_11target_archE1030ELNS1_3gpuE2ELNS1_3repE0EEENS1_30default_config_static_selectorELNS0_4arch9wavefront6targetE0EEEvSV_ ; -- Begin function _ZN7rocprim17ROCPRIM_400000_NS6detail17trampoline_kernelINS0_14default_configENS1_29binary_search_config_selectorIsiEEZNS1_14transform_implILb0ES3_S5_N6thrust23THRUST_200600_302600_NS6detail15normal_iteratorINS8_7pointerIsNS8_11hip_rocprim3tagENS8_11use_defaultESE_EEEENSA_INSB_IiSD_SE_SE_EEEEZNS1_13binary_searchIS3_S5_NSA_INS8_10device_ptrIsEEEESG_SI_NS1_16binary_search_opENS9_16wrapped_functionINS8_7greaterIsEEbEEEE10hipError_tPvRmT1_T2_T3_mmT4_T5_P12ihipStream_tbEUlRKsE_EESS_SW_SX_mSY_S11_bEUlT_E_NS1_11comp_targetILNS1_3genE8ELNS1_11target_archE1030ELNS1_3gpuE2ELNS1_3repE0EEENS1_30default_config_static_selectorELNS0_4arch9wavefront6targetE0EEEvSV_
	.globl	_ZN7rocprim17ROCPRIM_400000_NS6detail17trampoline_kernelINS0_14default_configENS1_29binary_search_config_selectorIsiEEZNS1_14transform_implILb0ES3_S5_N6thrust23THRUST_200600_302600_NS6detail15normal_iteratorINS8_7pointerIsNS8_11hip_rocprim3tagENS8_11use_defaultESE_EEEENSA_INSB_IiSD_SE_SE_EEEEZNS1_13binary_searchIS3_S5_NSA_INS8_10device_ptrIsEEEESG_SI_NS1_16binary_search_opENS9_16wrapped_functionINS8_7greaterIsEEbEEEE10hipError_tPvRmT1_T2_T3_mmT4_T5_P12ihipStream_tbEUlRKsE_EESS_SW_SX_mSY_S11_bEUlT_E_NS1_11comp_targetILNS1_3genE8ELNS1_11target_archE1030ELNS1_3gpuE2ELNS1_3repE0EEENS1_30default_config_static_selectorELNS0_4arch9wavefront6targetE0EEEvSV_
	.p2align	8
	.type	_ZN7rocprim17ROCPRIM_400000_NS6detail17trampoline_kernelINS0_14default_configENS1_29binary_search_config_selectorIsiEEZNS1_14transform_implILb0ES3_S5_N6thrust23THRUST_200600_302600_NS6detail15normal_iteratorINS8_7pointerIsNS8_11hip_rocprim3tagENS8_11use_defaultESE_EEEENSA_INSB_IiSD_SE_SE_EEEEZNS1_13binary_searchIS3_S5_NSA_INS8_10device_ptrIsEEEESG_SI_NS1_16binary_search_opENS9_16wrapped_functionINS8_7greaterIsEEbEEEE10hipError_tPvRmT1_T2_T3_mmT4_T5_P12ihipStream_tbEUlRKsE_EESS_SW_SX_mSY_S11_bEUlT_E_NS1_11comp_targetILNS1_3genE8ELNS1_11target_archE1030ELNS1_3gpuE2ELNS1_3repE0EEENS1_30default_config_static_selectorELNS0_4arch9wavefront6targetE0EEEvSV_,@function
_ZN7rocprim17ROCPRIM_400000_NS6detail17trampoline_kernelINS0_14default_configENS1_29binary_search_config_selectorIsiEEZNS1_14transform_implILb0ES3_S5_N6thrust23THRUST_200600_302600_NS6detail15normal_iteratorINS8_7pointerIsNS8_11hip_rocprim3tagENS8_11use_defaultESE_EEEENSA_INSB_IiSD_SE_SE_EEEEZNS1_13binary_searchIS3_S5_NSA_INS8_10device_ptrIsEEEESG_SI_NS1_16binary_search_opENS9_16wrapped_functionINS8_7greaterIsEEbEEEE10hipError_tPvRmT1_T2_T3_mmT4_T5_P12ihipStream_tbEUlRKsE_EESS_SW_SX_mSY_S11_bEUlT_E_NS1_11comp_targetILNS1_3genE8ELNS1_11target_archE1030ELNS1_3gpuE2ELNS1_3repE0EEENS1_30default_config_static_selectorELNS0_4arch9wavefront6targetE0EEEvSV_: ; @_ZN7rocprim17ROCPRIM_400000_NS6detail17trampoline_kernelINS0_14default_configENS1_29binary_search_config_selectorIsiEEZNS1_14transform_implILb0ES3_S5_N6thrust23THRUST_200600_302600_NS6detail15normal_iteratorINS8_7pointerIsNS8_11hip_rocprim3tagENS8_11use_defaultESE_EEEENSA_INSB_IiSD_SE_SE_EEEEZNS1_13binary_searchIS3_S5_NSA_INS8_10device_ptrIsEEEESG_SI_NS1_16binary_search_opENS9_16wrapped_functionINS8_7greaterIsEEbEEEE10hipError_tPvRmT1_T2_T3_mmT4_T5_P12ihipStream_tbEUlRKsE_EESS_SW_SX_mSY_S11_bEUlT_E_NS1_11comp_targetILNS1_3genE8ELNS1_11target_archE1030ELNS1_3gpuE2ELNS1_3repE0EEENS1_30default_config_static_selectorELNS0_4arch9wavefront6targetE0EEEvSV_
; %bb.0:
	.section	.rodata,"a",@progbits
	.p2align	6, 0x0
	.amdhsa_kernel _ZN7rocprim17ROCPRIM_400000_NS6detail17trampoline_kernelINS0_14default_configENS1_29binary_search_config_selectorIsiEEZNS1_14transform_implILb0ES3_S5_N6thrust23THRUST_200600_302600_NS6detail15normal_iteratorINS8_7pointerIsNS8_11hip_rocprim3tagENS8_11use_defaultESE_EEEENSA_INSB_IiSD_SE_SE_EEEEZNS1_13binary_searchIS3_S5_NSA_INS8_10device_ptrIsEEEESG_SI_NS1_16binary_search_opENS9_16wrapped_functionINS8_7greaterIsEEbEEEE10hipError_tPvRmT1_T2_T3_mmT4_T5_P12ihipStream_tbEUlRKsE_EESS_SW_SX_mSY_S11_bEUlT_E_NS1_11comp_targetILNS1_3genE8ELNS1_11target_archE1030ELNS1_3gpuE2ELNS1_3repE0EEENS1_30default_config_static_selectorELNS0_4arch9wavefront6targetE0EEEvSV_
		.amdhsa_group_segment_fixed_size 0
		.amdhsa_private_segment_fixed_size 0
		.amdhsa_kernarg_size 56
		.amdhsa_user_sgpr_count 2
		.amdhsa_user_sgpr_dispatch_ptr 0
		.amdhsa_user_sgpr_queue_ptr 0
		.amdhsa_user_sgpr_kernarg_segment_ptr 1
		.amdhsa_user_sgpr_dispatch_id 0
		.amdhsa_user_sgpr_kernarg_preload_length 0
		.amdhsa_user_sgpr_kernarg_preload_offset 0
		.amdhsa_user_sgpr_private_segment_size 0
		.amdhsa_wavefront_size32 1
		.amdhsa_uses_dynamic_stack 0
		.amdhsa_enable_private_segment 0
		.amdhsa_system_sgpr_workgroup_id_x 1
		.amdhsa_system_sgpr_workgroup_id_y 0
		.amdhsa_system_sgpr_workgroup_id_z 0
		.amdhsa_system_sgpr_workgroup_info 0
		.amdhsa_system_vgpr_workitem_id 0
		.amdhsa_next_free_vgpr 1
		.amdhsa_next_free_sgpr 1
		.amdhsa_named_barrier_count 0
		.amdhsa_reserve_vcc 0
		.amdhsa_float_round_mode_32 0
		.amdhsa_float_round_mode_16_64 0
		.amdhsa_float_denorm_mode_32 3
		.amdhsa_float_denorm_mode_16_64 3
		.amdhsa_fp16_overflow 0
		.amdhsa_memory_ordered 1
		.amdhsa_forward_progress 1
		.amdhsa_inst_pref_size 0
		.amdhsa_round_robin_scheduling 0
		.amdhsa_exception_fp_ieee_invalid_op 0
		.amdhsa_exception_fp_denorm_src 0
		.amdhsa_exception_fp_ieee_div_zero 0
		.amdhsa_exception_fp_ieee_overflow 0
		.amdhsa_exception_fp_ieee_underflow 0
		.amdhsa_exception_fp_ieee_inexact 0
		.amdhsa_exception_int_div_zero 0
	.end_amdhsa_kernel
	.section	.text._ZN7rocprim17ROCPRIM_400000_NS6detail17trampoline_kernelINS0_14default_configENS1_29binary_search_config_selectorIsiEEZNS1_14transform_implILb0ES3_S5_N6thrust23THRUST_200600_302600_NS6detail15normal_iteratorINS8_7pointerIsNS8_11hip_rocprim3tagENS8_11use_defaultESE_EEEENSA_INSB_IiSD_SE_SE_EEEEZNS1_13binary_searchIS3_S5_NSA_INS8_10device_ptrIsEEEESG_SI_NS1_16binary_search_opENS9_16wrapped_functionINS8_7greaterIsEEbEEEE10hipError_tPvRmT1_T2_T3_mmT4_T5_P12ihipStream_tbEUlRKsE_EESS_SW_SX_mSY_S11_bEUlT_E_NS1_11comp_targetILNS1_3genE8ELNS1_11target_archE1030ELNS1_3gpuE2ELNS1_3repE0EEENS1_30default_config_static_selectorELNS0_4arch9wavefront6targetE0EEEvSV_,"axG",@progbits,_ZN7rocprim17ROCPRIM_400000_NS6detail17trampoline_kernelINS0_14default_configENS1_29binary_search_config_selectorIsiEEZNS1_14transform_implILb0ES3_S5_N6thrust23THRUST_200600_302600_NS6detail15normal_iteratorINS8_7pointerIsNS8_11hip_rocprim3tagENS8_11use_defaultESE_EEEENSA_INSB_IiSD_SE_SE_EEEEZNS1_13binary_searchIS3_S5_NSA_INS8_10device_ptrIsEEEESG_SI_NS1_16binary_search_opENS9_16wrapped_functionINS8_7greaterIsEEbEEEE10hipError_tPvRmT1_T2_T3_mmT4_T5_P12ihipStream_tbEUlRKsE_EESS_SW_SX_mSY_S11_bEUlT_E_NS1_11comp_targetILNS1_3genE8ELNS1_11target_archE1030ELNS1_3gpuE2ELNS1_3repE0EEENS1_30default_config_static_selectorELNS0_4arch9wavefront6targetE0EEEvSV_,comdat
.Lfunc_end157:
	.size	_ZN7rocprim17ROCPRIM_400000_NS6detail17trampoline_kernelINS0_14default_configENS1_29binary_search_config_selectorIsiEEZNS1_14transform_implILb0ES3_S5_N6thrust23THRUST_200600_302600_NS6detail15normal_iteratorINS8_7pointerIsNS8_11hip_rocprim3tagENS8_11use_defaultESE_EEEENSA_INSB_IiSD_SE_SE_EEEEZNS1_13binary_searchIS3_S5_NSA_INS8_10device_ptrIsEEEESG_SI_NS1_16binary_search_opENS9_16wrapped_functionINS8_7greaterIsEEbEEEE10hipError_tPvRmT1_T2_T3_mmT4_T5_P12ihipStream_tbEUlRKsE_EESS_SW_SX_mSY_S11_bEUlT_E_NS1_11comp_targetILNS1_3genE8ELNS1_11target_archE1030ELNS1_3gpuE2ELNS1_3repE0EEENS1_30default_config_static_selectorELNS0_4arch9wavefront6targetE0EEEvSV_, .Lfunc_end157-_ZN7rocprim17ROCPRIM_400000_NS6detail17trampoline_kernelINS0_14default_configENS1_29binary_search_config_selectorIsiEEZNS1_14transform_implILb0ES3_S5_N6thrust23THRUST_200600_302600_NS6detail15normal_iteratorINS8_7pointerIsNS8_11hip_rocprim3tagENS8_11use_defaultESE_EEEENSA_INSB_IiSD_SE_SE_EEEEZNS1_13binary_searchIS3_S5_NSA_INS8_10device_ptrIsEEEESG_SI_NS1_16binary_search_opENS9_16wrapped_functionINS8_7greaterIsEEbEEEE10hipError_tPvRmT1_T2_T3_mmT4_T5_P12ihipStream_tbEUlRKsE_EESS_SW_SX_mSY_S11_bEUlT_E_NS1_11comp_targetILNS1_3genE8ELNS1_11target_archE1030ELNS1_3gpuE2ELNS1_3repE0EEENS1_30default_config_static_selectorELNS0_4arch9wavefront6targetE0EEEvSV_
                                        ; -- End function
	.set _ZN7rocprim17ROCPRIM_400000_NS6detail17trampoline_kernelINS0_14default_configENS1_29binary_search_config_selectorIsiEEZNS1_14transform_implILb0ES3_S5_N6thrust23THRUST_200600_302600_NS6detail15normal_iteratorINS8_7pointerIsNS8_11hip_rocprim3tagENS8_11use_defaultESE_EEEENSA_INSB_IiSD_SE_SE_EEEEZNS1_13binary_searchIS3_S5_NSA_INS8_10device_ptrIsEEEESG_SI_NS1_16binary_search_opENS9_16wrapped_functionINS8_7greaterIsEEbEEEE10hipError_tPvRmT1_T2_T3_mmT4_T5_P12ihipStream_tbEUlRKsE_EESS_SW_SX_mSY_S11_bEUlT_E_NS1_11comp_targetILNS1_3genE8ELNS1_11target_archE1030ELNS1_3gpuE2ELNS1_3repE0EEENS1_30default_config_static_selectorELNS0_4arch9wavefront6targetE0EEEvSV_.num_vgpr, 0
	.set _ZN7rocprim17ROCPRIM_400000_NS6detail17trampoline_kernelINS0_14default_configENS1_29binary_search_config_selectorIsiEEZNS1_14transform_implILb0ES3_S5_N6thrust23THRUST_200600_302600_NS6detail15normal_iteratorINS8_7pointerIsNS8_11hip_rocprim3tagENS8_11use_defaultESE_EEEENSA_INSB_IiSD_SE_SE_EEEEZNS1_13binary_searchIS3_S5_NSA_INS8_10device_ptrIsEEEESG_SI_NS1_16binary_search_opENS9_16wrapped_functionINS8_7greaterIsEEbEEEE10hipError_tPvRmT1_T2_T3_mmT4_T5_P12ihipStream_tbEUlRKsE_EESS_SW_SX_mSY_S11_bEUlT_E_NS1_11comp_targetILNS1_3genE8ELNS1_11target_archE1030ELNS1_3gpuE2ELNS1_3repE0EEENS1_30default_config_static_selectorELNS0_4arch9wavefront6targetE0EEEvSV_.num_agpr, 0
	.set _ZN7rocprim17ROCPRIM_400000_NS6detail17trampoline_kernelINS0_14default_configENS1_29binary_search_config_selectorIsiEEZNS1_14transform_implILb0ES3_S5_N6thrust23THRUST_200600_302600_NS6detail15normal_iteratorINS8_7pointerIsNS8_11hip_rocprim3tagENS8_11use_defaultESE_EEEENSA_INSB_IiSD_SE_SE_EEEEZNS1_13binary_searchIS3_S5_NSA_INS8_10device_ptrIsEEEESG_SI_NS1_16binary_search_opENS9_16wrapped_functionINS8_7greaterIsEEbEEEE10hipError_tPvRmT1_T2_T3_mmT4_T5_P12ihipStream_tbEUlRKsE_EESS_SW_SX_mSY_S11_bEUlT_E_NS1_11comp_targetILNS1_3genE8ELNS1_11target_archE1030ELNS1_3gpuE2ELNS1_3repE0EEENS1_30default_config_static_selectorELNS0_4arch9wavefront6targetE0EEEvSV_.numbered_sgpr, 0
	.set _ZN7rocprim17ROCPRIM_400000_NS6detail17trampoline_kernelINS0_14default_configENS1_29binary_search_config_selectorIsiEEZNS1_14transform_implILb0ES3_S5_N6thrust23THRUST_200600_302600_NS6detail15normal_iteratorINS8_7pointerIsNS8_11hip_rocprim3tagENS8_11use_defaultESE_EEEENSA_INSB_IiSD_SE_SE_EEEEZNS1_13binary_searchIS3_S5_NSA_INS8_10device_ptrIsEEEESG_SI_NS1_16binary_search_opENS9_16wrapped_functionINS8_7greaterIsEEbEEEE10hipError_tPvRmT1_T2_T3_mmT4_T5_P12ihipStream_tbEUlRKsE_EESS_SW_SX_mSY_S11_bEUlT_E_NS1_11comp_targetILNS1_3genE8ELNS1_11target_archE1030ELNS1_3gpuE2ELNS1_3repE0EEENS1_30default_config_static_selectorELNS0_4arch9wavefront6targetE0EEEvSV_.num_named_barrier, 0
	.set _ZN7rocprim17ROCPRIM_400000_NS6detail17trampoline_kernelINS0_14default_configENS1_29binary_search_config_selectorIsiEEZNS1_14transform_implILb0ES3_S5_N6thrust23THRUST_200600_302600_NS6detail15normal_iteratorINS8_7pointerIsNS8_11hip_rocprim3tagENS8_11use_defaultESE_EEEENSA_INSB_IiSD_SE_SE_EEEEZNS1_13binary_searchIS3_S5_NSA_INS8_10device_ptrIsEEEESG_SI_NS1_16binary_search_opENS9_16wrapped_functionINS8_7greaterIsEEbEEEE10hipError_tPvRmT1_T2_T3_mmT4_T5_P12ihipStream_tbEUlRKsE_EESS_SW_SX_mSY_S11_bEUlT_E_NS1_11comp_targetILNS1_3genE8ELNS1_11target_archE1030ELNS1_3gpuE2ELNS1_3repE0EEENS1_30default_config_static_selectorELNS0_4arch9wavefront6targetE0EEEvSV_.private_seg_size, 0
	.set _ZN7rocprim17ROCPRIM_400000_NS6detail17trampoline_kernelINS0_14default_configENS1_29binary_search_config_selectorIsiEEZNS1_14transform_implILb0ES3_S5_N6thrust23THRUST_200600_302600_NS6detail15normal_iteratorINS8_7pointerIsNS8_11hip_rocprim3tagENS8_11use_defaultESE_EEEENSA_INSB_IiSD_SE_SE_EEEEZNS1_13binary_searchIS3_S5_NSA_INS8_10device_ptrIsEEEESG_SI_NS1_16binary_search_opENS9_16wrapped_functionINS8_7greaterIsEEbEEEE10hipError_tPvRmT1_T2_T3_mmT4_T5_P12ihipStream_tbEUlRKsE_EESS_SW_SX_mSY_S11_bEUlT_E_NS1_11comp_targetILNS1_3genE8ELNS1_11target_archE1030ELNS1_3gpuE2ELNS1_3repE0EEENS1_30default_config_static_selectorELNS0_4arch9wavefront6targetE0EEEvSV_.uses_vcc, 0
	.set _ZN7rocprim17ROCPRIM_400000_NS6detail17trampoline_kernelINS0_14default_configENS1_29binary_search_config_selectorIsiEEZNS1_14transform_implILb0ES3_S5_N6thrust23THRUST_200600_302600_NS6detail15normal_iteratorINS8_7pointerIsNS8_11hip_rocprim3tagENS8_11use_defaultESE_EEEENSA_INSB_IiSD_SE_SE_EEEEZNS1_13binary_searchIS3_S5_NSA_INS8_10device_ptrIsEEEESG_SI_NS1_16binary_search_opENS9_16wrapped_functionINS8_7greaterIsEEbEEEE10hipError_tPvRmT1_T2_T3_mmT4_T5_P12ihipStream_tbEUlRKsE_EESS_SW_SX_mSY_S11_bEUlT_E_NS1_11comp_targetILNS1_3genE8ELNS1_11target_archE1030ELNS1_3gpuE2ELNS1_3repE0EEENS1_30default_config_static_selectorELNS0_4arch9wavefront6targetE0EEEvSV_.uses_flat_scratch, 0
	.set _ZN7rocprim17ROCPRIM_400000_NS6detail17trampoline_kernelINS0_14default_configENS1_29binary_search_config_selectorIsiEEZNS1_14transform_implILb0ES3_S5_N6thrust23THRUST_200600_302600_NS6detail15normal_iteratorINS8_7pointerIsNS8_11hip_rocprim3tagENS8_11use_defaultESE_EEEENSA_INSB_IiSD_SE_SE_EEEEZNS1_13binary_searchIS3_S5_NSA_INS8_10device_ptrIsEEEESG_SI_NS1_16binary_search_opENS9_16wrapped_functionINS8_7greaterIsEEbEEEE10hipError_tPvRmT1_T2_T3_mmT4_T5_P12ihipStream_tbEUlRKsE_EESS_SW_SX_mSY_S11_bEUlT_E_NS1_11comp_targetILNS1_3genE8ELNS1_11target_archE1030ELNS1_3gpuE2ELNS1_3repE0EEENS1_30default_config_static_selectorELNS0_4arch9wavefront6targetE0EEEvSV_.has_dyn_sized_stack, 0
	.set _ZN7rocprim17ROCPRIM_400000_NS6detail17trampoline_kernelINS0_14default_configENS1_29binary_search_config_selectorIsiEEZNS1_14transform_implILb0ES3_S5_N6thrust23THRUST_200600_302600_NS6detail15normal_iteratorINS8_7pointerIsNS8_11hip_rocprim3tagENS8_11use_defaultESE_EEEENSA_INSB_IiSD_SE_SE_EEEEZNS1_13binary_searchIS3_S5_NSA_INS8_10device_ptrIsEEEESG_SI_NS1_16binary_search_opENS9_16wrapped_functionINS8_7greaterIsEEbEEEE10hipError_tPvRmT1_T2_T3_mmT4_T5_P12ihipStream_tbEUlRKsE_EESS_SW_SX_mSY_S11_bEUlT_E_NS1_11comp_targetILNS1_3genE8ELNS1_11target_archE1030ELNS1_3gpuE2ELNS1_3repE0EEENS1_30default_config_static_selectorELNS0_4arch9wavefront6targetE0EEEvSV_.has_recursion, 0
	.set _ZN7rocprim17ROCPRIM_400000_NS6detail17trampoline_kernelINS0_14default_configENS1_29binary_search_config_selectorIsiEEZNS1_14transform_implILb0ES3_S5_N6thrust23THRUST_200600_302600_NS6detail15normal_iteratorINS8_7pointerIsNS8_11hip_rocprim3tagENS8_11use_defaultESE_EEEENSA_INSB_IiSD_SE_SE_EEEEZNS1_13binary_searchIS3_S5_NSA_INS8_10device_ptrIsEEEESG_SI_NS1_16binary_search_opENS9_16wrapped_functionINS8_7greaterIsEEbEEEE10hipError_tPvRmT1_T2_T3_mmT4_T5_P12ihipStream_tbEUlRKsE_EESS_SW_SX_mSY_S11_bEUlT_E_NS1_11comp_targetILNS1_3genE8ELNS1_11target_archE1030ELNS1_3gpuE2ELNS1_3repE0EEENS1_30default_config_static_selectorELNS0_4arch9wavefront6targetE0EEEvSV_.has_indirect_call, 0
	.section	.AMDGPU.csdata,"",@progbits
; Kernel info:
; codeLenInByte = 0
; TotalNumSgprs: 0
; NumVgprs: 0
; ScratchSize: 0
; MemoryBound: 0
; FloatMode: 240
; IeeeMode: 1
; LDSByteSize: 0 bytes/workgroup (compile time only)
; SGPRBlocks: 0
; VGPRBlocks: 0
; NumSGPRsForWavesPerEU: 1
; NumVGPRsForWavesPerEU: 1
; NamedBarCnt: 0
; Occupancy: 16
; WaveLimiterHint : 0
; COMPUTE_PGM_RSRC2:SCRATCH_EN: 0
; COMPUTE_PGM_RSRC2:USER_SGPR: 2
; COMPUTE_PGM_RSRC2:TRAP_HANDLER: 0
; COMPUTE_PGM_RSRC2:TGID_X_EN: 1
; COMPUTE_PGM_RSRC2:TGID_Y_EN: 0
; COMPUTE_PGM_RSRC2:TGID_Z_EN: 0
; COMPUTE_PGM_RSRC2:TIDIG_COMP_CNT: 0
	.section	.text._ZN7rocprim17ROCPRIM_400000_NS6detail17trampoline_kernelINS0_14default_configENS1_29binary_search_config_selectorIiiEEZNS1_14transform_implILb0ES3_S5_N6thrust23THRUST_200600_302600_NS6detail15normal_iteratorINS8_7pointerIiNS8_11hip_rocprim3tagENS8_11use_defaultESE_EEEESG_ZNS1_13binary_searchIS3_S5_NSA_INS8_10device_ptrIiEEEESG_SG_NS1_16binary_search_opENS9_16wrapped_functionINS8_7greaterIiEEbEEEE10hipError_tPvRmT1_T2_T3_mmT4_T5_P12ihipStream_tbEUlRKiE_EESQ_SU_SV_mSW_SZ_bEUlT_E_NS1_11comp_targetILNS1_3genE0ELNS1_11target_archE4294967295ELNS1_3gpuE0ELNS1_3repE0EEENS1_30default_config_static_selectorELNS0_4arch9wavefront6targetE0EEEvST_,"axG",@progbits,_ZN7rocprim17ROCPRIM_400000_NS6detail17trampoline_kernelINS0_14default_configENS1_29binary_search_config_selectorIiiEEZNS1_14transform_implILb0ES3_S5_N6thrust23THRUST_200600_302600_NS6detail15normal_iteratorINS8_7pointerIiNS8_11hip_rocprim3tagENS8_11use_defaultESE_EEEESG_ZNS1_13binary_searchIS3_S5_NSA_INS8_10device_ptrIiEEEESG_SG_NS1_16binary_search_opENS9_16wrapped_functionINS8_7greaterIiEEbEEEE10hipError_tPvRmT1_T2_T3_mmT4_T5_P12ihipStream_tbEUlRKiE_EESQ_SU_SV_mSW_SZ_bEUlT_E_NS1_11comp_targetILNS1_3genE0ELNS1_11target_archE4294967295ELNS1_3gpuE0ELNS1_3repE0EEENS1_30default_config_static_selectorELNS0_4arch9wavefront6targetE0EEEvST_,comdat
	.protected	_ZN7rocprim17ROCPRIM_400000_NS6detail17trampoline_kernelINS0_14default_configENS1_29binary_search_config_selectorIiiEEZNS1_14transform_implILb0ES3_S5_N6thrust23THRUST_200600_302600_NS6detail15normal_iteratorINS8_7pointerIiNS8_11hip_rocprim3tagENS8_11use_defaultESE_EEEESG_ZNS1_13binary_searchIS3_S5_NSA_INS8_10device_ptrIiEEEESG_SG_NS1_16binary_search_opENS9_16wrapped_functionINS8_7greaterIiEEbEEEE10hipError_tPvRmT1_T2_T3_mmT4_T5_P12ihipStream_tbEUlRKiE_EESQ_SU_SV_mSW_SZ_bEUlT_E_NS1_11comp_targetILNS1_3genE0ELNS1_11target_archE4294967295ELNS1_3gpuE0ELNS1_3repE0EEENS1_30default_config_static_selectorELNS0_4arch9wavefront6targetE0EEEvST_ ; -- Begin function _ZN7rocprim17ROCPRIM_400000_NS6detail17trampoline_kernelINS0_14default_configENS1_29binary_search_config_selectorIiiEEZNS1_14transform_implILb0ES3_S5_N6thrust23THRUST_200600_302600_NS6detail15normal_iteratorINS8_7pointerIiNS8_11hip_rocprim3tagENS8_11use_defaultESE_EEEESG_ZNS1_13binary_searchIS3_S5_NSA_INS8_10device_ptrIiEEEESG_SG_NS1_16binary_search_opENS9_16wrapped_functionINS8_7greaterIiEEbEEEE10hipError_tPvRmT1_T2_T3_mmT4_T5_P12ihipStream_tbEUlRKiE_EESQ_SU_SV_mSW_SZ_bEUlT_E_NS1_11comp_targetILNS1_3genE0ELNS1_11target_archE4294967295ELNS1_3gpuE0ELNS1_3repE0EEENS1_30default_config_static_selectorELNS0_4arch9wavefront6targetE0EEEvST_
	.globl	_ZN7rocprim17ROCPRIM_400000_NS6detail17trampoline_kernelINS0_14default_configENS1_29binary_search_config_selectorIiiEEZNS1_14transform_implILb0ES3_S5_N6thrust23THRUST_200600_302600_NS6detail15normal_iteratorINS8_7pointerIiNS8_11hip_rocprim3tagENS8_11use_defaultESE_EEEESG_ZNS1_13binary_searchIS3_S5_NSA_INS8_10device_ptrIiEEEESG_SG_NS1_16binary_search_opENS9_16wrapped_functionINS8_7greaterIiEEbEEEE10hipError_tPvRmT1_T2_T3_mmT4_T5_P12ihipStream_tbEUlRKiE_EESQ_SU_SV_mSW_SZ_bEUlT_E_NS1_11comp_targetILNS1_3genE0ELNS1_11target_archE4294967295ELNS1_3gpuE0ELNS1_3repE0EEENS1_30default_config_static_selectorELNS0_4arch9wavefront6targetE0EEEvST_
	.p2align	8
	.type	_ZN7rocprim17ROCPRIM_400000_NS6detail17trampoline_kernelINS0_14default_configENS1_29binary_search_config_selectorIiiEEZNS1_14transform_implILb0ES3_S5_N6thrust23THRUST_200600_302600_NS6detail15normal_iteratorINS8_7pointerIiNS8_11hip_rocprim3tagENS8_11use_defaultESE_EEEESG_ZNS1_13binary_searchIS3_S5_NSA_INS8_10device_ptrIiEEEESG_SG_NS1_16binary_search_opENS9_16wrapped_functionINS8_7greaterIiEEbEEEE10hipError_tPvRmT1_T2_T3_mmT4_T5_P12ihipStream_tbEUlRKiE_EESQ_SU_SV_mSW_SZ_bEUlT_E_NS1_11comp_targetILNS1_3genE0ELNS1_11target_archE4294967295ELNS1_3gpuE0ELNS1_3repE0EEENS1_30default_config_static_selectorELNS0_4arch9wavefront6targetE0EEEvST_,@function
_ZN7rocprim17ROCPRIM_400000_NS6detail17trampoline_kernelINS0_14default_configENS1_29binary_search_config_selectorIiiEEZNS1_14transform_implILb0ES3_S5_N6thrust23THRUST_200600_302600_NS6detail15normal_iteratorINS8_7pointerIiNS8_11hip_rocprim3tagENS8_11use_defaultESE_EEEESG_ZNS1_13binary_searchIS3_S5_NSA_INS8_10device_ptrIiEEEESG_SG_NS1_16binary_search_opENS9_16wrapped_functionINS8_7greaterIiEEbEEEE10hipError_tPvRmT1_T2_T3_mmT4_T5_P12ihipStream_tbEUlRKiE_EESQ_SU_SV_mSW_SZ_bEUlT_E_NS1_11comp_targetILNS1_3genE0ELNS1_11target_archE4294967295ELNS1_3gpuE0ELNS1_3repE0EEENS1_30default_config_static_selectorELNS0_4arch9wavefront6targetE0EEEvST_: ; @_ZN7rocprim17ROCPRIM_400000_NS6detail17trampoline_kernelINS0_14default_configENS1_29binary_search_config_selectorIiiEEZNS1_14transform_implILb0ES3_S5_N6thrust23THRUST_200600_302600_NS6detail15normal_iteratorINS8_7pointerIiNS8_11hip_rocprim3tagENS8_11use_defaultESE_EEEESG_ZNS1_13binary_searchIS3_S5_NSA_INS8_10device_ptrIiEEEESG_SG_NS1_16binary_search_opENS9_16wrapped_functionINS8_7greaterIiEEbEEEE10hipError_tPvRmT1_T2_T3_mmT4_T5_P12ihipStream_tbEUlRKiE_EESQ_SU_SV_mSW_SZ_bEUlT_E_NS1_11comp_targetILNS1_3genE0ELNS1_11target_archE4294967295ELNS1_3gpuE0ELNS1_3repE0EEENS1_30default_config_static_selectorELNS0_4arch9wavefront6targetE0EEEvST_
; %bb.0:
	s_clause 0x3
	s_load_b128 s[12:15], s[0:1], 0x0
	s_load_b32 s8, s[0:1], 0x38
	s_load_b64 s[10:11], s[0:1], 0x28
	s_load_b128 s[4:7], s[0:1], 0x18
	s_bfe_u32 s2, ttmp6, 0x4000c
	s_and_b32 s3, ttmp6, 15
	s_add_co_i32 s2, s2, 1
	s_getreg_b32 s9, hwreg(HW_REG_IB_STS2, 6, 4)
	s_mul_i32 s2, ttmp9, s2
	s_delay_alu instid0(SALU_CYCLE_1)
	s_add_co_i32 s16, s3, s2
	s_wait_kmcnt 0x0
	s_lshl_b64 s[2:3], s[14:15], 2
	s_cmp_eq_u32 s9, 0
	s_add_nc_u64 s[12:13], s[12:13], s[2:3]
	s_cselect_b32 s14, ttmp9, s16
	s_add_co_i32 s15, s8, -1
	s_lshl_b32 s8, s14, 8
	s_mov_b32 s9, 0
	s_cmp_lg_u32 s14, s15
	s_mov_b32 s16, -1
	s_cbranch_scc0 .LBB158_6
; %bb.1:
	s_lshl_b64 s[14:15], s[8:9], 2
	v_mov_b64_e32 v[2:3], 0
	s_add_nc_u64 s[14:15], s[12:13], s[14:15]
	v_mov_b32_e32 v1, 0
	flat_load_b32 v6, v0, s[14:15] scale_offset
	s_cmp_eq_u64 s[10:11], 0
	s_cbranch_scc1 .LBB158_5
; %bb.2:
	v_mov_b64_e32 v[4:5], s[10:11]
	s_wait_xcnt 0x0
	s_mov_b32 s14, 0
.LBB158_3:                              ; =>This Inner Loop Header: Depth=1
	s_delay_alu instid0(VALU_DEP_1) | instskip(NEXT) | instid1(VALU_DEP_1)
	v_sub_nc_u64_e32 v[8:9], v[4:5], v[2:3]
	v_lshrrev_b64 v[10:11], 1, v[8:9]
	v_lshrrev_b64 v[8:9], 6, v[8:9]
	s_delay_alu instid0(VALU_DEP_2) | instskip(NEXT) | instid1(VALU_DEP_1)
	v_add_nc_u64_e32 v[10:11], v[10:11], v[2:3]
	v_add_nc_u64_e32 v[8:9], v[10:11], v[8:9]
	s_delay_alu instid0(VALU_DEP_1)
	v_lshl_add_u64 v[10:11], v[8:9], 2, s[6:7]
	global_load_b32 v7, v[10:11], off
	s_wait_xcnt 0x0
	v_add_nc_u64_e32 v[10:11], 1, v[8:9]
	s_wait_loadcnt_dscnt 0x0
	v_cmp_gt_i32_e32 vcc_lo, v7, v6
	v_dual_cndmask_b32 v5, v9, v5 :: v_dual_cndmask_b32 v4, v8, v4
	s_delay_alu instid0(VALU_DEP_3) | instskip(NEXT) | instid1(VALU_DEP_1)
	v_dual_cndmask_b32 v3, v3, v11 :: v_dual_cndmask_b32 v2, v2, v10
	v_cmp_ge_u64_e32 vcc_lo, v[2:3], v[4:5]
	s_or_b32 s14, vcc_lo, s14
	s_delay_alu instid0(SALU_CYCLE_1)
	s_and_not1_b32 exec_lo, exec_lo, s14
	s_cbranch_execnz .LBB158_3
; %bb.4:
	s_or_b32 exec_lo, exec_lo, s14
.LBB158_5:
	s_wait_xcnt 0x0
	v_cmp_eq_u64_e64 s14, s[10:11], v[2:3]
	v_cmp_ne_u64_e64 s15, s[10:11], v[2:3]
	s_branch .LBB158_14
.LBB158_6:
	s_mov_b32 s15, s9
	s_mov_b32 s14, s9
                                        ; implicit-def: $vgpr6
                                        ; implicit-def: $vgpr2_vgpr3
	s_and_b32 vcc_lo, exec_lo, s16
	s_cbranch_vccz .LBB158_14
; %bb.7:
	s_load_b32 s0, s[0:1], 0x10
	s_wait_xcnt 0x0
	s_mov_b32 s1, exec_lo
                                        ; implicit-def: $vgpr6
                                        ; implicit-def: $vgpr2_vgpr3
	s_wait_kmcnt 0x0
	s_sub_co_i32 s0, s0, s8
	s_delay_alu instid0(SALU_CYCLE_1)
	v_cmpx_gt_u32_e64 s0, v0
	s_cbranch_execz .LBB158_13
; %bb.8:
	s_lshl_b64 s[16:17], s[8:9], 2
	v_mov_b64_e32 v[2:3], 0
	s_add_nc_u64 s[12:13], s[12:13], s[16:17]
	v_mov_b32_e32 v1, 0
	s_wait_loadcnt_dscnt 0x0
	flat_load_b32 v6, v0, s[12:13] scale_offset
	s_cmp_eq_u64 s[10:11], 0
	s_cbranch_scc1 .LBB158_12
; %bb.9:
	v_mov_b64_e32 v[4:5], s[10:11]
	s_mov_b32 s0, 0
.LBB158_10:                             ; =>This Inner Loop Header: Depth=1
	s_delay_alu instid0(VALU_DEP_1) | instskip(NEXT) | instid1(VALU_DEP_1)
	v_sub_nc_u64_e32 v[8:9], v[4:5], v[2:3]
	v_lshrrev_b64 v[10:11], 1, v[8:9]
	v_lshrrev_b64 v[8:9], 6, v[8:9]
	s_delay_alu instid0(VALU_DEP_2) | instskip(NEXT) | instid1(VALU_DEP_1)
	v_add_nc_u64_e32 v[10:11], v[10:11], v[2:3]
	v_add_nc_u64_e32 v[8:9], v[10:11], v[8:9]
	s_delay_alu instid0(VALU_DEP_1)
	v_lshl_add_u64 v[10:11], v[8:9], 2, s[6:7]
	global_load_b32 v7, v[10:11], off
	s_wait_xcnt 0x0
	v_add_nc_u64_e32 v[10:11], 1, v[8:9]
	s_wait_loadcnt_dscnt 0x0
	v_cmp_gt_i32_e32 vcc_lo, v7, v6
	v_dual_cndmask_b32 v5, v9, v5 :: v_dual_cndmask_b32 v4, v8, v4
	s_delay_alu instid0(VALU_DEP_3) | instskip(NEXT) | instid1(VALU_DEP_1)
	v_dual_cndmask_b32 v3, v3, v11 :: v_dual_cndmask_b32 v2, v2, v10
	v_cmp_ge_u64_e32 vcc_lo, v[2:3], v[4:5]
	s_or_b32 s0, vcc_lo, s0
	s_delay_alu instid0(SALU_CYCLE_1)
	s_and_not1_b32 exec_lo, exec_lo, s0
	s_cbranch_execnz .LBB158_10
; %bb.11:
	s_or_b32 exec_lo, exec_lo, s0
.LBB158_12:
	v_cmp_eq_u64_e32 vcc_lo, s[10:11], v[2:3]
	v_cmp_ne_u64_e64 s0, s[10:11], v[2:3]
	s_and_not1_b32 s10, s14, exec_lo
	s_and_not1_b32 s11, s15, exec_lo
	s_wait_xcnt 0x0
	s_and_b32 s12, vcc_lo, exec_lo
	s_and_b32 s0, s0, exec_lo
	s_or_b32 s14, s10, s12
	s_or_b32 s15, s11, s0
.LBB158_13:
	s_or_b32 exec_lo, exec_lo, s1
.LBB158_14:
	v_mov_b32_e32 v4, 0
	s_delay_alu instid0(VALU_DEP_2)
	s_and_saveexec_b32 s0, s15
	s_cbranch_execnz .LBB158_17
; %bb.15:
	s_or_b32 exec_lo, exec_lo, s0
	s_and_saveexec_b32 s0, s14
	s_cbranch_execnz .LBB158_18
.LBB158_16:
	s_endpgm
.LBB158_17:
	v_lshl_add_u64 v[2:3], v[2:3], 2, s[6:7]
	s_or_b32 s14, s14, exec_lo
	global_load_b32 v2, v[2:3], off
	s_wait_loadcnt_dscnt 0x0
	v_cmp_le_i32_e32 vcc_lo, v6, v2
	v_cndmask_b32_e64 v4, 0, 1, vcc_lo
	s_or_b32 exec_lo, exec_lo, s0
	s_and_saveexec_b32 s0, s14
	s_cbranch_execz .LBB158_16
.LBB158_18:
	s_add_nc_u64 s[0:1], s[4:5], s[2:3]
	s_lshl_b64 s[2:3], s[8:9], 2
	s_delay_alu instid0(SALU_CYCLE_1) | instskip(NEXT) | instid1(SALU_CYCLE_1)
	s_add_nc_u64 s[0:1], s[0:1], s[2:3]
	v_lshl_add_u64 v[0:1], v[0:1], 2, s[0:1]
	flat_store_b32 v[0:1], v4
	s_endpgm
	.section	.rodata,"a",@progbits
	.p2align	6, 0x0
	.amdhsa_kernel _ZN7rocprim17ROCPRIM_400000_NS6detail17trampoline_kernelINS0_14default_configENS1_29binary_search_config_selectorIiiEEZNS1_14transform_implILb0ES3_S5_N6thrust23THRUST_200600_302600_NS6detail15normal_iteratorINS8_7pointerIiNS8_11hip_rocprim3tagENS8_11use_defaultESE_EEEESG_ZNS1_13binary_searchIS3_S5_NSA_INS8_10device_ptrIiEEEESG_SG_NS1_16binary_search_opENS9_16wrapped_functionINS8_7greaterIiEEbEEEE10hipError_tPvRmT1_T2_T3_mmT4_T5_P12ihipStream_tbEUlRKiE_EESQ_SU_SV_mSW_SZ_bEUlT_E_NS1_11comp_targetILNS1_3genE0ELNS1_11target_archE4294967295ELNS1_3gpuE0ELNS1_3repE0EEENS1_30default_config_static_selectorELNS0_4arch9wavefront6targetE0EEEvST_
		.amdhsa_group_segment_fixed_size 0
		.amdhsa_private_segment_fixed_size 0
		.amdhsa_kernarg_size 312
		.amdhsa_user_sgpr_count 2
		.amdhsa_user_sgpr_dispatch_ptr 0
		.amdhsa_user_sgpr_queue_ptr 0
		.amdhsa_user_sgpr_kernarg_segment_ptr 1
		.amdhsa_user_sgpr_dispatch_id 0
		.amdhsa_user_sgpr_kernarg_preload_length 0
		.amdhsa_user_sgpr_kernarg_preload_offset 0
		.amdhsa_user_sgpr_private_segment_size 0
		.amdhsa_wavefront_size32 1
		.amdhsa_uses_dynamic_stack 0
		.amdhsa_enable_private_segment 0
		.amdhsa_system_sgpr_workgroup_id_x 1
		.amdhsa_system_sgpr_workgroup_id_y 0
		.amdhsa_system_sgpr_workgroup_id_z 0
		.amdhsa_system_sgpr_workgroup_info 0
		.amdhsa_system_vgpr_workitem_id 0
		.amdhsa_next_free_vgpr 12
		.amdhsa_next_free_sgpr 18
		.amdhsa_named_barrier_count 0
		.amdhsa_reserve_vcc 1
		.amdhsa_float_round_mode_32 0
		.amdhsa_float_round_mode_16_64 0
		.amdhsa_float_denorm_mode_32 3
		.amdhsa_float_denorm_mode_16_64 3
		.amdhsa_fp16_overflow 0
		.amdhsa_memory_ordered 1
		.amdhsa_forward_progress 1
		.amdhsa_inst_pref_size 6
		.amdhsa_round_robin_scheduling 0
		.amdhsa_exception_fp_ieee_invalid_op 0
		.amdhsa_exception_fp_denorm_src 0
		.amdhsa_exception_fp_ieee_div_zero 0
		.amdhsa_exception_fp_ieee_overflow 0
		.amdhsa_exception_fp_ieee_underflow 0
		.amdhsa_exception_fp_ieee_inexact 0
		.amdhsa_exception_int_div_zero 0
	.end_amdhsa_kernel
	.section	.text._ZN7rocprim17ROCPRIM_400000_NS6detail17trampoline_kernelINS0_14default_configENS1_29binary_search_config_selectorIiiEEZNS1_14transform_implILb0ES3_S5_N6thrust23THRUST_200600_302600_NS6detail15normal_iteratorINS8_7pointerIiNS8_11hip_rocprim3tagENS8_11use_defaultESE_EEEESG_ZNS1_13binary_searchIS3_S5_NSA_INS8_10device_ptrIiEEEESG_SG_NS1_16binary_search_opENS9_16wrapped_functionINS8_7greaterIiEEbEEEE10hipError_tPvRmT1_T2_T3_mmT4_T5_P12ihipStream_tbEUlRKiE_EESQ_SU_SV_mSW_SZ_bEUlT_E_NS1_11comp_targetILNS1_3genE0ELNS1_11target_archE4294967295ELNS1_3gpuE0ELNS1_3repE0EEENS1_30default_config_static_selectorELNS0_4arch9wavefront6targetE0EEEvST_,"axG",@progbits,_ZN7rocprim17ROCPRIM_400000_NS6detail17trampoline_kernelINS0_14default_configENS1_29binary_search_config_selectorIiiEEZNS1_14transform_implILb0ES3_S5_N6thrust23THRUST_200600_302600_NS6detail15normal_iteratorINS8_7pointerIiNS8_11hip_rocprim3tagENS8_11use_defaultESE_EEEESG_ZNS1_13binary_searchIS3_S5_NSA_INS8_10device_ptrIiEEEESG_SG_NS1_16binary_search_opENS9_16wrapped_functionINS8_7greaterIiEEbEEEE10hipError_tPvRmT1_T2_T3_mmT4_T5_P12ihipStream_tbEUlRKiE_EESQ_SU_SV_mSW_SZ_bEUlT_E_NS1_11comp_targetILNS1_3genE0ELNS1_11target_archE4294967295ELNS1_3gpuE0ELNS1_3repE0EEENS1_30default_config_static_selectorELNS0_4arch9wavefront6targetE0EEEvST_,comdat
.Lfunc_end158:
	.size	_ZN7rocprim17ROCPRIM_400000_NS6detail17trampoline_kernelINS0_14default_configENS1_29binary_search_config_selectorIiiEEZNS1_14transform_implILb0ES3_S5_N6thrust23THRUST_200600_302600_NS6detail15normal_iteratorINS8_7pointerIiNS8_11hip_rocprim3tagENS8_11use_defaultESE_EEEESG_ZNS1_13binary_searchIS3_S5_NSA_INS8_10device_ptrIiEEEESG_SG_NS1_16binary_search_opENS9_16wrapped_functionINS8_7greaterIiEEbEEEE10hipError_tPvRmT1_T2_T3_mmT4_T5_P12ihipStream_tbEUlRKiE_EESQ_SU_SV_mSW_SZ_bEUlT_E_NS1_11comp_targetILNS1_3genE0ELNS1_11target_archE4294967295ELNS1_3gpuE0ELNS1_3repE0EEENS1_30default_config_static_selectorELNS0_4arch9wavefront6targetE0EEEvST_, .Lfunc_end158-_ZN7rocprim17ROCPRIM_400000_NS6detail17trampoline_kernelINS0_14default_configENS1_29binary_search_config_selectorIiiEEZNS1_14transform_implILb0ES3_S5_N6thrust23THRUST_200600_302600_NS6detail15normal_iteratorINS8_7pointerIiNS8_11hip_rocprim3tagENS8_11use_defaultESE_EEEESG_ZNS1_13binary_searchIS3_S5_NSA_INS8_10device_ptrIiEEEESG_SG_NS1_16binary_search_opENS9_16wrapped_functionINS8_7greaterIiEEbEEEE10hipError_tPvRmT1_T2_T3_mmT4_T5_P12ihipStream_tbEUlRKiE_EESQ_SU_SV_mSW_SZ_bEUlT_E_NS1_11comp_targetILNS1_3genE0ELNS1_11target_archE4294967295ELNS1_3gpuE0ELNS1_3repE0EEENS1_30default_config_static_selectorELNS0_4arch9wavefront6targetE0EEEvST_
                                        ; -- End function
	.set _ZN7rocprim17ROCPRIM_400000_NS6detail17trampoline_kernelINS0_14default_configENS1_29binary_search_config_selectorIiiEEZNS1_14transform_implILb0ES3_S5_N6thrust23THRUST_200600_302600_NS6detail15normal_iteratorINS8_7pointerIiNS8_11hip_rocprim3tagENS8_11use_defaultESE_EEEESG_ZNS1_13binary_searchIS3_S5_NSA_INS8_10device_ptrIiEEEESG_SG_NS1_16binary_search_opENS9_16wrapped_functionINS8_7greaterIiEEbEEEE10hipError_tPvRmT1_T2_T3_mmT4_T5_P12ihipStream_tbEUlRKiE_EESQ_SU_SV_mSW_SZ_bEUlT_E_NS1_11comp_targetILNS1_3genE0ELNS1_11target_archE4294967295ELNS1_3gpuE0ELNS1_3repE0EEENS1_30default_config_static_selectorELNS0_4arch9wavefront6targetE0EEEvST_.num_vgpr, 12
	.set _ZN7rocprim17ROCPRIM_400000_NS6detail17trampoline_kernelINS0_14default_configENS1_29binary_search_config_selectorIiiEEZNS1_14transform_implILb0ES3_S5_N6thrust23THRUST_200600_302600_NS6detail15normal_iteratorINS8_7pointerIiNS8_11hip_rocprim3tagENS8_11use_defaultESE_EEEESG_ZNS1_13binary_searchIS3_S5_NSA_INS8_10device_ptrIiEEEESG_SG_NS1_16binary_search_opENS9_16wrapped_functionINS8_7greaterIiEEbEEEE10hipError_tPvRmT1_T2_T3_mmT4_T5_P12ihipStream_tbEUlRKiE_EESQ_SU_SV_mSW_SZ_bEUlT_E_NS1_11comp_targetILNS1_3genE0ELNS1_11target_archE4294967295ELNS1_3gpuE0ELNS1_3repE0EEENS1_30default_config_static_selectorELNS0_4arch9wavefront6targetE0EEEvST_.num_agpr, 0
	.set _ZN7rocprim17ROCPRIM_400000_NS6detail17trampoline_kernelINS0_14default_configENS1_29binary_search_config_selectorIiiEEZNS1_14transform_implILb0ES3_S5_N6thrust23THRUST_200600_302600_NS6detail15normal_iteratorINS8_7pointerIiNS8_11hip_rocprim3tagENS8_11use_defaultESE_EEEESG_ZNS1_13binary_searchIS3_S5_NSA_INS8_10device_ptrIiEEEESG_SG_NS1_16binary_search_opENS9_16wrapped_functionINS8_7greaterIiEEbEEEE10hipError_tPvRmT1_T2_T3_mmT4_T5_P12ihipStream_tbEUlRKiE_EESQ_SU_SV_mSW_SZ_bEUlT_E_NS1_11comp_targetILNS1_3genE0ELNS1_11target_archE4294967295ELNS1_3gpuE0ELNS1_3repE0EEENS1_30default_config_static_selectorELNS0_4arch9wavefront6targetE0EEEvST_.numbered_sgpr, 18
	.set _ZN7rocprim17ROCPRIM_400000_NS6detail17trampoline_kernelINS0_14default_configENS1_29binary_search_config_selectorIiiEEZNS1_14transform_implILb0ES3_S5_N6thrust23THRUST_200600_302600_NS6detail15normal_iteratorINS8_7pointerIiNS8_11hip_rocprim3tagENS8_11use_defaultESE_EEEESG_ZNS1_13binary_searchIS3_S5_NSA_INS8_10device_ptrIiEEEESG_SG_NS1_16binary_search_opENS9_16wrapped_functionINS8_7greaterIiEEbEEEE10hipError_tPvRmT1_T2_T3_mmT4_T5_P12ihipStream_tbEUlRKiE_EESQ_SU_SV_mSW_SZ_bEUlT_E_NS1_11comp_targetILNS1_3genE0ELNS1_11target_archE4294967295ELNS1_3gpuE0ELNS1_3repE0EEENS1_30default_config_static_selectorELNS0_4arch9wavefront6targetE0EEEvST_.num_named_barrier, 0
	.set _ZN7rocprim17ROCPRIM_400000_NS6detail17trampoline_kernelINS0_14default_configENS1_29binary_search_config_selectorIiiEEZNS1_14transform_implILb0ES3_S5_N6thrust23THRUST_200600_302600_NS6detail15normal_iteratorINS8_7pointerIiNS8_11hip_rocprim3tagENS8_11use_defaultESE_EEEESG_ZNS1_13binary_searchIS3_S5_NSA_INS8_10device_ptrIiEEEESG_SG_NS1_16binary_search_opENS9_16wrapped_functionINS8_7greaterIiEEbEEEE10hipError_tPvRmT1_T2_T3_mmT4_T5_P12ihipStream_tbEUlRKiE_EESQ_SU_SV_mSW_SZ_bEUlT_E_NS1_11comp_targetILNS1_3genE0ELNS1_11target_archE4294967295ELNS1_3gpuE0ELNS1_3repE0EEENS1_30default_config_static_selectorELNS0_4arch9wavefront6targetE0EEEvST_.private_seg_size, 0
	.set _ZN7rocprim17ROCPRIM_400000_NS6detail17trampoline_kernelINS0_14default_configENS1_29binary_search_config_selectorIiiEEZNS1_14transform_implILb0ES3_S5_N6thrust23THRUST_200600_302600_NS6detail15normal_iteratorINS8_7pointerIiNS8_11hip_rocprim3tagENS8_11use_defaultESE_EEEESG_ZNS1_13binary_searchIS3_S5_NSA_INS8_10device_ptrIiEEEESG_SG_NS1_16binary_search_opENS9_16wrapped_functionINS8_7greaterIiEEbEEEE10hipError_tPvRmT1_T2_T3_mmT4_T5_P12ihipStream_tbEUlRKiE_EESQ_SU_SV_mSW_SZ_bEUlT_E_NS1_11comp_targetILNS1_3genE0ELNS1_11target_archE4294967295ELNS1_3gpuE0ELNS1_3repE0EEENS1_30default_config_static_selectorELNS0_4arch9wavefront6targetE0EEEvST_.uses_vcc, 1
	.set _ZN7rocprim17ROCPRIM_400000_NS6detail17trampoline_kernelINS0_14default_configENS1_29binary_search_config_selectorIiiEEZNS1_14transform_implILb0ES3_S5_N6thrust23THRUST_200600_302600_NS6detail15normal_iteratorINS8_7pointerIiNS8_11hip_rocprim3tagENS8_11use_defaultESE_EEEESG_ZNS1_13binary_searchIS3_S5_NSA_INS8_10device_ptrIiEEEESG_SG_NS1_16binary_search_opENS9_16wrapped_functionINS8_7greaterIiEEbEEEE10hipError_tPvRmT1_T2_T3_mmT4_T5_P12ihipStream_tbEUlRKiE_EESQ_SU_SV_mSW_SZ_bEUlT_E_NS1_11comp_targetILNS1_3genE0ELNS1_11target_archE4294967295ELNS1_3gpuE0ELNS1_3repE0EEENS1_30default_config_static_selectorELNS0_4arch9wavefront6targetE0EEEvST_.uses_flat_scratch, 0
	.set _ZN7rocprim17ROCPRIM_400000_NS6detail17trampoline_kernelINS0_14default_configENS1_29binary_search_config_selectorIiiEEZNS1_14transform_implILb0ES3_S5_N6thrust23THRUST_200600_302600_NS6detail15normal_iteratorINS8_7pointerIiNS8_11hip_rocprim3tagENS8_11use_defaultESE_EEEESG_ZNS1_13binary_searchIS3_S5_NSA_INS8_10device_ptrIiEEEESG_SG_NS1_16binary_search_opENS9_16wrapped_functionINS8_7greaterIiEEbEEEE10hipError_tPvRmT1_T2_T3_mmT4_T5_P12ihipStream_tbEUlRKiE_EESQ_SU_SV_mSW_SZ_bEUlT_E_NS1_11comp_targetILNS1_3genE0ELNS1_11target_archE4294967295ELNS1_3gpuE0ELNS1_3repE0EEENS1_30default_config_static_selectorELNS0_4arch9wavefront6targetE0EEEvST_.has_dyn_sized_stack, 0
	.set _ZN7rocprim17ROCPRIM_400000_NS6detail17trampoline_kernelINS0_14default_configENS1_29binary_search_config_selectorIiiEEZNS1_14transform_implILb0ES3_S5_N6thrust23THRUST_200600_302600_NS6detail15normal_iteratorINS8_7pointerIiNS8_11hip_rocprim3tagENS8_11use_defaultESE_EEEESG_ZNS1_13binary_searchIS3_S5_NSA_INS8_10device_ptrIiEEEESG_SG_NS1_16binary_search_opENS9_16wrapped_functionINS8_7greaterIiEEbEEEE10hipError_tPvRmT1_T2_T3_mmT4_T5_P12ihipStream_tbEUlRKiE_EESQ_SU_SV_mSW_SZ_bEUlT_E_NS1_11comp_targetILNS1_3genE0ELNS1_11target_archE4294967295ELNS1_3gpuE0ELNS1_3repE0EEENS1_30default_config_static_selectorELNS0_4arch9wavefront6targetE0EEEvST_.has_recursion, 0
	.set _ZN7rocprim17ROCPRIM_400000_NS6detail17trampoline_kernelINS0_14default_configENS1_29binary_search_config_selectorIiiEEZNS1_14transform_implILb0ES3_S5_N6thrust23THRUST_200600_302600_NS6detail15normal_iteratorINS8_7pointerIiNS8_11hip_rocprim3tagENS8_11use_defaultESE_EEEESG_ZNS1_13binary_searchIS3_S5_NSA_INS8_10device_ptrIiEEEESG_SG_NS1_16binary_search_opENS9_16wrapped_functionINS8_7greaterIiEEbEEEE10hipError_tPvRmT1_T2_T3_mmT4_T5_P12ihipStream_tbEUlRKiE_EESQ_SU_SV_mSW_SZ_bEUlT_E_NS1_11comp_targetILNS1_3genE0ELNS1_11target_archE4294967295ELNS1_3gpuE0ELNS1_3repE0EEENS1_30default_config_static_selectorELNS0_4arch9wavefront6targetE0EEEvST_.has_indirect_call, 0
	.section	.AMDGPU.csdata,"",@progbits
; Kernel info:
; codeLenInByte = 696
; TotalNumSgprs: 20
; NumVgprs: 12
; ScratchSize: 0
; MemoryBound: 0
; FloatMode: 240
; IeeeMode: 1
; LDSByteSize: 0 bytes/workgroup (compile time only)
; SGPRBlocks: 0
; VGPRBlocks: 0
; NumSGPRsForWavesPerEU: 20
; NumVGPRsForWavesPerEU: 12
; NamedBarCnt: 0
; Occupancy: 16
; WaveLimiterHint : 0
; COMPUTE_PGM_RSRC2:SCRATCH_EN: 0
; COMPUTE_PGM_RSRC2:USER_SGPR: 2
; COMPUTE_PGM_RSRC2:TRAP_HANDLER: 0
; COMPUTE_PGM_RSRC2:TGID_X_EN: 1
; COMPUTE_PGM_RSRC2:TGID_Y_EN: 0
; COMPUTE_PGM_RSRC2:TGID_Z_EN: 0
; COMPUTE_PGM_RSRC2:TIDIG_COMP_CNT: 0
	.section	.text._ZN7rocprim17ROCPRIM_400000_NS6detail17trampoline_kernelINS0_14default_configENS1_29binary_search_config_selectorIiiEEZNS1_14transform_implILb0ES3_S5_N6thrust23THRUST_200600_302600_NS6detail15normal_iteratorINS8_7pointerIiNS8_11hip_rocprim3tagENS8_11use_defaultESE_EEEESG_ZNS1_13binary_searchIS3_S5_NSA_INS8_10device_ptrIiEEEESG_SG_NS1_16binary_search_opENS9_16wrapped_functionINS8_7greaterIiEEbEEEE10hipError_tPvRmT1_T2_T3_mmT4_T5_P12ihipStream_tbEUlRKiE_EESQ_SU_SV_mSW_SZ_bEUlT_E_NS1_11comp_targetILNS1_3genE5ELNS1_11target_archE942ELNS1_3gpuE9ELNS1_3repE0EEENS1_30default_config_static_selectorELNS0_4arch9wavefront6targetE0EEEvST_,"axG",@progbits,_ZN7rocprim17ROCPRIM_400000_NS6detail17trampoline_kernelINS0_14default_configENS1_29binary_search_config_selectorIiiEEZNS1_14transform_implILb0ES3_S5_N6thrust23THRUST_200600_302600_NS6detail15normal_iteratorINS8_7pointerIiNS8_11hip_rocprim3tagENS8_11use_defaultESE_EEEESG_ZNS1_13binary_searchIS3_S5_NSA_INS8_10device_ptrIiEEEESG_SG_NS1_16binary_search_opENS9_16wrapped_functionINS8_7greaterIiEEbEEEE10hipError_tPvRmT1_T2_T3_mmT4_T5_P12ihipStream_tbEUlRKiE_EESQ_SU_SV_mSW_SZ_bEUlT_E_NS1_11comp_targetILNS1_3genE5ELNS1_11target_archE942ELNS1_3gpuE9ELNS1_3repE0EEENS1_30default_config_static_selectorELNS0_4arch9wavefront6targetE0EEEvST_,comdat
	.protected	_ZN7rocprim17ROCPRIM_400000_NS6detail17trampoline_kernelINS0_14default_configENS1_29binary_search_config_selectorIiiEEZNS1_14transform_implILb0ES3_S5_N6thrust23THRUST_200600_302600_NS6detail15normal_iteratorINS8_7pointerIiNS8_11hip_rocprim3tagENS8_11use_defaultESE_EEEESG_ZNS1_13binary_searchIS3_S5_NSA_INS8_10device_ptrIiEEEESG_SG_NS1_16binary_search_opENS9_16wrapped_functionINS8_7greaterIiEEbEEEE10hipError_tPvRmT1_T2_T3_mmT4_T5_P12ihipStream_tbEUlRKiE_EESQ_SU_SV_mSW_SZ_bEUlT_E_NS1_11comp_targetILNS1_3genE5ELNS1_11target_archE942ELNS1_3gpuE9ELNS1_3repE0EEENS1_30default_config_static_selectorELNS0_4arch9wavefront6targetE0EEEvST_ ; -- Begin function _ZN7rocprim17ROCPRIM_400000_NS6detail17trampoline_kernelINS0_14default_configENS1_29binary_search_config_selectorIiiEEZNS1_14transform_implILb0ES3_S5_N6thrust23THRUST_200600_302600_NS6detail15normal_iteratorINS8_7pointerIiNS8_11hip_rocprim3tagENS8_11use_defaultESE_EEEESG_ZNS1_13binary_searchIS3_S5_NSA_INS8_10device_ptrIiEEEESG_SG_NS1_16binary_search_opENS9_16wrapped_functionINS8_7greaterIiEEbEEEE10hipError_tPvRmT1_T2_T3_mmT4_T5_P12ihipStream_tbEUlRKiE_EESQ_SU_SV_mSW_SZ_bEUlT_E_NS1_11comp_targetILNS1_3genE5ELNS1_11target_archE942ELNS1_3gpuE9ELNS1_3repE0EEENS1_30default_config_static_selectorELNS0_4arch9wavefront6targetE0EEEvST_
	.globl	_ZN7rocprim17ROCPRIM_400000_NS6detail17trampoline_kernelINS0_14default_configENS1_29binary_search_config_selectorIiiEEZNS1_14transform_implILb0ES3_S5_N6thrust23THRUST_200600_302600_NS6detail15normal_iteratorINS8_7pointerIiNS8_11hip_rocprim3tagENS8_11use_defaultESE_EEEESG_ZNS1_13binary_searchIS3_S5_NSA_INS8_10device_ptrIiEEEESG_SG_NS1_16binary_search_opENS9_16wrapped_functionINS8_7greaterIiEEbEEEE10hipError_tPvRmT1_T2_T3_mmT4_T5_P12ihipStream_tbEUlRKiE_EESQ_SU_SV_mSW_SZ_bEUlT_E_NS1_11comp_targetILNS1_3genE5ELNS1_11target_archE942ELNS1_3gpuE9ELNS1_3repE0EEENS1_30default_config_static_selectorELNS0_4arch9wavefront6targetE0EEEvST_
	.p2align	8
	.type	_ZN7rocprim17ROCPRIM_400000_NS6detail17trampoline_kernelINS0_14default_configENS1_29binary_search_config_selectorIiiEEZNS1_14transform_implILb0ES3_S5_N6thrust23THRUST_200600_302600_NS6detail15normal_iteratorINS8_7pointerIiNS8_11hip_rocprim3tagENS8_11use_defaultESE_EEEESG_ZNS1_13binary_searchIS3_S5_NSA_INS8_10device_ptrIiEEEESG_SG_NS1_16binary_search_opENS9_16wrapped_functionINS8_7greaterIiEEbEEEE10hipError_tPvRmT1_T2_T3_mmT4_T5_P12ihipStream_tbEUlRKiE_EESQ_SU_SV_mSW_SZ_bEUlT_E_NS1_11comp_targetILNS1_3genE5ELNS1_11target_archE942ELNS1_3gpuE9ELNS1_3repE0EEENS1_30default_config_static_selectorELNS0_4arch9wavefront6targetE0EEEvST_,@function
_ZN7rocprim17ROCPRIM_400000_NS6detail17trampoline_kernelINS0_14default_configENS1_29binary_search_config_selectorIiiEEZNS1_14transform_implILb0ES3_S5_N6thrust23THRUST_200600_302600_NS6detail15normal_iteratorINS8_7pointerIiNS8_11hip_rocprim3tagENS8_11use_defaultESE_EEEESG_ZNS1_13binary_searchIS3_S5_NSA_INS8_10device_ptrIiEEEESG_SG_NS1_16binary_search_opENS9_16wrapped_functionINS8_7greaterIiEEbEEEE10hipError_tPvRmT1_T2_T3_mmT4_T5_P12ihipStream_tbEUlRKiE_EESQ_SU_SV_mSW_SZ_bEUlT_E_NS1_11comp_targetILNS1_3genE5ELNS1_11target_archE942ELNS1_3gpuE9ELNS1_3repE0EEENS1_30default_config_static_selectorELNS0_4arch9wavefront6targetE0EEEvST_: ; @_ZN7rocprim17ROCPRIM_400000_NS6detail17trampoline_kernelINS0_14default_configENS1_29binary_search_config_selectorIiiEEZNS1_14transform_implILb0ES3_S5_N6thrust23THRUST_200600_302600_NS6detail15normal_iteratorINS8_7pointerIiNS8_11hip_rocprim3tagENS8_11use_defaultESE_EEEESG_ZNS1_13binary_searchIS3_S5_NSA_INS8_10device_ptrIiEEEESG_SG_NS1_16binary_search_opENS9_16wrapped_functionINS8_7greaterIiEEbEEEE10hipError_tPvRmT1_T2_T3_mmT4_T5_P12ihipStream_tbEUlRKiE_EESQ_SU_SV_mSW_SZ_bEUlT_E_NS1_11comp_targetILNS1_3genE5ELNS1_11target_archE942ELNS1_3gpuE9ELNS1_3repE0EEENS1_30default_config_static_selectorELNS0_4arch9wavefront6targetE0EEEvST_
; %bb.0:
	.section	.rodata,"a",@progbits
	.p2align	6, 0x0
	.amdhsa_kernel _ZN7rocprim17ROCPRIM_400000_NS6detail17trampoline_kernelINS0_14default_configENS1_29binary_search_config_selectorIiiEEZNS1_14transform_implILb0ES3_S5_N6thrust23THRUST_200600_302600_NS6detail15normal_iteratorINS8_7pointerIiNS8_11hip_rocprim3tagENS8_11use_defaultESE_EEEESG_ZNS1_13binary_searchIS3_S5_NSA_INS8_10device_ptrIiEEEESG_SG_NS1_16binary_search_opENS9_16wrapped_functionINS8_7greaterIiEEbEEEE10hipError_tPvRmT1_T2_T3_mmT4_T5_P12ihipStream_tbEUlRKiE_EESQ_SU_SV_mSW_SZ_bEUlT_E_NS1_11comp_targetILNS1_3genE5ELNS1_11target_archE942ELNS1_3gpuE9ELNS1_3repE0EEENS1_30default_config_static_selectorELNS0_4arch9wavefront6targetE0EEEvST_
		.amdhsa_group_segment_fixed_size 0
		.amdhsa_private_segment_fixed_size 0
		.amdhsa_kernarg_size 56
		.amdhsa_user_sgpr_count 2
		.amdhsa_user_sgpr_dispatch_ptr 0
		.amdhsa_user_sgpr_queue_ptr 0
		.amdhsa_user_sgpr_kernarg_segment_ptr 1
		.amdhsa_user_sgpr_dispatch_id 0
		.amdhsa_user_sgpr_kernarg_preload_length 0
		.amdhsa_user_sgpr_kernarg_preload_offset 0
		.amdhsa_user_sgpr_private_segment_size 0
		.amdhsa_wavefront_size32 1
		.amdhsa_uses_dynamic_stack 0
		.amdhsa_enable_private_segment 0
		.amdhsa_system_sgpr_workgroup_id_x 1
		.amdhsa_system_sgpr_workgroup_id_y 0
		.amdhsa_system_sgpr_workgroup_id_z 0
		.amdhsa_system_sgpr_workgroup_info 0
		.amdhsa_system_vgpr_workitem_id 0
		.amdhsa_next_free_vgpr 1
		.amdhsa_next_free_sgpr 1
		.amdhsa_named_barrier_count 0
		.amdhsa_reserve_vcc 0
		.amdhsa_float_round_mode_32 0
		.amdhsa_float_round_mode_16_64 0
		.amdhsa_float_denorm_mode_32 3
		.amdhsa_float_denorm_mode_16_64 3
		.amdhsa_fp16_overflow 0
		.amdhsa_memory_ordered 1
		.amdhsa_forward_progress 1
		.amdhsa_inst_pref_size 0
		.amdhsa_round_robin_scheduling 0
		.amdhsa_exception_fp_ieee_invalid_op 0
		.amdhsa_exception_fp_denorm_src 0
		.amdhsa_exception_fp_ieee_div_zero 0
		.amdhsa_exception_fp_ieee_overflow 0
		.amdhsa_exception_fp_ieee_underflow 0
		.amdhsa_exception_fp_ieee_inexact 0
		.amdhsa_exception_int_div_zero 0
	.end_amdhsa_kernel
	.section	.text._ZN7rocprim17ROCPRIM_400000_NS6detail17trampoline_kernelINS0_14default_configENS1_29binary_search_config_selectorIiiEEZNS1_14transform_implILb0ES3_S5_N6thrust23THRUST_200600_302600_NS6detail15normal_iteratorINS8_7pointerIiNS8_11hip_rocprim3tagENS8_11use_defaultESE_EEEESG_ZNS1_13binary_searchIS3_S5_NSA_INS8_10device_ptrIiEEEESG_SG_NS1_16binary_search_opENS9_16wrapped_functionINS8_7greaterIiEEbEEEE10hipError_tPvRmT1_T2_T3_mmT4_T5_P12ihipStream_tbEUlRKiE_EESQ_SU_SV_mSW_SZ_bEUlT_E_NS1_11comp_targetILNS1_3genE5ELNS1_11target_archE942ELNS1_3gpuE9ELNS1_3repE0EEENS1_30default_config_static_selectorELNS0_4arch9wavefront6targetE0EEEvST_,"axG",@progbits,_ZN7rocprim17ROCPRIM_400000_NS6detail17trampoline_kernelINS0_14default_configENS1_29binary_search_config_selectorIiiEEZNS1_14transform_implILb0ES3_S5_N6thrust23THRUST_200600_302600_NS6detail15normal_iteratorINS8_7pointerIiNS8_11hip_rocprim3tagENS8_11use_defaultESE_EEEESG_ZNS1_13binary_searchIS3_S5_NSA_INS8_10device_ptrIiEEEESG_SG_NS1_16binary_search_opENS9_16wrapped_functionINS8_7greaterIiEEbEEEE10hipError_tPvRmT1_T2_T3_mmT4_T5_P12ihipStream_tbEUlRKiE_EESQ_SU_SV_mSW_SZ_bEUlT_E_NS1_11comp_targetILNS1_3genE5ELNS1_11target_archE942ELNS1_3gpuE9ELNS1_3repE0EEENS1_30default_config_static_selectorELNS0_4arch9wavefront6targetE0EEEvST_,comdat
.Lfunc_end159:
	.size	_ZN7rocprim17ROCPRIM_400000_NS6detail17trampoline_kernelINS0_14default_configENS1_29binary_search_config_selectorIiiEEZNS1_14transform_implILb0ES3_S5_N6thrust23THRUST_200600_302600_NS6detail15normal_iteratorINS8_7pointerIiNS8_11hip_rocprim3tagENS8_11use_defaultESE_EEEESG_ZNS1_13binary_searchIS3_S5_NSA_INS8_10device_ptrIiEEEESG_SG_NS1_16binary_search_opENS9_16wrapped_functionINS8_7greaterIiEEbEEEE10hipError_tPvRmT1_T2_T3_mmT4_T5_P12ihipStream_tbEUlRKiE_EESQ_SU_SV_mSW_SZ_bEUlT_E_NS1_11comp_targetILNS1_3genE5ELNS1_11target_archE942ELNS1_3gpuE9ELNS1_3repE0EEENS1_30default_config_static_selectorELNS0_4arch9wavefront6targetE0EEEvST_, .Lfunc_end159-_ZN7rocprim17ROCPRIM_400000_NS6detail17trampoline_kernelINS0_14default_configENS1_29binary_search_config_selectorIiiEEZNS1_14transform_implILb0ES3_S5_N6thrust23THRUST_200600_302600_NS6detail15normal_iteratorINS8_7pointerIiNS8_11hip_rocprim3tagENS8_11use_defaultESE_EEEESG_ZNS1_13binary_searchIS3_S5_NSA_INS8_10device_ptrIiEEEESG_SG_NS1_16binary_search_opENS9_16wrapped_functionINS8_7greaterIiEEbEEEE10hipError_tPvRmT1_T2_T3_mmT4_T5_P12ihipStream_tbEUlRKiE_EESQ_SU_SV_mSW_SZ_bEUlT_E_NS1_11comp_targetILNS1_3genE5ELNS1_11target_archE942ELNS1_3gpuE9ELNS1_3repE0EEENS1_30default_config_static_selectorELNS0_4arch9wavefront6targetE0EEEvST_
                                        ; -- End function
	.set _ZN7rocprim17ROCPRIM_400000_NS6detail17trampoline_kernelINS0_14default_configENS1_29binary_search_config_selectorIiiEEZNS1_14transform_implILb0ES3_S5_N6thrust23THRUST_200600_302600_NS6detail15normal_iteratorINS8_7pointerIiNS8_11hip_rocprim3tagENS8_11use_defaultESE_EEEESG_ZNS1_13binary_searchIS3_S5_NSA_INS8_10device_ptrIiEEEESG_SG_NS1_16binary_search_opENS9_16wrapped_functionINS8_7greaterIiEEbEEEE10hipError_tPvRmT1_T2_T3_mmT4_T5_P12ihipStream_tbEUlRKiE_EESQ_SU_SV_mSW_SZ_bEUlT_E_NS1_11comp_targetILNS1_3genE5ELNS1_11target_archE942ELNS1_3gpuE9ELNS1_3repE0EEENS1_30default_config_static_selectorELNS0_4arch9wavefront6targetE0EEEvST_.num_vgpr, 0
	.set _ZN7rocprim17ROCPRIM_400000_NS6detail17trampoline_kernelINS0_14default_configENS1_29binary_search_config_selectorIiiEEZNS1_14transform_implILb0ES3_S5_N6thrust23THRUST_200600_302600_NS6detail15normal_iteratorINS8_7pointerIiNS8_11hip_rocprim3tagENS8_11use_defaultESE_EEEESG_ZNS1_13binary_searchIS3_S5_NSA_INS8_10device_ptrIiEEEESG_SG_NS1_16binary_search_opENS9_16wrapped_functionINS8_7greaterIiEEbEEEE10hipError_tPvRmT1_T2_T3_mmT4_T5_P12ihipStream_tbEUlRKiE_EESQ_SU_SV_mSW_SZ_bEUlT_E_NS1_11comp_targetILNS1_3genE5ELNS1_11target_archE942ELNS1_3gpuE9ELNS1_3repE0EEENS1_30default_config_static_selectorELNS0_4arch9wavefront6targetE0EEEvST_.num_agpr, 0
	.set _ZN7rocprim17ROCPRIM_400000_NS6detail17trampoline_kernelINS0_14default_configENS1_29binary_search_config_selectorIiiEEZNS1_14transform_implILb0ES3_S5_N6thrust23THRUST_200600_302600_NS6detail15normal_iteratorINS8_7pointerIiNS8_11hip_rocprim3tagENS8_11use_defaultESE_EEEESG_ZNS1_13binary_searchIS3_S5_NSA_INS8_10device_ptrIiEEEESG_SG_NS1_16binary_search_opENS9_16wrapped_functionINS8_7greaterIiEEbEEEE10hipError_tPvRmT1_T2_T3_mmT4_T5_P12ihipStream_tbEUlRKiE_EESQ_SU_SV_mSW_SZ_bEUlT_E_NS1_11comp_targetILNS1_3genE5ELNS1_11target_archE942ELNS1_3gpuE9ELNS1_3repE0EEENS1_30default_config_static_selectorELNS0_4arch9wavefront6targetE0EEEvST_.numbered_sgpr, 0
	.set _ZN7rocprim17ROCPRIM_400000_NS6detail17trampoline_kernelINS0_14default_configENS1_29binary_search_config_selectorIiiEEZNS1_14transform_implILb0ES3_S5_N6thrust23THRUST_200600_302600_NS6detail15normal_iteratorINS8_7pointerIiNS8_11hip_rocprim3tagENS8_11use_defaultESE_EEEESG_ZNS1_13binary_searchIS3_S5_NSA_INS8_10device_ptrIiEEEESG_SG_NS1_16binary_search_opENS9_16wrapped_functionINS8_7greaterIiEEbEEEE10hipError_tPvRmT1_T2_T3_mmT4_T5_P12ihipStream_tbEUlRKiE_EESQ_SU_SV_mSW_SZ_bEUlT_E_NS1_11comp_targetILNS1_3genE5ELNS1_11target_archE942ELNS1_3gpuE9ELNS1_3repE0EEENS1_30default_config_static_selectorELNS0_4arch9wavefront6targetE0EEEvST_.num_named_barrier, 0
	.set _ZN7rocprim17ROCPRIM_400000_NS6detail17trampoline_kernelINS0_14default_configENS1_29binary_search_config_selectorIiiEEZNS1_14transform_implILb0ES3_S5_N6thrust23THRUST_200600_302600_NS6detail15normal_iteratorINS8_7pointerIiNS8_11hip_rocprim3tagENS8_11use_defaultESE_EEEESG_ZNS1_13binary_searchIS3_S5_NSA_INS8_10device_ptrIiEEEESG_SG_NS1_16binary_search_opENS9_16wrapped_functionINS8_7greaterIiEEbEEEE10hipError_tPvRmT1_T2_T3_mmT4_T5_P12ihipStream_tbEUlRKiE_EESQ_SU_SV_mSW_SZ_bEUlT_E_NS1_11comp_targetILNS1_3genE5ELNS1_11target_archE942ELNS1_3gpuE9ELNS1_3repE0EEENS1_30default_config_static_selectorELNS0_4arch9wavefront6targetE0EEEvST_.private_seg_size, 0
	.set _ZN7rocprim17ROCPRIM_400000_NS6detail17trampoline_kernelINS0_14default_configENS1_29binary_search_config_selectorIiiEEZNS1_14transform_implILb0ES3_S5_N6thrust23THRUST_200600_302600_NS6detail15normal_iteratorINS8_7pointerIiNS8_11hip_rocprim3tagENS8_11use_defaultESE_EEEESG_ZNS1_13binary_searchIS3_S5_NSA_INS8_10device_ptrIiEEEESG_SG_NS1_16binary_search_opENS9_16wrapped_functionINS8_7greaterIiEEbEEEE10hipError_tPvRmT1_T2_T3_mmT4_T5_P12ihipStream_tbEUlRKiE_EESQ_SU_SV_mSW_SZ_bEUlT_E_NS1_11comp_targetILNS1_3genE5ELNS1_11target_archE942ELNS1_3gpuE9ELNS1_3repE0EEENS1_30default_config_static_selectorELNS0_4arch9wavefront6targetE0EEEvST_.uses_vcc, 0
	.set _ZN7rocprim17ROCPRIM_400000_NS6detail17trampoline_kernelINS0_14default_configENS1_29binary_search_config_selectorIiiEEZNS1_14transform_implILb0ES3_S5_N6thrust23THRUST_200600_302600_NS6detail15normal_iteratorINS8_7pointerIiNS8_11hip_rocprim3tagENS8_11use_defaultESE_EEEESG_ZNS1_13binary_searchIS3_S5_NSA_INS8_10device_ptrIiEEEESG_SG_NS1_16binary_search_opENS9_16wrapped_functionINS8_7greaterIiEEbEEEE10hipError_tPvRmT1_T2_T3_mmT4_T5_P12ihipStream_tbEUlRKiE_EESQ_SU_SV_mSW_SZ_bEUlT_E_NS1_11comp_targetILNS1_3genE5ELNS1_11target_archE942ELNS1_3gpuE9ELNS1_3repE0EEENS1_30default_config_static_selectorELNS0_4arch9wavefront6targetE0EEEvST_.uses_flat_scratch, 0
	.set _ZN7rocprim17ROCPRIM_400000_NS6detail17trampoline_kernelINS0_14default_configENS1_29binary_search_config_selectorIiiEEZNS1_14transform_implILb0ES3_S5_N6thrust23THRUST_200600_302600_NS6detail15normal_iteratorINS8_7pointerIiNS8_11hip_rocprim3tagENS8_11use_defaultESE_EEEESG_ZNS1_13binary_searchIS3_S5_NSA_INS8_10device_ptrIiEEEESG_SG_NS1_16binary_search_opENS9_16wrapped_functionINS8_7greaterIiEEbEEEE10hipError_tPvRmT1_T2_T3_mmT4_T5_P12ihipStream_tbEUlRKiE_EESQ_SU_SV_mSW_SZ_bEUlT_E_NS1_11comp_targetILNS1_3genE5ELNS1_11target_archE942ELNS1_3gpuE9ELNS1_3repE0EEENS1_30default_config_static_selectorELNS0_4arch9wavefront6targetE0EEEvST_.has_dyn_sized_stack, 0
	.set _ZN7rocprim17ROCPRIM_400000_NS6detail17trampoline_kernelINS0_14default_configENS1_29binary_search_config_selectorIiiEEZNS1_14transform_implILb0ES3_S5_N6thrust23THRUST_200600_302600_NS6detail15normal_iteratorINS8_7pointerIiNS8_11hip_rocprim3tagENS8_11use_defaultESE_EEEESG_ZNS1_13binary_searchIS3_S5_NSA_INS8_10device_ptrIiEEEESG_SG_NS1_16binary_search_opENS9_16wrapped_functionINS8_7greaterIiEEbEEEE10hipError_tPvRmT1_T2_T3_mmT4_T5_P12ihipStream_tbEUlRKiE_EESQ_SU_SV_mSW_SZ_bEUlT_E_NS1_11comp_targetILNS1_3genE5ELNS1_11target_archE942ELNS1_3gpuE9ELNS1_3repE0EEENS1_30default_config_static_selectorELNS0_4arch9wavefront6targetE0EEEvST_.has_recursion, 0
	.set _ZN7rocprim17ROCPRIM_400000_NS6detail17trampoline_kernelINS0_14default_configENS1_29binary_search_config_selectorIiiEEZNS1_14transform_implILb0ES3_S5_N6thrust23THRUST_200600_302600_NS6detail15normal_iteratorINS8_7pointerIiNS8_11hip_rocprim3tagENS8_11use_defaultESE_EEEESG_ZNS1_13binary_searchIS3_S5_NSA_INS8_10device_ptrIiEEEESG_SG_NS1_16binary_search_opENS9_16wrapped_functionINS8_7greaterIiEEbEEEE10hipError_tPvRmT1_T2_T3_mmT4_T5_P12ihipStream_tbEUlRKiE_EESQ_SU_SV_mSW_SZ_bEUlT_E_NS1_11comp_targetILNS1_3genE5ELNS1_11target_archE942ELNS1_3gpuE9ELNS1_3repE0EEENS1_30default_config_static_selectorELNS0_4arch9wavefront6targetE0EEEvST_.has_indirect_call, 0
	.section	.AMDGPU.csdata,"",@progbits
; Kernel info:
; codeLenInByte = 0
; TotalNumSgprs: 0
; NumVgprs: 0
; ScratchSize: 0
; MemoryBound: 0
; FloatMode: 240
; IeeeMode: 1
; LDSByteSize: 0 bytes/workgroup (compile time only)
; SGPRBlocks: 0
; VGPRBlocks: 0
; NumSGPRsForWavesPerEU: 1
; NumVGPRsForWavesPerEU: 1
; NamedBarCnt: 0
; Occupancy: 16
; WaveLimiterHint : 0
; COMPUTE_PGM_RSRC2:SCRATCH_EN: 0
; COMPUTE_PGM_RSRC2:USER_SGPR: 2
; COMPUTE_PGM_RSRC2:TRAP_HANDLER: 0
; COMPUTE_PGM_RSRC2:TGID_X_EN: 1
; COMPUTE_PGM_RSRC2:TGID_Y_EN: 0
; COMPUTE_PGM_RSRC2:TGID_Z_EN: 0
; COMPUTE_PGM_RSRC2:TIDIG_COMP_CNT: 0
	.section	.text._ZN7rocprim17ROCPRIM_400000_NS6detail17trampoline_kernelINS0_14default_configENS1_29binary_search_config_selectorIiiEEZNS1_14transform_implILb0ES3_S5_N6thrust23THRUST_200600_302600_NS6detail15normal_iteratorINS8_7pointerIiNS8_11hip_rocprim3tagENS8_11use_defaultESE_EEEESG_ZNS1_13binary_searchIS3_S5_NSA_INS8_10device_ptrIiEEEESG_SG_NS1_16binary_search_opENS9_16wrapped_functionINS8_7greaterIiEEbEEEE10hipError_tPvRmT1_T2_T3_mmT4_T5_P12ihipStream_tbEUlRKiE_EESQ_SU_SV_mSW_SZ_bEUlT_E_NS1_11comp_targetILNS1_3genE4ELNS1_11target_archE910ELNS1_3gpuE8ELNS1_3repE0EEENS1_30default_config_static_selectorELNS0_4arch9wavefront6targetE0EEEvST_,"axG",@progbits,_ZN7rocprim17ROCPRIM_400000_NS6detail17trampoline_kernelINS0_14default_configENS1_29binary_search_config_selectorIiiEEZNS1_14transform_implILb0ES3_S5_N6thrust23THRUST_200600_302600_NS6detail15normal_iteratorINS8_7pointerIiNS8_11hip_rocprim3tagENS8_11use_defaultESE_EEEESG_ZNS1_13binary_searchIS3_S5_NSA_INS8_10device_ptrIiEEEESG_SG_NS1_16binary_search_opENS9_16wrapped_functionINS8_7greaterIiEEbEEEE10hipError_tPvRmT1_T2_T3_mmT4_T5_P12ihipStream_tbEUlRKiE_EESQ_SU_SV_mSW_SZ_bEUlT_E_NS1_11comp_targetILNS1_3genE4ELNS1_11target_archE910ELNS1_3gpuE8ELNS1_3repE0EEENS1_30default_config_static_selectorELNS0_4arch9wavefront6targetE0EEEvST_,comdat
	.protected	_ZN7rocprim17ROCPRIM_400000_NS6detail17trampoline_kernelINS0_14default_configENS1_29binary_search_config_selectorIiiEEZNS1_14transform_implILb0ES3_S5_N6thrust23THRUST_200600_302600_NS6detail15normal_iteratorINS8_7pointerIiNS8_11hip_rocprim3tagENS8_11use_defaultESE_EEEESG_ZNS1_13binary_searchIS3_S5_NSA_INS8_10device_ptrIiEEEESG_SG_NS1_16binary_search_opENS9_16wrapped_functionINS8_7greaterIiEEbEEEE10hipError_tPvRmT1_T2_T3_mmT4_T5_P12ihipStream_tbEUlRKiE_EESQ_SU_SV_mSW_SZ_bEUlT_E_NS1_11comp_targetILNS1_3genE4ELNS1_11target_archE910ELNS1_3gpuE8ELNS1_3repE0EEENS1_30default_config_static_selectorELNS0_4arch9wavefront6targetE0EEEvST_ ; -- Begin function _ZN7rocprim17ROCPRIM_400000_NS6detail17trampoline_kernelINS0_14default_configENS1_29binary_search_config_selectorIiiEEZNS1_14transform_implILb0ES3_S5_N6thrust23THRUST_200600_302600_NS6detail15normal_iteratorINS8_7pointerIiNS8_11hip_rocprim3tagENS8_11use_defaultESE_EEEESG_ZNS1_13binary_searchIS3_S5_NSA_INS8_10device_ptrIiEEEESG_SG_NS1_16binary_search_opENS9_16wrapped_functionINS8_7greaterIiEEbEEEE10hipError_tPvRmT1_T2_T3_mmT4_T5_P12ihipStream_tbEUlRKiE_EESQ_SU_SV_mSW_SZ_bEUlT_E_NS1_11comp_targetILNS1_3genE4ELNS1_11target_archE910ELNS1_3gpuE8ELNS1_3repE0EEENS1_30default_config_static_selectorELNS0_4arch9wavefront6targetE0EEEvST_
	.globl	_ZN7rocprim17ROCPRIM_400000_NS6detail17trampoline_kernelINS0_14default_configENS1_29binary_search_config_selectorIiiEEZNS1_14transform_implILb0ES3_S5_N6thrust23THRUST_200600_302600_NS6detail15normal_iteratorINS8_7pointerIiNS8_11hip_rocprim3tagENS8_11use_defaultESE_EEEESG_ZNS1_13binary_searchIS3_S5_NSA_INS8_10device_ptrIiEEEESG_SG_NS1_16binary_search_opENS9_16wrapped_functionINS8_7greaterIiEEbEEEE10hipError_tPvRmT1_T2_T3_mmT4_T5_P12ihipStream_tbEUlRKiE_EESQ_SU_SV_mSW_SZ_bEUlT_E_NS1_11comp_targetILNS1_3genE4ELNS1_11target_archE910ELNS1_3gpuE8ELNS1_3repE0EEENS1_30default_config_static_selectorELNS0_4arch9wavefront6targetE0EEEvST_
	.p2align	8
	.type	_ZN7rocprim17ROCPRIM_400000_NS6detail17trampoline_kernelINS0_14default_configENS1_29binary_search_config_selectorIiiEEZNS1_14transform_implILb0ES3_S5_N6thrust23THRUST_200600_302600_NS6detail15normal_iteratorINS8_7pointerIiNS8_11hip_rocprim3tagENS8_11use_defaultESE_EEEESG_ZNS1_13binary_searchIS3_S5_NSA_INS8_10device_ptrIiEEEESG_SG_NS1_16binary_search_opENS9_16wrapped_functionINS8_7greaterIiEEbEEEE10hipError_tPvRmT1_T2_T3_mmT4_T5_P12ihipStream_tbEUlRKiE_EESQ_SU_SV_mSW_SZ_bEUlT_E_NS1_11comp_targetILNS1_3genE4ELNS1_11target_archE910ELNS1_3gpuE8ELNS1_3repE0EEENS1_30default_config_static_selectorELNS0_4arch9wavefront6targetE0EEEvST_,@function
_ZN7rocprim17ROCPRIM_400000_NS6detail17trampoline_kernelINS0_14default_configENS1_29binary_search_config_selectorIiiEEZNS1_14transform_implILb0ES3_S5_N6thrust23THRUST_200600_302600_NS6detail15normal_iteratorINS8_7pointerIiNS8_11hip_rocprim3tagENS8_11use_defaultESE_EEEESG_ZNS1_13binary_searchIS3_S5_NSA_INS8_10device_ptrIiEEEESG_SG_NS1_16binary_search_opENS9_16wrapped_functionINS8_7greaterIiEEbEEEE10hipError_tPvRmT1_T2_T3_mmT4_T5_P12ihipStream_tbEUlRKiE_EESQ_SU_SV_mSW_SZ_bEUlT_E_NS1_11comp_targetILNS1_3genE4ELNS1_11target_archE910ELNS1_3gpuE8ELNS1_3repE0EEENS1_30default_config_static_selectorELNS0_4arch9wavefront6targetE0EEEvST_: ; @_ZN7rocprim17ROCPRIM_400000_NS6detail17trampoline_kernelINS0_14default_configENS1_29binary_search_config_selectorIiiEEZNS1_14transform_implILb0ES3_S5_N6thrust23THRUST_200600_302600_NS6detail15normal_iteratorINS8_7pointerIiNS8_11hip_rocprim3tagENS8_11use_defaultESE_EEEESG_ZNS1_13binary_searchIS3_S5_NSA_INS8_10device_ptrIiEEEESG_SG_NS1_16binary_search_opENS9_16wrapped_functionINS8_7greaterIiEEbEEEE10hipError_tPvRmT1_T2_T3_mmT4_T5_P12ihipStream_tbEUlRKiE_EESQ_SU_SV_mSW_SZ_bEUlT_E_NS1_11comp_targetILNS1_3genE4ELNS1_11target_archE910ELNS1_3gpuE8ELNS1_3repE0EEENS1_30default_config_static_selectorELNS0_4arch9wavefront6targetE0EEEvST_
; %bb.0:
	.section	.rodata,"a",@progbits
	.p2align	6, 0x0
	.amdhsa_kernel _ZN7rocprim17ROCPRIM_400000_NS6detail17trampoline_kernelINS0_14default_configENS1_29binary_search_config_selectorIiiEEZNS1_14transform_implILb0ES3_S5_N6thrust23THRUST_200600_302600_NS6detail15normal_iteratorINS8_7pointerIiNS8_11hip_rocprim3tagENS8_11use_defaultESE_EEEESG_ZNS1_13binary_searchIS3_S5_NSA_INS8_10device_ptrIiEEEESG_SG_NS1_16binary_search_opENS9_16wrapped_functionINS8_7greaterIiEEbEEEE10hipError_tPvRmT1_T2_T3_mmT4_T5_P12ihipStream_tbEUlRKiE_EESQ_SU_SV_mSW_SZ_bEUlT_E_NS1_11comp_targetILNS1_3genE4ELNS1_11target_archE910ELNS1_3gpuE8ELNS1_3repE0EEENS1_30default_config_static_selectorELNS0_4arch9wavefront6targetE0EEEvST_
		.amdhsa_group_segment_fixed_size 0
		.amdhsa_private_segment_fixed_size 0
		.amdhsa_kernarg_size 56
		.amdhsa_user_sgpr_count 2
		.amdhsa_user_sgpr_dispatch_ptr 0
		.amdhsa_user_sgpr_queue_ptr 0
		.amdhsa_user_sgpr_kernarg_segment_ptr 1
		.amdhsa_user_sgpr_dispatch_id 0
		.amdhsa_user_sgpr_kernarg_preload_length 0
		.amdhsa_user_sgpr_kernarg_preload_offset 0
		.amdhsa_user_sgpr_private_segment_size 0
		.amdhsa_wavefront_size32 1
		.amdhsa_uses_dynamic_stack 0
		.amdhsa_enable_private_segment 0
		.amdhsa_system_sgpr_workgroup_id_x 1
		.amdhsa_system_sgpr_workgroup_id_y 0
		.amdhsa_system_sgpr_workgroup_id_z 0
		.amdhsa_system_sgpr_workgroup_info 0
		.amdhsa_system_vgpr_workitem_id 0
		.amdhsa_next_free_vgpr 1
		.amdhsa_next_free_sgpr 1
		.amdhsa_named_barrier_count 0
		.amdhsa_reserve_vcc 0
		.amdhsa_float_round_mode_32 0
		.amdhsa_float_round_mode_16_64 0
		.amdhsa_float_denorm_mode_32 3
		.amdhsa_float_denorm_mode_16_64 3
		.amdhsa_fp16_overflow 0
		.amdhsa_memory_ordered 1
		.amdhsa_forward_progress 1
		.amdhsa_inst_pref_size 0
		.amdhsa_round_robin_scheduling 0
		.amdhsa_exception_fp_ieee_invalid_op 0
		.amdhsa_exception_fp_denorm_src 0
		.amdhsa_exception_fp_ieee_div_zero 0
		.amdhsa_exception_fp_ieee_overflow 0
		.amdhsa_exception_fp_ieee_underflow 0
		.amdhsa_exception_fp_ieee_inexact 0
		.amdhsa_exception_int_div_zero 0
	.end_amdhsa_kernel
	.section	.text._ZN7rocprim17ROCPRIM_400000_NS6detail17trampoline_kernelINS0_14default_configENS1_29binary_search_config_selectorIiiEEZNS1_14transform_implILb0ES3_S5_N6thrust23THRUST_200600_302600_NS6detail15normal_iteratorINS8_7pointerIiNS8_11hip_rocprim3tagENS8_11use_defaultESE_EEEESG_ZNS1_13binary_searchIS3_S5_NSA_INS8_10device_ptrIiEEEESG_SG_NS1_16binary_search_opENS9_16wrapped_functionINS8_7greaterIiEEbEEEE10hipError_tPvRmT1_T2_T3_mmT4_T5_P12ihipStream_tbEUlRKiE_EESQ_SU_SV_mSW_SZ_bEUlT_E_NS1_11comp_targetILNS1_3genE4ELNS1_11target_archE910ELNS1_3gpuE8ELNS1_3repE0EEENS1_30default_config_static_selectorELNS0_4arch9wavefront6targetE0EEEvST_,"axG",@progbits,_ZN7rocprim17ROCPRIM_400000_NS6detail17trampoline_kernelINS0_14default_configENS1_29binary_search_config_selectorIiiEEZNS1_14transform_implILb0ES3_S5_N6thrust23THRUST_200600_302600_NS6detail15normal_iteratorINS8_7pointerIiNS8_11hip_rocprim3tagENS8_11use_defaultESE_EEEESG_ZNS1_13binary_searchIS3_S5_NSA_INS8_10device_ptrIiEEEESG_SG_NS1_16binary_search_opENS9_16wrapped_functionINS8_7greaterIiEEbEEEE10hipError_tPvRmT1_T2_T3_mmT4_T5_P12ihipStream_tbEUlRKiE_EESQ_SU_SV_mSW_SZ_bEUlT_E_NS1_11comp_targetILNS1_3genE4ELNS1_11target_archE910ELNS1_3gpuE8ELNS1_3repE0EEENS1_30default_config_static_selectorELNS0_4arch9wavefront6targetE0EEEvST_,comdat
.Lfunc_end160:
	.size	_ZN7rocprim17ROCPRIM_400000_NS6detail17trampoline_kernelINS0_14default_configENS1_29binary_search_config_selectorIiiEEZNS1_14transform_implILb0ES3_S5_N6thrust23THRUST_200600_302600_NS6detail15normal_iteratorINS8_7pointerIiNS8_11hip_rocprim3tagENS8_11use_defaultESE_EEEESG_ZNS1_13binary_searchIS3_S5_NSA_INS8_10device_ptrIiEEEESG_SG_NS1_16binary_search_opENS9_16wrapped_functionINS8_7greaterIiEEbEEEE10hipError_tPvRmT1_T2_T3_mmT4_T5_P12ihipStream_tbEUlRKiE_EESQ_SU_SV_mSW_SZ_bEUlT_E_NS1_11comp_targetILNS1_3genE4ELNS1_11target_archE910ELNS1_3gpuE8ELNS1_3repE0EEENS1_30default_config_static_selectorELNS0_4arch9wavefront6targetE0EEEvST_, .Lfunc_end160-_ZN7rocprim17ROCPRIM_400000_NS6detail17trampoline_kernelINS0_14default_configENS1_29binary_search_config_selectorIiiEEZNS1_14transform_implILb0ES3_S5_N6thrust23THRUST_200600_302600_NS6detail15normal_iteratorINS8_7pointerIiNS8_11hip_rocprim3tagENS8_11use_defaultESE_EEEESG_ZNS1_13binary_searchIS3_S5_NSA_INS8_10device_ptrIiEEEESG_SG_NS1_16binary_search_opENS9_16wrapped_functionINS8_7greaterIiEEbEEEE10hipError_tPvRmT1_T2_T3_mmT4_T5_P12ihipStream_tbEUlRKiE_EESQ_SU_SV_mSW_SZ_bEUlT_E_NS1_11comp_targetILNS1_3genE4ELNS1_11target_archE910ELNS1_3gpuE8ELNS1_3repE0EEENS1_30default_config_static_selectorELNS0_4arch9wavefront6targetE0EEEvST_
                                        ; -- End function
	.set _ZN7rocprim17ROCPRIM_400000_NS6detail17trampoline_kernelINS0_14default_configENS1_29binary_search_config_selectorIiiEEZNS1_14transform_implILb0ES3_S5_N6thrust23THRUST_200600_302600_NS6detail15normal_iteratorINS8_7pointerIiNS8_11hip_rocprim3tagENS8_11use_defaultESE_EEEESG_ZNS1_13binary_searchIS3_S5_NSA_INS8_10device_ptrIiEEEESG_SG_NS1_16binary_search_opENS9_16wrapped_functionINS8_7greaterIiEEbEEEE10hipError_tPvRmT1_T2_T3_mmT4_T5_P12ihipStream_tbEUlRKiE_EESQ_SU_SV_mSW_SZ_bEUlT_E_NS1_11comp_targetILNS1_3genE4ELNS1_11target_archE910ELNS1_3gpuE8ELNS1_3repE0EEENS1_30default_config_static_selectorELNS0_4arch9wavefront6targetE0EEEvST_.num_vgpr, 0
	.set _ZN7rocprim17ROCPRIM_400000_NS6detail17trampoline_kernelINS0_14default_configENS1_29binary_search_config_selectorIiiEEZNS1_14transform_implILb0ES3_S5_N6thrust23THRUST_200600_302600_NS6detail15normal_iteratorINS8_7pointerIiNS8_11hip_rocprim3tagENS8_11use_defaultESE_EEEESG_ZNS1_13binary_searchIS3_S5_NSA_INS8_10device_ptrIiEEEESG_SG_NS1_16binary_search_opENS9_16wrapped_functionINS8_7greaterIiEEbEEEE10hipError_tPvRmT1_T2_T3_mmT4_T5_P12ihipStream_tbEUlRKiE_EESQ_SU_SV_mSW_SZ_bEUlT_E_NS1_11comp_targetILNS1_3genE4ELNS1_11target_archE910ELNS1_3gpuE8ELNS1_3repE0EEENS1_30default_config_static_selectorELNS0_4arch9wavefront6targetE0EEEvST_.num_agpr, 0
	.set _ZN7rocprim17ROCPRIM_400000_NS6detail17trampoline_kernelINS0_14default_configENS1_29binary_search_config_selectorIiiEEZNS1_14transform_implILb0ES3_S5_N6thrust23THRUST_200600_302600_NS6detail15normal_iteratorINS8_7pointerIiNS8_11hip_rocprim3tagENS8_11use_defaultESE_EEEESG_ZNS1_13binary_searchIS3_S5_NSA_INS8_10device_ptrIiEEEESG_SG_NS1_16binary_search_opENS9_16wrapped_functionINS8_7greaterIiEEbEEEE10hipError_tPvRmT1_T2_T3_mmT4_T5_P12ihipStream_tbEUlRKiE_EESQ_SU_SV_mSW_SZ_bEUlT_E_NS1_11comp_targetILNS1_3genE4ELNS1_11target_archE910ELNS1_3gpuE8ELNS1_3repE0EEENS1_30default_config_static_selectorELNS0_4arch9wavefront6targetE0EEEvST_.numbered_sgpr, 0
	.set _ZN7rocprim17ROCPRIM_400000_NS6detail17trampoline_kernelINS0_14default_configENS1_29binary_search_config_selectorIiiEEZNS1_14transform_implILb0ES3_S5_N6thrust23THRUST_200600_302600_NS6detail15normal_iteratorINS8_7pointerIiNS8_11hip_rocprim3tagENS8_11use_defaultESE_EEEESG_ZNS1_13binary_searchIS3_S5_NSA_INS8_10device_ptrIiEEEESG_SG_NS1_16binary_search_opENS9_16wrapped_functionINS8_7greaterIiEEbEEEE10hipError_tPvRmT1_T2_T3_mmT4_T5_P12ihipStream_tbEUlRKiE_EESQ_SU_SV_mSW_SZ_bEUlT_E_NS1_11comp_targetILNS1_3genE4ELNS1_11target_archE910ELNS1_3gpuE8ELNS1_3repE0EEENS1_30default_config_static_selectorELNS0_4arch9wavefront6targetE0EEEvST_.num_named_barrier, 0
	.set _ZN7rocprim17ROCPRIM_400000_NS6detail17trampoline_kernelINS0_14default_configENS1_29binary_search_config_selectorIiiEEZNS1_14transform_implILb0ES3_S5_N6thrust23THRUST_200600_302600_NS6detail15normal_iteratorINS8_7pointerIiNS8_11hip_rocprim3tagENS8_11use_defaultESE_EEEESG_ZNS1_13binary_searchIS3_S5_NSA_INS8_10device_ptrIiEEEESG_SG_NS1_16binary_search_opENS9_16wrapped_functionINS8_7greaterIiEEbEEEE10hipError_tPvRmT1_T2_T3_mmT4_T5_P12ihipStream_tbEUlRKiE_EESQ_SU_SV_mSW_SZ_bEUlT_E_NS1_11comp_targetILNS1_3genE4ELNS1_11target_archE910ELNS1_3gpuE8ELNS1_3repE0EEENS1_30default_config_static_selectorELNS0_4arch9wavefront6targetE0EEEvST_.private_seg_size, 0
	.set _ZN7rocprim17ROCPRIM_400000_NS6detail17trampoline_kernelINS0_14default_configENS1_29binary_search_config_selectorIiiEEZNS1_14transform_implILb0ES3_S5_N6thrust23THRUST_200600_302600_NS6detail15normal_iteratorINS8_7pointerIiNS8_11hip_rocprim3tagENS8_11use_defaultESE_EEEESG_ZNS1_13binary_searchIS3_S5_NSA_INS8_10device_ptrIiEEEESG_SG_NS1_16binary_search_opENS9_16wrapped_functionINS8_7greaterIiEEbEEEE10hipError_tPvRmT1_T2_T3_mmT4_T5_P12ihipStream_tbEUlRKiE_EESQ_SU_SV_mSW_SZ_bEUlT_E_NS1_11comp_targetILNS1_3genE4ELNS1_11target_archE910ELNS1_3gpuE8ELNS1_3repE0EEENS1_30default_config_static_selectorELNS0_4arch9wavefront6targetE0EEEvST_.uses_vcc, 0
	.set _ZN7rocprim17ROCPRIM_400000_NS6detail17trampoline_kernelINS0_14default_configENS1_29binary_search_config_selectorIiiEEZNS1_14transform_implILb0ES3_S5_N6thrust23THRUST_200600_302600_NS6detail15normal_iteratorINS8_7pointerIiNS8_11hip_rocprim3tagENS8_11use_defaultESE_EEEESG_ZNS1_13binary_searchIS3_S5_NSA_INS8_10device_ptrIiEEEESG_SG_NS1_16binary_search_opENS9_16wrapped_functionINS8_7greaterIiEEbEEEE10hipError_tPvRmT1_T2_T3_mmT4_T5_P12ihipStream_tbEUlRKiE_EESQ_SU_SV_mSW_SZ_bEUlT_E_NS1_11comp_targetILNS1_3genE4ELNS1_11target_archE910ELNS1_3gpuE8ELNS1_3repE0EEENS1_30default_config_static_selectorELNS0_4arch9wavefront6targetE0EEEvST_.uses_flat_scratch, 0
	.set _ZN7rocprim17ROCPRIM_400000_NS6detail17trampoline_kernelINS0_14default_configENS1_29binary_search_config_selectorIiiEEZNS1_14transform_implILb0ES3_S5_N6thrust23THRUST_200600_302600_NS6detail15normal_iteratorINS8_7pointerIiNS8_11hip_rocprim3tagENS8_11use_defaultESE_EEEESG_ZNS1_13binary_searchIS3_S5_NSA_INS8_10device_ptrIiEEEESG_SG_NS1_16binary_search_opENS9_16wrapped_functionINS8_7greaterIiEEbEEEE10hipError_tPvRmT1_T2_T3_mmT4_T5_P12ihipStream_tbEUlRKiE_EESQ_SU_SV_mSW_SZ_bEUlT_E_NS1_11comp_targetILNS1_3genE4ELNS1_11target_archE910ELNS1_3gpuE8ELNS1_3repE0EEENS1_30default_config_static_selectorELNS0_4arch9wavefront6targetE0EEEvST_.has_dyn_sized_stack, 0
	.set _ZN7rocprim17ROCPRIM_400000_NS6detail17trampoline_kernelINS0_14default_configENS1_29binary_search_config_selectorIiiEEZNS1_14transform_implILb0ES3_S5_N6thrust23THRUST_200600_302600_NS6detail15normal_iteratorINS8_7pointerIiNS8_11hip_rocprim3tagENS8_11use_defaultESE_EEEESG_ZNS1_13binary_searchIS3_S5_NSA_INS8_10device_ptrIiEEEESG_SG_NS1_16binary_search_opENS9_16wrapped_functionINS8_7greaterIiEEbEEEE10hipError_tPvRmT1_T2_T3_mmT4_T5_P12ihipStream_tbEUlRKiE_EESQ_SU_SV_mSW_SZ_bEUlT_E_NS1_11comp_targetILNS1_3genE4ELNS1_11target_archE910ELNS1_3gpuE8ELNS1_3repE0EEENS1_30default_config_static_selectorELNS0_4arch9wavefront6targetE0EEEvST_.has_recursion, 0
	.set _ZN7rocprim17ROCPRIM_400000_NS6detail17trampoline_kernelINS0_14default_configENS1_29binary_search_config_selectorIiiEEZNS1_14transform_implILb0ES3_S5_N6thrust23THRUST_200600_302600_NS6detail15normal_iteratorINS8_7pointerIiNS8_11hip_rocprim3tagENS8_11use_defaultESE_EEEESG_ZNS1_13binary_searchIS3_S5_NSA_INS8_10device_ptrIiEEEESG_SG_NS1_16binary_search_opENS9_16wrapped_functionINS8_7greaterIiEEbEEEE10hipError_tPvRmT1_T2_T3_mmT4_T5_P12ihipStream_tbEUlRKiE_EESQ_SU_SV_mSW_SZ_bEUlT_E_NS1_11comp_targetILNS1_3genE4ELNS1_11target_archE910ELNS1_3gpuE8ELNS1_3repE0EEENS1_30default_config_static_selectorELNS0_4arch9wavefront6targetE0EEEvST_.has_indirect_call, 0
	.section	.AMDGPU.csdata,"",@progbits
; Kernel info:
; codeLenInByte = 0
; TotalNumSgprs: 0
; NumVgprs: 0
; ScratchSize: 0
; MemoryBound: 0
; FloatMode: 240
; IeeeMode: 1
; LDSByteSize: 0 bytes/workgroup (compile time only)
; SGPRBlocks: 0
; VGPRBlocks: 0
; NumSGPRsForWavesPerEU: 1
; NumVGPRsForWavesPerEU: 1
; NamedBarCnt: 0
; Occupancy: 16
; WaveLimiterHint : 0
; COMPUTE_PGM_RSRC2:SCRATCH_EN: 0
; COMPUTE_PGM_RSRC2:USER_SGPR: 2
; COMPUTE_PGM_RSRC2:TRAP_HANDLER: 0
; COMPUTE_PGM_RSRC2:TGID_X_EN: 1
; COMPUTE_PGM_RSRC2:TGID_Y_EN: 0
; COMPUTE_PGM_RSRC2:TGID_Z_EN: 0
; COMPUTE_PGM_RSRC2:TIDIG_COMP_CNT: 0
	.section	.text._ZN7rocprim17ROCPRIM_400000_NS6detail17trampoline_kernelINS0_14default_configENS1_29binary_search_config_selectorIiiEEZNS1_14transform_implILb0ES3_S5_N6thrust23THRUST_200600_302600_NS6detail15normal_iteratorINS8_7pointerIiNS8_11hip_rocprim3tagENS8_11use_defaultESE_EEEESG_ZNS1_13binary_searchIS3_S5_NSA_INS8_10device_ptrIiEEEESG_SG_NS1_16binary_search_opENS9_16wrapped_functionINS8_7greaterIiEEbEEEE10hipError_tPvRmT1_T2_T3_mmT4_T5_P12ihipStream_tbEUlRKiE_EESQ_SU_SV_mSW_SZ_bEUlT_E_NS1_11comp_targetILNS1_3genE3ELNS1_11target_archE908ELNS1_3gpuE7ELNS1_3repE0EEENS1_30default_config_static_selectorELNS0_4arch9wavefront6targetE0EEEvST_,"axG",@progbits,_ZN7rocprim17ROCPRIM_400000_NS6detail17trampoline_kernelINS0_14default_configENS1_29binary_search_config_selectorIiiEEZNS1_14transform_implILb0ES3_S5_N6thrust23THRUST_200600_302600_NS6detail15normal_iteratorINS8_7pointerIiNS8_11hip_rocprim3tagENS8_11use_defaultESE_EEEESG_ZNS1_13binary_searchIS3_S5_NSA_INS8_10device_ptrIiEEEESG_SG_NS1_16binary_search_opENS9_16wrapped_functionINS8_7greaterIiEEbEEEE10hipError_tPvRmT1_T2_T3_mmT4_T5_P12ihipStream_tbEUlRKiE_EESQ_SU_SV_mSW_SZ_bEUlT_E_NS1_11comp_targetILNS1_3genE3ELNS1_11target_archE908ELNS1_3gpuE7ELNS1_3repE0EEENS1_30default_config_static_selectorELNS0_4arch9wavefront6targetE0EEEvST_,comdat
	.protected	_ZN7rocprim17ROCPRIM_400000_NS6detail17trampoline_kernelINS0_14default_configENS1_29binary_search_config_selectorIiiEEZNS1_14transform_implILb0ES3_S5_N6thrust23THRUST_200600_302600_NS6detail15normal_iteratorINS8_7pointerIiNS8_11hip_rocprim3tagENS8_11use_defaultESE_EEEESG_ZNS1_13binary_searchIS3_S5_NSA_INS8_10device_ptrIiEEEESG_SG_NS1_16binary_search_opENS9_16wrapped_functionINS8_7greaterIiEEbEEEE10hipError_tPvRmT1_T2_T3_mmT4_T5_P12ihipStream_tbEUlRKiE_EESQ_SU_SV_mSW_SZ_bEUlT_E_NS1_11comp_targetILNS1_3genE3ELNS1_11target_archE908ELNS1_3gpuE7ELNS1_3repE0EEENS1_30default_config_static_selectorELNS0_4arch9wavefront6targetE0EEEvST_ ; -- Begin function _ZN7rocprim17ROCPRIM_400000_NS6detail17trampoline_kernelINS0_14default_configENS1_29binary_search_config_selectorIiiEEZNS1_14transform_implILb0ES3_S5_N6thrust23THRUST_200600_302600_NS6detail15normal_iteratorINS8_7pointerIiNS8_11hip_rocprim3tagENS8_11use_defaultESE_EEEESG_ZNS1_13binary_searchIS3_S5_NSA_INS8_10device_ptrIiEEEESG_SG_NS1_16binary_search_opENS9_16wrapped_functionINS8_7greaterIiEEbEEEE10hipError_tPvRmT1_T2_T3_mmT4_T5_P12ihipStream_tbEUlRKiE_EESQ_SU_SV_mSW_SZ_bEUlT_E_NS1_11comp_targetILNS1_3genE3ELNS1_11target_archE908ELNS1_3gpuE7ELNS1_3repE0EEENS1_30default_config_static_selectorELNS0_4arch9wavefront6targetE0EEEvST_
	.globl	_ZN7rocprim17ROCPRIM_400000_NS6detail17trampoline_kernelINS0_14default_configENS1_29binary_search_config_selectorIiiEEZNS1_14transform_implILb0ES3_S5_N6thrust23THRUST_200600_302600_NS6detail15normal_iteratorINS8_7pointerIiNS8_11hip_rocprim3tagENS8_11use_defaultESE_EEEESG_ZNS1_13binary_searchIS3_S5_NSA_INS8_10device_ptrIiEEEESG_SG_NS1_16binary_search_opENS9_16wrapped_functionINS8_7greaterIiEEbEEEE10hipError_tPvRmT1_T2_T3_mmT4_T5_P12ihipStream_tbEUlRKiE_EESQ_SU_SV_mSW_SZ_bEUlT_E_NS1_11comp_targetILNS1_3genE3ELNS1_11target_archE908ELNS1_3gpuE7ELNS1_3repE0EEENS1_30default_config_static_selectorELNS0_4arch9wavefront6targetE0EEEvST_
	.p2align	8
	.type	_ZN7rocprim17ROCPRIM_400000_NS6detail17trampoline_kernelINS0_14default_configENS1_29binary_search_config_selectorIiiEEZNS1_14transform_implILb0ES3_S5_N6thrust23THRUST_200600_302600_NS6detail15normal_iteratorINS8_7pointerIiNS8_11hip_rocprim3tagENS8_11use_defaultESE_EEEESG_ZNS1_13binary_searchIS3_S5_NSA_INS8_10device_ptrIiEEEESG_SG_NS1_16binary_search_opENS9_16wrapped_functionINS8_7greaterIiEEbEEEE10hipError_tPvRmT1_T2_T3_mmT4_T5_P12ihipStream_tbEUlRKiE_EESQ_SU_SV_mSW_SZ_bEUlT_E_NS1_11comp_targetILNS1_3genE3ELNS1_11target_archE908ELNS1_3gpuE7ELNS1_3repE0EEENS1_30default_config_static_selectorELNS0_4arch9wavefront6targetE0EEEvST_,@function
_ZN7rocprim17ROCPRIM_400000_NS6detail17trampoline_kernelINS0_14default_configENS1_29binary_search_config_selectorIiiEEZNS1_14transform_implILb0ES3_S5_N6thrust23THRUST_200600_302600_NS6detail15normal_iteratorINS8_7pointerIiNS8_11hip_rocprim3tagENS8_11use_defaultESE_EEEESG_ZNS1_13binary_searchIS3_S5_NSA_INS8_10device_ptrIiEEEESG_SG_NS1_16binary_search_opENS9_16wrapped_functionINS8_7greaterIiEEbEEEE10hipError_tPvRmT1_T2_T3_mmT4_T5_P12ihipStream_tbEUlRKiE_EESQ_SU_SV_mSW_SZ_bEUlT_E_NS1_11comp_targetILNS1_3genE3ELNS1_11target_archE908ELNS1_3gpuE7ELNS1_3repE0EEENS1_30default_config_static_selectorELNS0_4arch9wavefront6targetE0EEEvST_: ; @_ZN7rocprim17ROCPRIM_400000_NS6detail17trampoline_kernelINS0_14default_configENS1_29binary_search_config_selectorIiiEEZNS1_14transform_implILb0ES3_S5_N6thrust23THRUST_200600_302600_NS6detail15normal_iteratorINS8_7pointerIiNS8_11hip_rocprim3tagENS8_11use_defaultESE_EEEESG_ZNS1_13binary_searchIS3_S5_NSA_INS8_10device_ptrIiEEEESG_SG_NS1_16binary_search_opENS9_16wrapped_functionINS8_7greaterIiEEbEEEE10hipError_tPvRmT1_T2_T3_mmT4_T5_P12ihipStream_tbEUlRKiE_EESQ_SU_SV_mSW_SZ_bEUlT_E_NS1_11comp_targetILNS1_3genE3ELNS1_11target_archE908ELNS1_3gpuE7ELNS1_3repE0EEENS1_30default_config_static_selectorELNS0_4arch9wavefront6targetE0EEEvST_
; %bb.0:
	.section	.rodata,"a",@progbits
	.p2align	6, 0x0
	.amdhsa_kernel _ZN7rocprim17ROCPRIM_400000_NS6detail17trampoline_kernelINS0_14default_configENS1_29binary_search_config_selectorIiiEEZNS1_14transform_implILb0ES3_S5_N6thrust23THRUST_200600_302600_NS6detail15normal_iteratorINS8_7pointerIiNS8_11hip_rocprim3tagENS8_11use_defaultESE_EEEESG_ZNS1_13binary_searchIS3_S5_NSA_INS8_10device_ptrIiEEEESG_SG_NS1_16binary_search_opENS9_16wrapped_functionINS8_7greaterIiEEbEEEE10hipError_tPvRmT1_T2_T3_mmT4_T5_P12ihipStream_tbEUlRKiE_EESQ_SU_SV_mSW_SZ_bEUlT_E_NS1_11comp_targetILNS1_3genE3ELNS1_11target_archE908ELNS1_3gpuE7ELNS1_3repE0EEENS1_30default_config_static_selectorELNS0_4arch9wavefront6targetE0EEEvST_
		.amdhsa_group_segment_fixed_size 0
		.amdhsa_private_segment_fixed_size 0
		.amdhsa_kernarg_size 56
		.amdhsa_user_sgpr_count 2
		.amdhsa_user_sgpr_dispatch_ptr 0
		.amdhsa_user_sgpr_queue_ptr 0
		.amdhsa_user_sgpr_kernarg_segment_ptr 1
		.amdhsa_user_sgpr_dispatch_id 0
		.amdhsa_user_sgpr_kernarg_preload_length 0
		.amdhsa_user_sgpr_kernarg_preload_offset 0
		.amdhsa_user_sgpr_private_segment_size 0
		.amdhsa_wavefront_size32 1
		.amdhsa_uses_dynamic_stack 0
		.amdhsa_enable_private_segment 0
		.amdhsa_system_sgpr_workgroup_id_x 1
		.amdhsa_system_sgpr_workgroup_id_y 0
		.amdhsa_system_sgpr_workgroup_id_z 0
		.amdhsa_system_sgpr_workgroup_info 0
		.amdhsa_system_vgpr_workitem_id 0
		.amdhsa_next_free_vgpr 1
		.amdhsa_next_free_sgpr 1
		.amdhsa_named_barrier_count 0
		.amdhsa_reserve_vcc 0
		.amdhsa_float_round_mode_32 0
		.amdhsa_float_round_mode_16_64 0
		.amdhsa_float_denorm_mode_32 3
		.amdhsa_float_denorm_mode_16_64 3
		.amdhsa_fp16_overflow 0
		.amdhsa_memory_ordered 1
		.amdhsa_forward_progress 1
		.amdhsa_inst_pref_size 0
		.amdhsa_round_robin_scheduling 0
		.amdhsa_exception_fp_ieee_invalid_op 0
		.amdhsa_exception_fp_denorm_src 0
		.amdhsa_exception_fp_ieee_div_zero 0
		.amdhsa_exception_fp_ieee_overflow 0
		.amdhsa_exception_fp_ieee_underflow 0
		.amdhsa_exception_fp_ieee_inexact 0
		.amdhsa_exception_int_div_zero 0
	.end_amdhsa_kernel
	.section	.text._ZN7rocprim17ROCPRIM_400000_NS6detail17trampoline_kernelINS0_14default_configENS1_29binary_search_config_selectorIiiEEZNS1_14transform_implILb0ES3_S5_N6thrust23THRUST_200600_302600_NS6detail15normal_iteratorINS8_7pointerIiNS8_11hip_rocprim3tagENS8_11use_defaultESE_EEEESG_ZNS1_13binary_searchIS3_S5_NSA_INS8_10device_ptrIiEEEESG_SG_NS1_16binary_search_opENS9_16wrapped_functionINS8_7greaterIiEEbEEEE10hipError_tPvRmT1_T2_T3_mmT4_T5_P12ihipStream_tbEUlRKiE_EESQ_SU_SV_mSW_SZ_bEUlT_E_NS1_11comp_targetILNS1_3genE3ELNS1_11target_archE908ELNS1_3gpuE7ELNS1_3repE0EEENS1_30default_config_static_selectorELNS0_4arch9wavefront6targetE0EEEvST_,"axG",@progbits,_ZN7rocprim17ROCPRIM_400000_NS6detail17trampoline_kernelINS0_14default_configENS1_29binary_search_config_selectorIiiEEZNS1_14transform_implILb0ES3_S5_N6thrust23THRUST_200600_302600_NS6detail15normal_iteratorINS8_7pointerIiNS8_11hip_rocprim3tagENS8_11use_defaultESE_EEEESG_ZNS1_13binary_searchIS3_S5_NSA_INS8_10device_ptrIiEEEESG_SG_NS1_16binary_search_opENS9_16wrapped_functionINS8_7greaterIiEEbEEEE10hipError_tPvRmT1_T2_T3_mmT4_T5_P12ihipStream_tbEUlRKiE_EESQ_SU_SV_mSW_SZ_bEUlT_E_NS1_11comp_targetILNS1_3genE3ELNS1_11target_archE908ELNS1_3gpuE7ELNS1_3repE0EEENS1_30default_config_static_selectorELNS0_4arch9wavefront6targetE0EEEvST_,comdat
.Lfunc_end161:
	.size	_ZN7rocprim17ROCPRIM_400000_NS6detail17trampoline_kernelINS0_14default_configENS1_29binary_search_config_selectorIiiEEZNS1_14transform_implILb0ES3_S5_N6thrust23THRUST_200600_302600_NS6detail15normal_iteratorINS8_7pointerIiNS8_11hip_rocprim3tagENS8_11use_defaultESE_EEEESG_ZNS1_13binary_searchIS3_S5_NSA_INS8_10device_ptrIiEEEESG_SG_NS1_16binary_search_opENS9_16wrapped_functionINS8_7greaterIiEEbEEEE10hipError_tPvRmT1_T2_T3_mmT4_T5_P12ihipStream_tbEUlRKiE_EESQ_SU_SV_mSW_SZ_bEUlT_E_NS1_11comp_targetILNS1_3genE3ELNS1_11target_archE908ELNS1_3gpuE7ELNS1_3repE0EEENS1_30default_config_static_selectorELNS0_4arch9wavefront6targetE0EEEvST_, .Lfunc_end161-_ZN7rocprim17ROCPRIM_400000_NS6detail17trampoline_kernelINS0_14default_configENS1_29binary_search_config_selectorIiiEEZNS1_14transform_implILb0ES3_S5_N6thrust23THRUST_200600_302600_NS6detail15normal_iteratorINS8_7pointerIiNS8_11hip_rocprim3tagENS8_11use_defaultESE_EEEESG_ZNS1_13binary_searchIS3_S5_NSA_INS8_10device_ptrIiEEEESG_SG_NS1_16binary_search_opENS9_16wrapped_functionINS8_7greaterIiEEbEEEE10hipError_tPvRmT1_T2_T3_mmT4_T5_P12ihipStream_tbEUlRKiE_EESQ_SU_SV_mSW_SZ_bEUlT_E_NS1_11comp_targetILNS1_3genE3ELNS1_11target_archE908ELNS1_3gpuE7ELNS1_3repE0EEENS1_30default_config_static_selectorELNS0_4arch9wavefront6targetE0EEEvST_
                                        ; -- End function
	.set _ZN7rocprim17ROCPRIM_400000_NS6detail17trampoline_kernelINS0_14default_configENS1_29binary_search_config_selectorIiiEEZNS1_14transform_implILb0ES3_S5_N6thrust23THRUST_200600_302600_NS6detail15normal_iteratorINS8_7pointerIiNS8_11hip_rocprim3tagENS8_11use_defaultESE_EEEESG_ZNS1_13binary_searchIS3_S5_NSA_INS8_10device_ptrIiEEEESG_SG_NS1_16binary_search_opENS9_16wrapped_functionINS8_7greaterIiEEbEEEE10hipError_tPvRmT1_T2_T3_mmT4_T5_P12ihipStream_tbEUlRKiE_EESQ_SU_SV_mSW_SZ_bEUlT_E_NS1_11comp_targetILNS1_3genE3ELNS1_11target_archE908ELNS1_3gpuE7ELNS1_3repE0EEENS1_30default_config_static_selectorELNS0_4arch9wavefront6targetE0EEEvST_.num_vgpr, 0
	.set _ZN7rocprim17ROCPRIM_400000_NS6detail17trampoline_kernelINS0_14default_configENS1_29binary_search_config_selectorIiiEEZNS1_14transform_implILb0ES3_S5_N6thrust23THRUST_200600_302600_NS6detail15normal_iteratorINS8_7pointerIiNS8_11hip_rocprim3tagENS8_11use_defaultESE_EEEESG_ZNS1_13binary_searchIS3_S5_NSA_INS8_10device_ptrIiEEEESG_SG_NS1_16binary_search_opENS9_16wrapped_functionINS8_7greaterIiEEbEEEE10hipError_tPvRmT1_T2_T3_mmT4_T5_P12ihipStream_tbEUlRKiE_EESQ_SU_SV_mSW_SZ_bEUlT_E_NS1_11comp_targetILNS1_3genE3ELNS1_11target_archE908ELNS1_3gpuE7ELNS1_3repE0EEENS1_30default_config_static_selectorELNS0_4arch9wavefront6targetE0EEEvST_.num_agpr, 0
	.set _ZN7rocprim17ROCPRIM_400000_NS6detail17trampoline_kernelINS0_14default_configENS1_29binary_search_config_selectorIiiEEZNS1_14transform_implILb0ES3_S5_N6thrust23THRUST_200600_302600_NS6detail15normal_iteratorINS8_7pointerIiNS8_11hip_rocprim3tagENS8_11use_defaultESE_EEEESG_ZNS1_13binary_searchIS3_S5_NSA_INS8_10device_ptrIiEEEESG_SG_NS1_16binary_search_opENS9_16wrapped_functionINS8_7greaterIiEEbEEEE10hipError_tPvRmT1_T2_T3_mmT4_T5_P12ihipStream_tbEUlRKiE_EESQ_SU_SV_mSW_SZ_bEUlT_E_NS1_11comp_targetILNS1_3genE3ELNS1_11target_archE908ELNS1_3gpuE7ELNS1_3repE0EEENS1_30default_config_static_selectorELNS0_4arch9wavefront6targetE0EEEvST_.numbered_sgpr, 0
	.set _ZN7rocprim17ROCPRIM_400000_NS6detail17trampoline_kernelINS0_14default_configENS1_29binary_search_config_selectorIiiEEZNS1_14transform_implILb0ES3_S5_N6thrust23THRUST_200600_302600_NS6detail15normal_iteratorINS8_7pointerIiNS8_11hip_rocprim3tagENS8_11use_defaultESE_EEEESG_ZNS1_13binary_searchIS3_S5_NSA_INS8_10device_ptrIiEEEESG_SG_NS1_16binary_search_opENS9_16wrapped_functionINS8_7greaterIiEEbEEEE10hipError_tPvRmT1_T2_T3_mmT4_T5_P12ihipStream_tbEUlRKiE_EESQ_SU_SV_mSW_SZ_bEUlT_E_NS1_11comp_targetILNS1_3genE3ELNS1_11target_archE908ELNS1_3gpuE7ELNS1_3repE0EEENS1_30default_config_static_selectorELNS0_4arch9wavefront6targetE0EEEvST_.num_named_barrier, 0
	.set _ZN7rocprim17ROCPRIM_400000_NS6detail17trampoline_kernelINS0_14default_configENS1_29binary_search_config_selectorIiiEEZNS1_14transform_implILb0ES3_S5_N6thrust23THRUST_200600_302600_NS6detail15normal_iteratorINS8_7pointerIiNS8_11hip_rocprim3tagENS8_11use_defaultESE_EEEESG_ZNS1_13binary_searchIS3_S5_NSA_INS8_10device_ptrIiEEEESG_SG_NS1_16binary_search_opENS9_16wrapped_functionINS8_7greaterIiEEbEEEE10hipError_tPvRmT1_T2_T3_mmT4_T5_P12ihipStream_tbEUlRKiE_EESQ_SU_SV_mSW_SZ_bEUlT_E_NS1_11comp_targetILNS1_3genE3ELNS1_11target_archE908ELNS1_3gpuE7ELNS1_3repE0EEENS1_30default_config_static_selectorELNS0_4arch9wavefront6targetE0EEEvST_.private_seg_size, 0
	.set _ZN7rocprim17ROCPRIM_400000_NS6detail17trampoline_kernelINS0_14default_configENS1_29binary_search_config_selectorIiiEEZNS1_14transform_implILb0ES3_S5_N6thrust23THRUST_200600_302600_NS6detail15normal_iteratorINS8_7pointerIiNS8_11hip_rocprim3tagENS8_11use_defaultESE_EEEESG_ZNS1_13binary_searchIS3_S5_NSA_INS8_10device_ptrIiEEEESG_SG_NS1_16binary_search_opENS9_16wrapped_functionINS8_7greaterIiEEbEEEE10hipError_tPvRmT1_T2_T3_mmT4_T5_P12ihipStream_tbEUlRKiE_EESQ_SU_SV_mSW_SZ_bEUlT_E_NS1_11comp_targetILNS1_3genE3ELNS1_11target_archE908ELNS1_3gpuE7ELNS1_3repE0EEENS1_30default_config_static_selectorELNS0_4arch9wavefront6targetE0EEEvST_.uses_vcc, 0
	.set _ZN7rocprim17ROCPRIM_400000_NS6detail17trampoline_kernelINS0_14default_configENS1_29binary_search_config_selectorIiiEEZNS1_14transform_implILb0ES3_S5_N6thrust23THRUST_200600_302600_NS6detail15normal_iteratorINS8_7pointerIiNS8_11hip_rocprim3tagENS8_11use_defaultESE_EEEESG_ZNS1_13binary_searchIS3_S5_NSA_INS8_10device_ptrIiEEEESG_SG_NS1_16binary_search_opENS9_16wrapped_functionINS8_7greaterIiEEbEEEE10hipError_tPvRmT1_T2_T3_mmT4_T5_P12ihipStream_tbEUlRKiE_EESQ_SU_SV_mSW_SZ_bEUlT_E_NS1_11comp_targetILNS1_3genE3ELNS1_11target_archE908ELNS1_3gpuE7ELNS1_3repE0EEENS1_30default_config_static_selectorELNS0_4arch9wavefront6targetE0EEEvST_.uses_flat_scratch, 0
	.set _ZN7rocprim17ROCPRIM_400000_NS6detail17trampoline_kernelINS0_14default_configENS1_29binary_search_config_selectorIiiEEZNS1_14transform_implILb0ES3_S5_N6thrust23THRUST_200600_302600_NS6detail15normal_iteratorINS8_7pointerIiNS8_11hip_rocprim3tagENS8_11use_defaultESE_EEEESG_ZNS1_13binary_searchIS3_S5_NSA_INS8_10device_ptrIiEEEESG_SG_NS1_16binary_search_opENS9_16wrapped_functionINS8_7greaterIiEEbEEEE10hipError_tPvRmT1_T2_T3_mmT4_T5_P12ihipStream_tbEUlRKiE_EESQ_SU_SV_mSW_SZ_bEUlT_E_NS1_11comp_targetILNS1_3genE3ELNS1_11target_archE908ELNS1_3gpuE7ELNS1_3repE0EEENS1_30default_config_static_selectorELNS0_4arch9wavefront6targetE0EEEvST_.has_dyn_sized_stack, 0
	.set _ZN7rocprim17ROCPRIM_400000_NS6detail17trampoline_kernelINS0_14default_configENS1_29binary_search_config_selectorIiiEEZNS1_14transform_implILb0ES3_S5_N6thrust23THRUST_200600_302600_NS6detail15normal_iteratorINS8_7pointerIiNS8_11hip_rocprim3tagENS8_11use_defaultESE_EEEESG_ZNS1_13binary_searchIS3_S5_NSA_INS8_10device_ptrIiEEEESG_SG_NS1_16binary_search_opENS9_16wrapped_functionINS8_7greaterIiEEbEEEE10hipError_tPvRmT1_T2_T3_mmT4_T5_P12ihipStream_tbEUlRKiE_EESQ_SU_SV_mSW_SZ_bEUlT_E_NS1_11comp_targetILNS1_3genE3ELNS1_11target_archE908ELNS1_3gpuE7ELNS1_3repE0EEENS1_30default_config_static_selectorELNS0_4arch9wavefront6targetE0EEEvST_.has_recursion, 0
	.set _ZN7rocprim17ROCPRIM_400000_NS6detail17trampoline_kernelINS0_14default_configENS1_29binary_search_config_selectorIiiEEZNS1_14transform_implILb0ES3_S5_N6thrust23THRUST_200600_302600_NS6detail15normal_iteratorINS8_7pointerIiNS8_11hip_rocprim3tagENS8_11use_defaultESE_EEEESG_ZNS1_13binary_searchIS3_S5_NSA_INS8_10device_ptrIiEEEESG_SG_NS1_16binary_search_opENS9_16wrapped_functionINS8_7greaterIiEEbEEEE10hipError_tPvRmT1_T2_T3_mmT4_T5_P12ihipStream_tbEUlRKiE_EESQ_SU_SV_mSW_SZ_bEUlT_E_NS1_11comp_targetILNS1_3genE3ELNS1_11target_archE908ELNS1_3gpuE7ELNS1_3repE0EEENS1_30default_config_static_selectorELNS0_4arch9wavefront6targetE0EEEvST_.has_indirect_call, 0
	.section	.AMDGPU.csdata,"",@progbits
; Kernel info:
; codeLenInByte = 0
; TotalNumSgprs: 0
; NumVgprs: 0
; ScratchSize: 0
; MemoryBound: 0
; FloatMode: 240
; IeeeMode: 1
; LDSByteSize: 0 bytes/workgroup (compile time only)
; SGPRBlocks: 0
; VGPRBlocks: 0
; NumSGPRsForWavesPerEU: 1
; NumVGPRsForWavesPerEU: 1
; NamedBarCnt: 0
; Occupancy: 16
; WaveLimiterHint : 0
; COMPUTE_PGM_RSRC2:SCRATCH_EN: 0
; COMPUTE_PGM_RSRC2:USER_SGPR: 2
; COMPUTE_PGM_RSRC2:TRAP_HANDLER: 0
; COMPUTE_PGM_RSRC2:TGID_X_EN: 1
; COMPUTE_PGM_RSRC2:TGID_Y_EN: 0
; COMPUTE_PGM_RSRC2:TGID_Z_EN: 0
; COMPUTE_PGM_RSRC2:TIDIG_COMP_CNT: 0
	.section	.text._ZN7rocprim17ROCPRIM_400000_NS6detail17trampoline_kernelINS0_14default_configENS1_29binary_search_config_selectorIiiEEZNS1_14transform_implILb0ES3_S5_N6thrust23THRUST_200600_302600_NS6detail15normal_iteratorINS8_7pointerIiNS8_11hip_rocprim3tagENS8_11use_defaultESE_EEEESG_ZNS1_13binary_searchIS3_S5_NSA_INS8_10device_ptrIiEEEESG_SG_NS1_16binary_search_opENS9_16wrapped_functionINS8_7greaterIiEEbEEEE10hipError_tPvRmT1_T2_T3_mmT4_T5_P12ihipStream_tbEUlRKiE_EESQ_SU_SV_mSW_SZ_bEUlT_E_NS1_11comp_targetILNS1_3genE2ELNS1_11target_archE906ELNS1_3gpuE6ELNS1_3repE0EEENS1_30default_config_static_selectorELNS0_4arch9wavefront6targetE0EEEvST_,"axG",@progbits,_ZN7rocprim17ROCPRIM_400000_NS6detail17trampoline_kernelINS0_14default_configENS1_29binary_search_config_selectorIiiEEZNS1_14transform_implILb0ES3_S5_N6thrust23THRUST_200600_302600_NS6detail15normal_iteratorINS8_7pointerIiNS8_11hip_rocprim3tagENS8_11use_defaultESE_EEEESG_ZNS1_13binary_searchIS3_S5_NSA_INS8_10device_ptrIiEEEESG_SG_NS1_16binary_search_opENS9_16wrapped_functionINS8_7greaterIiEEbEEEE10hipError_tPvRmT1_T2_T3_mmT4_T5_P12ihipStream_tbEUlRKiE_EESQ_SU_SV_mSW_SZ_bEUlT_E_NS1_11comp_targetILNS1_3genE2ELNS1_11target_archE906ELNS1_3gpuE6ELNS1_3repE0EEENS1_30default_config_static_selectorELNS0_4arch9wavefront6targetE0EEEvST_,comdat
	.protected	_ZN7rocprim17ROCPRIM_400000_NS6detail17trampoline_kernelINS0_14default_configENS1_29binary_search_config_selectorIiiEEZNS1_14transform_implILb0ES3_S5_N6thrust23THRUST_200600_302600_NS6detail15normal_iteratorINS8_7pointerIiNS8_11hip_rocprim3tagENS8_11use_defaultESE_EEEESG_ZNS1_13binary_searchIS3_S5_NSA_INS8_10device_ptrIiEEEESG_SG_NS1_16binary_search_opENS9_16wrapped_functionINS8_7greaterIiEEbEEEE10hipError_tPvRmT1_T2_T3_mmT4_T5_P12ihipStream_tbEUlRKiE_EESQ_SU_SV_mSW_SZ_bEUlT_E_NS1_11comp_targetILNS1_3genE2ELNS1_11target_archE906ELNS1_3gpuE6ELNS1_3repE0EEENS1_30default_config_static_selectorELNS0_4arch9wavefront6targetE0EEEvST_ ; -- Begin function _ZN7rocprim17ROCPRIM_400000_NS6detail17trampoline_kernelINS0_14default_configENS1_29binary_search_config_selectorIiiEEZNS1_14transform_implILb0ES3_S5_N6thrust23THRUST_200600_302600_NS6detail15normal_iteratorINS8_7pointerIiNS8_11hip_rocprim3tagENS8_11use_defaultESE_EEEESG_ZNS1_13binary_searchIS3_S5_NSA_INS8_10device_ptrIiEEEESG_SG_NS1_16binary_search_opENS9_16wrapped_functionINS8_7greaterIiEEbEEEE10hipError_tPvRmT1_T2_T3_mmT4_T5_P12ihipStream_tbEUlRKiE_EESQ_SU_SV_mSW_SZ_bEUlT_E_NS1_11comp_targetILNS1_3genE2ELNS1_11target_archE906ELNS1_3gpuE6ELNS1_3repE0EEENS1_30default_config_static_selectorELNS0_4arch9wavefront6targetE0EEEvST_
	.globl	_ZN7rocprim17ROCPRIM_400000_NS6detail17trampoline_kernelINS0_14default_configENS1_29binary_search_config_selectorIiiEEZNS1_14transform_implILb0ES3_S5_N6thrust23THRUST_200600_302600_NS6detail15normal_iteratorINS8_7pointerIiNS8_11hip_rocprim3tagENS8_11use_defaultESE_EEEESG_ZNS1_13binary_searchIS3_S5_NSA_INS8_10device_ptrIiEEEESG_SG_NS1_16binary_search_opENS9_16wrapped_functionINS8_7greaterIiEEbEEEE10hipError_tPvRmT1_T2_T3_mmT4_T5_P12ihipStream_tbEUlRKiE_EESQ_SU_SV_mSW_SZ_bEUlT_E_NS1_11comp_targetILNS1_3genE2ELNS1_11target_archE906ELNS1_3gpuE6ELNS1_3repE0EEENS1_30default_config_static_selectorELNS0_4arch9wavefront6targetE0EEEvST_
	.p2align	8
	.type	_ZN7rocprim17ROCPRIM_400000_NS6detail17trampoline_kernelINS0_14default_configENS1_29binary_search_config_selectorIiiEEZNS1_14transform_implILb0ES3_S5_N6thrust23THRUST_200600_302600_NS6detail15normal_iteratorINS8_7pointerIiNS8_11hip_rocprim3tagENS8_11use_defaultESE_EEEESG_ZNS1_13binary_searchIS3_S5_NSA_INS8_10device_ptrIiEEEESG_SG_NS1_16binary_search_opENS9_16wrapped_functionINS8_7greaterIiEEbEEEE10hipError_tPvRmT1_T2_T3_mmT4_T5_P12ihipStream_tbEUlRKiE_EESQ_SU_SV_mSW_SZ_bEUlT_E_NS1_11comp_targetILNS1_3genE2ELNS1_11target_archE906ELNS1_3gpuE6ELNS1_3repE0EEENS1_30default_config_static_selectorELNS0_4arch9wavefront6targetE0EEEvST_,@function
_ZN7rocprim17ROCPRIM_400000_NS6detail17trampoline_kernelINS0_14default_configENS1_29binary_search_config_selectorIiiEEZNS1_14transform_implILb0ES3_S5_N6thrust23THRUST_200600_302600_NS6detail15normal_iteratorINS8_7pointerIiNS8_11hip_rocprim3tagENS8_11use_defaultESE_EEEESG_ZNS1_13binary_searchIS3_S5_NSA_INS8_10device_ptrIiEEEESG_SG_NS1_16binary_search_opENS9_16wrapped_functionINS8_7greaterIiEEbEEEE10hipError_tPvRmT1_T2_T3_mmT4_T5_P12ihipStream_tbEUlRKiE_EESQ_SU_SV_mSW_SZ_bEUlT_E_NS1_11comp_targetILNS1_3genE2ELNS1_11target_archE906ELNS1_3gpuE6ELNS1_3repE0EEENS1_30default_config_static_selectorELNS0_4arch9wavefront6targetE0EEEvST_: ; @_ZN7rocprim17ROCPRIM_400000_NS6detail17trampoline_kernelINS0_14default_configENS1_29binary_search_config_selectorIiiEEZNS1_14transform_implILb0ES3_S5_N6thrust23THRUST_200600_302600_NS6detail15normal_iteratorINS8_7pointerIiNS8_11hip_rocprim3tagENS8_11use_defaultESE_EEEESG_ZNS1_13binary_searchIS3_S5_NSA_INS8_10device_ptrIiEEEESG_SG_NS1_16binary_search_opENS9_16wrapped_functionINS8_7greaterIiEEbEEEE10hipError_tPvRmT1_T2_T3_mmT4_T5_P12ihipStream_tbEUlRKiE_EESQ_SU_SV_mSW_SZ_bEUlT_E_NS1_11comp_targetILNS1_3genE2ELNS1_11target_archE906ELNS1_3gpuE6ELNS1_3repE0EEENS1_30default_config_static_selectorELNS0_4arch9wavefront6targetE0EEEvST_
; %bb.0:
	.section	.rodata,"a",@progbits
	.p2align	6, 0x0
	.amdhsa_kernel _ZN7rocprim17ROCPRIM_400000_NS6detail17trampoline_kernelINS0_14default_configENS1_29binary_search_config_selectorIiiEEZNS1_14transform_implILb0ES3_S5_N6thrust23THRUST_200600_302600_NS6detail15normal_iteratorINS8_7pointerIiNS8_11hip_rocprim3tagENS8_11use_defaultESE_EEEESG_ZNS1_13binary_searchIS3_S5_NSA_INS8_10device_ptrIiEEEESG_SG_NS1_16binary_search_opENS9_16wrapped_functionINS8_7greaterIiEEbEEEE10hipError_tPvRmT1_T2_T3_mmT4_T5_P12ihipStream_tbEUlRKiE_EESQ_SU_SV_mSW_SZ_bEUlT_E_NS1_11comp_targetILNS1_3genE2ELNS1_11target_archE906ELNS1_3gpuE6ELNS1_3repE0EEENS1_30default_config_static_selectorELNS0_4arch9wavefront6targetE0EEEvST_
		.amdhsa_group_segment_fixed_size 0
		.amdhsa_private_segment_fixed_size 0
		.amdhsa_kernarg_size 56
		.amdhsa_user_sgpr_count 2
		.amdhsa_user_sgpr_dispatch_ptr 0
		.amdhsa_user_sgpr_queue_ptr 0
		.amdhsa_user_sgpr_kernarg_segment_ptr 1
		.amdhsa_user_sgpr_dispatch_id 0
		.amdhsa_user_sgpr_kernarg_preload_length 0
		.amdhsa_user_sgpr_kernarg_preload_offset 0
		.amdhsa_user_sgpr_private_segment_size 0
		.amdhsa_wavefront_size32 1
		.amdhsa_uses_dynamic_stack 0
		.amdhsa_enable_private_segment 0
		.amdhsa_system_sgpr_workgroup_id_x 1
		.amdhsa_system_sgpr_workgroup_id_y 0
		.amdhsa_system_sgpr_workgroup_id_z 0
		.amdhsa_system_sgpr_workgroup_info 0
		.amdhsa_system_vgpr_workitem_id 0
		.amdhsa_next_free_vgpr 1
		.amdhsa_next_free_sgpr 1
		.amdhsa_named_barrier_count 0
		.amdhsa_reserve_vcc 0
		.amdhsa_float_round_mode_32 0
		.amdhsa_float_round_mode_16_64 0
		.amdhsa_float_denorm_mode_32 3
		.amdhsa_float_denorm_mode_16_64 3
		.amdhsa_fp16_overflow 0
		.amdhsa_memory_ordered 1
		.amdhsa_forward_progress 1
		.amdhsa_inst_pref_size 0
		.amdhsa_round_robin_scheduling 0
		.amdhsa_exception_fp_ieee_invalid_op 0
		.amdhsa_exception_fp_denorm_src 0
		.amdhsa_exception_fp_ieee_div_zero 0
		.amdhsa_exception_fp_ieee_overflow 0
		.amdhsa_exception_fp_ieee_underflow 0
		.amdhsa_exception_fp_ieee_inexact 0
		.amdhsa_exception_int_div_zero 0
	.end_amdhsa_kernel
	.section	.text._ZN7rocprim17ROCPRIM_400000_NS6detail17trampoline_kernelINS0_14default_configENS1_29binary_search_config_selectorIiiEEZNS1_14transform_implILb0ES3_S5_N6thrust23THRUST_200600_302600_NS6detail15normal_iteratorINS8_7pointerIiNS8_11hip_rocprim3tagENS8_11use_defaultESE_EEEESG_ZNS1_13binary_searchIS3_S5_NSA_INS8_10device_ptrIiEEEESG_SG_NS1_16binary_search_opENS9_16wrapped_functionINS8_7greaterIiEEbEEEE10hipError_tPvRmT1_T2_T3_mmT4_T5_P12ihipStream_tbEUlRKiE_EESQ_SU_SV_mSW_SZ_bEUlT_E_NS1_11comp_targetILNS1_3genE2ELNS1_11target_archE906ELNS1_3gpuE6ELNS1_3repE0EEENS1_30default_config_static_selectorELNS0_4arch9wavefront6targetE0EEEvST_,"axG",@progbits,_ZN7rocprim17ROCPRIM_400000_NS6detail17trampoline_kernelINS0_14default_configENS1_29binary_search_config_selectorIiiEEZNS1_14transform_implILb0ES3_S5_N6thrust23THRUST_200600_302600_NS6detail15normal_iteratorINS8_7pointerIiNS8_11hip_rocprim3tagENS8_11use_defaultESE_EEEESG_ZNS1_13binary_searchIS3_S5_NSA_INS8_10device_ptrIiEEEESG_SG_NS1_16binary_search_opENS9_16wrapped_functionINS8_7greaterIiEEbEEEE10hipError_tPvRmT1_T2_T3_mmT4_T5_P12ihipStream_tbEUlRKiE_EESQ_SU_SV_mSW_SZ_bEUlT_E_NS1_11comp_targetILNS1_3genE2ELNS1_11target_archE906ELNS1_3gpuE6ELNS1_3repE0EEENS1_30default_config_static_selectorELNS0_4arch9wavefront6targetE0EEEvST_,comdat
.Lfunc_end162:
	.size	_ZN7rocprim17ROCPRIM_400000_NS6detail17trampoline_kernelINS0_14default_configENS1_29binary_search_config_selectorIiiEEZNS1_14transform_implILb0ES3_S5_N6thrust23THRUST_200600_302600_NS6detail15normal_iteratorINS8_7pointerIiNS8_11hip_rocprim3tagENS8_11use_defaultESE_EEEESG_ZNS1_13binary_searchIS3_S5_NSA_INS8_10device_ptrIiEEEESG_SG_NS1_16binary_search_opENS9_16wrapped_functionINS8_7greaterIiEEbEEEE10hipError_tPvRmT1_T2_T3_mmT4_T5_P12ihipStream_tbEUlRKiE_EESQ_SU_SV_mSW_SZ_bEUlT_E_NS1_11comp_targetILNS1_3genE2ELNS1_11target_archE906ELNS1_3gpuE6ELNS1_3repE0EEENS1_30default_config_static_selectorELNS0_4arch9wavefront6targetE0EEEvST_, .Lfunc_end162-_ZN7rocprim17ROCPRIM_400000_NS6detail17trampoline_kernelINS0_14default_configENS1_29binary_search_config_selectorIiiEEZNS1_14transform_implILb0ES3_S5_N6thrust23THRUST_200600_302600_NS6detail15normal_iteratorINS8_7pointerIiNS8_11hip_rocprim3tagENS8_11use_defaultESE_EEEESG_ZNS1_13binary_searchIS3_S5_NSA_INS8_10device_ptrIiEEEESG_SG_NS1_16binary_search_opENS9_16wrapped_functionINS8_7greaterIiEEbEEEE10hipError_tPvRmT1_T2_T3_mmT4_T5_P12ihipStream_tbEUlRKiE_EESQ_SU_SV_mSW_SZ_bEUlT_E_NS1_11comp_targetILNS1_3genE2ELNS1_11target_archE906ELNS1_3gpuE6ELNS1_3repE0EEENS1_30default_config_static_selectorELNS0_4arch9wavefront6targetE0EEEvST_
                                        ; -- End function
	.set _ZN7rocprim17ROCPRIM_400000_NS6detail17trampoline_kernelINS0_14default_configENS1_29binary_search_config_selectorIiiEEZNS1_14transform_implILb0ES3_S5_N6thrust23THRUST_200600_302600_NS6detail15normal_iteratorINS8_7pointerIiNS8_11hip_rocprim3tagENS8_11use_defaultESE_EEEESG_ZNS1_13binary_searchIS3_S5_NSA_INS8_10device_ptrIiEEEESG_SG_NS1_16binary_search_opENS9_16wrapped_functionINS8_7greaterIiEEbEEEE10hipError_tPvRmT1_T2_T3_mmT4_T5_P12ihipStream_tbEUlRKiE_EESQ_SU_SV_mSW_SZ_bEUlT_E_NS1_11comp_targetILNS1_3genE2ELNS1_11target_archE906ELNS1_3gpuE6ELNS1_3repE0EEENS1_30default_config_static_selectorELNS0_4arch9wavefront6targetE0EEEvST_.num_vgpr, 0
	.set _ZN7rocprim17ROCPRIM_400000_NS6detail17trampoline_kernelINS0_14default_configENS1_29binary_search_config_selectorIiiEEZNS1_14transform_implILb0ES3_S5_N6thrust23THRUST_200600_302600_NS6detail15normal_iteratorINS8_7pointerIiNS8_11hip_rocprim3tagENS8_11use_defaultESE_EEEESG_ZNS1_13binary_searchIS3_S5_NSA_INS8_10device_ptrIiEEEESG_SG_NS1_16binary_search_opENS9_16wrapped_functionINS8_7greaterIiEEbEEEE10hipError_tPvRmT1_T2_T3_mmT4_T5_P12ihipStream_tbEUlRKiE_EESQ_SU_SV_mSW_SZ_bEUlT_E_NS1_11comp_targetILNS1_3genE2ELNS1_11target_archE906ELNS1_3gpuE6ELNS1_3repE0EEENS1_30default_config_static_selectorELNS0_4arch9wavefront6targetE0EEEvST_.num_agpr, 0
	.set _ZN7rocprim17ROCPRIM_400000_NS6detail17trampoline_kernelINS0_14default_configENS1_29binary_search_config_selectorIiiEEZNS1_14transform_implILb0ES3_S5_N6thrust23THRUST_200600_302600_NS6detail15normal_iteratorINS8_7pointerIiNS8_11hip_rocprim3tagENS8_11use_defaultESE_EEEESG_ZNS1_13binary_searchIS3_S5_NSA_INS8_10device_ptrIiEEEESG_SG_NS1_16binary_search_opENS9_16wrapped_functionINS8_7greaterIiEEbEEEE10hipError_tPvRmT1_T2_T3_mmT4_T5_P12ihipStream_tbEUlRKiE_EESQ_SU_SV_mSW_SZ_bEUlT_E_NS1_11comp_targetILNS1_3genE2ELNS1_11target_archE906ELNS1_3gpuE6ELNS1_3repE0EEENS1_30default_config_static_selectorELNS0_4arch9wavefront6targetE0EEEvST_.numbered_sgpr, 0
	.set _ZN7rocprim17ROCPRIM_400000_NS6detail17trampoline_kernelINS0_14default_configENS1_29binary_search_config_selectorIiiEEZNS1_14transform_implILb0ES3_S5_N6thrust23THRUST_200600_302600_NS6detail15normal_iteratorINS8_7pointerIiNS8_11hip_rocprim3tagENS8_11use_defaultESE_EEEESG_ZNS1_13binary_searchIS3_S5_NSA_INS8_10device_ptrIiEEEESG_SG_NS1_16binary_search_opENS9_16wrapped_functionINS8_7greaterIiEEbEEEE10hipError_tPvRmT1_T2_T3_mmT4_T5_P12ihipStream_tbEUlRKiE_EESQ_SU_SV_mSW_SZ_bEUlT_E_NS1_11comp_targetILNS1_3genE2ELNS1_11target_archE906ELNS1_3gpuE6ELNS1_3repE0EEENS1_30default_config_static_selectorELNS0_4arch9wavefront6targetE0EEEvST_.num_named_barrier, 0
	.set _ZN7rocprim17ROCPRIM_400000_NS6detail17trampoline_kernelINS0_14default_configENS1_29binary_search_config_selectorIiiEEZNS1_14transform_implILb0ES3_S5_N6thrust23THRUST_200600_302600_NS6detail15normal_iteratorINS8_7pointerIiNS8_11hip_rocprim3tagENS8_11use_defaultESE_EEEESG_ZNS1_13binary_searchIS3_S5_NSA_INS8_10device_ptrIiEEEESG_SG_NS1_16binary_search_opENS9_16wrapped_functionINS8_7greaterIiEEbEEEE10hipError_tPvRmT1_T2_T3_mmT4_T5_P12ihipStream_tbEUlRKiE_EESQ_SU_SV_mSW_SZ_bEUlT_E_NS1_11comp_targetILNS1_3genE2ELNS1_11target_archE906ELNS1_3gpuE6ELNS1_3repE0EEENS1_30default_config_static_selectorELNS0_4arch9wavefront6targetE0EEEvST_.private_seg_size, 0
	.set _ZN7rocprim17ROCPRIM_400000_NS6detail17trampoline_kernelINS0_14default_configENS1_29binary_search_config_selectorIiiEEZNS1_14transform_implILb0ES3_S5_N6thrust23THRUST_200600_302600_NS6detail15normal_iteratorINS8_7pointerIiNS8_11hip_rocprim3tagENS8_11use_defaultESE_EEEESG_ZNS1_13binary_searchIS3_S5_NSA_INS8_10device_ptrIiEEEESG_SG_NS1_16binary_search_opENS9_16wrapped_functionINS8_7greaterIiEEbEEEE10hipError_tPvRmT1_T2_T3_mmT4_T5_P12ihipStream_tbEUlRKiE_EESQ_SU_SV_mSW_SZ_bEUlT_E_NS1_11comp_targetILNS1_3genE2ELNS1_11target_archE906ELNS1_3gpuE6ELNS1_3repE0EEENS1_30default_config_static_selectorELNS0_4arch9wavefront6targetE0EEEvST_.uses_vcc, 0
	.set _ZN7rocprim17ROCPRIM_400000_NS6detail17trampoline_kernelINS0_14default_configENS1_29binary_search_config_selectorIiiEEZNS1_14transform_implILb0ES3_S5_N6thrust23THRUST_200600_302600_NS6detail15normal_iteratorINS8_7pointerIiNS8_11hip_rocprim3tagENS8_11use_defaultESE_EEEESG_ZNS1_13binary_searchIS3_S5_NSA_INS8_10device_ptrIiEEEESG_SG_NS1_16binary_search_opENS9_16wrapped_functionINS8_7greaterIiEEbEEEE10hipError_tPvRmT1_T2_T3_mmT4_T5_P12ihipStream_tbEUlRKiE_EESQ_SU_SV_mSW_SZ_bEUlT_E_NS1_11comp_targetILNS1_3genE2ELNS1_11target_archE906ELNS1_3gpuE6ELNS1_3repE0EEENS1_30default_config_static_selectorELNS0_4arch9wavefront6targetE0EEEvST_.uses_flat_scratch, 0
	.set _ZN7rocprim17ROCPRIM_400000_NS6detail17trampoline_kernelINS0_14default_configENS1_29binary_search_config_selectorIiiEEZNS1_14transform_implILb0ES3_S5_N6thrust23THRUST_200600_302600_NS6detail15normal_iteratorINS8_7pointerIiNS8_11hip_rocprim3tagENS8_11use_defaultESE_EEEESG_ZNS1_13binary_searchIS3_S5_NSA_INS8_10device_ptrIiEEEESG_SG_NS1_16binary_search_opENS9_16wrapped_functionINS8_7greaterIiEEbEEEE10hipError_tPvRmT1_T2_T3_mmT4_T5_P12ihipStream_tbEUlRKiE_EESQ_SU_SV_mSW_SZ_bEUlT_E_NS1_11comp_targetILNS1_3genE2ELNS1_11target_archE906ELNS1_3gpuE6ELNS1_3repE0EEENS1_30default_config_static_selectorELNS0_4arch9wavefront6targetE0EEEvST_.has_dyn_sized_stack, 0
	.set _ZN7rocprim17ROCPRIM_400000_NS6detail17trampoline_kernelINS0_14default_configENS1_29binary_search_config_selectorIiiEEZNS1_14transform_implILb0ES3_S5_N6thrust23THRUST_200600_302600_NS6detail15normal_iteratorINS8_7pointerIiNS8_11hip_rocprim3tagENS8_11use_defaultESE_EEEESG_ZNS1_13binary_searchIS3_S5_NSA_INS8_10device_ptrIiEEEESG_SG_NS1_16binary_search_opENS9_16wrapped_functionINS8_7greaterIiEEbEEEE10hipError_tPvRmT1_T2_T3_mmT4_T5_P12ihipStream_tbEUlRKiE_EESQ_SU_SV_mSW_SZ_bEUlT_E_NS1_11comp_targetILNS1_3genE2ELNS1_11target_archE906ELNS1_3gpuE6ELNS1_3repE0EEENS1_30default_config_static_selectorELNS0_4arch9wavefront6targetE0EEEvST_.has_recursion, 0
	.set _ZN7rocprim17ROCPRIM_400000_NS6detail17trampoline_kernelINS0_14default_configENS1_29binary_search_config_selectorIiiEEZNS1_14transform_implILb0ES3_S5_N6thrust23THRUST_200600_302600_NS6detail15normal_iteratorINS8_7pointerIiNS8_11hip_rocprim3tagENS8_11use_defaultESE_EEEESG_ZNS1_13binary_searchIS3_S5_NSA_INS8_10device_ptrIiEEEESG_SG_NS1_16binary_search_opENS9_16wrapped_functionINS8_7greaterIiEEbEEEE10hipError_tPvRmT1_T2_T3_mmT4_T5_P12ihipStream_tbEUlRKiE_EESQ_SU_SV_mSW_SZ_bEUlT_E_NS1_11comp_targetILNS1_3genE2ELNS1_11target_archE906ELNS1_3gpuE6ELNS1_3repE0EEENS1_30default_config_static_selectorELNS0_4arch9wavefront6targetE0EEEvST_.has_indirect_call, 0
	.section	.AMDGPU.csdata,"",@progbits
; Kernel info:
; codeLenInByte = 0
; TotalNumSgprs: 0
; NumVgprs: 0
; ScratchSize: 0
; MemoryBound: 0
; FloatMode: 240
; IeeeMode: 1
; LDSByteSize: 0 bytes/workgroup (compile time only)
; SGPRBlocks: 0
; VGPRBlocks: 0
; NumSGPRsForWavesPerEU: 1
; NumVGPRsForWavesPerEU: 1
; NamedBarCnt: 0
; Occupancy: 16
; WaveLimiterHint : 0
; COMPUTE_PGM_RSRC2:SCRATCH_EN: 0
; COMPUTE_PGM_RSRC2:USER_SGPR: 2
; COMPUTE_PGM_RSRC2:TRAP_HANDLER: 0
; COMPUTE_PGM_RSRC2:TGID_X_EN: 1
; COMPUTE_PGM_RSRC2:TGID_Y_EN: 0
; COMPUTE_PGM_RSRC2:TGID_Z_EN: 0
; COMPUTE_PGM_RSRC2:TIDIG_COMP_CNT: 0
	.section	.text._ZN7rocprim17ROCPRIM_400000_NS6detail17trampoline_kernelINS0_14default_configENS1_29binary_search_config_selectorIiiEEZNS1_14transform_implILb0ES3_S5_N6thrust23THRUST_200600_302600_NS6detail15normal_iteratorINS8_7pointerIiNS8_11hip_rocprim3tagENS8_11use_defaultESE_EEEESG_ZNS1_13binary_searchIS3_S5_NSA_INS8_10device_ptrIiEEEESG_SG_NS1_16binary_search_opENS9_16wrapped_functionINS8_7greaterIiEEbEEEE10hipError_tPvRmT1_T2_T3_mmT4_T5_P12ihipStream_tbEUlRKiE_EESQ_SU_SV_mSW_SZ_bEUlT_E_NS1_11comp_targetILNS1_3genE10ELNS1_11target_archE1201ELNS1_3gpuE5ELNS1_3repE0EEENS1_30default_config_static_selectorELNS0_4arch9wavefront6targetE0EEEvST_,"axG",@progbits,_ZN7rocprim17ROCPRIM_400000_NS6detail17trampoline_kernelINS0_14default_configENS1_29binary_search_config_selectorIiiEEZNS1_14transform_implILb0ES3_S5_N6thrust23THRUST_200600_302600_NS6detail15normal_iteratorINS8_7pointerIiNS8_11hip_rocprim3tagENS8_11use_defaultESE_EEEESG_ZNS1_13binary_searchIS3_S5_NSA_INS8_10device_ptrIiEEEESG_SG_NS1_16binary_search_opENS9_16wrapped_functionINS8_7greaterIiEEbEEEE10hipError_tPvRmT1_T2_T3_mmT4_T5_P12ihipStream_tbEUlRKiE_EESQ_SU_SV_mSW_SZ_bEUlT_E_NS1_11comp_targetILNS1_3genE10ELNS1_11target_archE1201ELNS1_3gpuE5ELNS1_3repE0EEENS1_30default_config_static_selectorELNS0_4arch9wavefront6targetE0EEEvST_,comdat
	.protected	_ZN7rocprim17ROCPRIM_400000_NS6detail17trampoline_kernelINS0_14default_configENS1_29binary_search_config_selectorIiiEEZNS1_14transform_implILb0ES3_S5_N6thrust23THRUST_200600_302600_NS6detail15normal_iteratorINS8_7pointerIiNS8_11hip_rocprim3tagENS8_11use_defaultESE_EEEESG_ZNS1_13binary_searchIS3_S5_NSA_INS8_10device_ptrIiEEEESG_SG_NS1_16binary_search_opENS9_16wrapped_functionINS8_7greaterIiEEbEEEE10hipError_tPvRmT1_T2_T3_mmT4_T5_P12ihipStream_tbEUlRKiE_EESQ_SU_SV_mSW_SZ_bEUlT_E_NS1_11comp_targetILNS1_3genE10ELNS1_11target_archE1201ELNS1_3gpuE5ELNS1_3repE0EEENS1_30default_config_static_selectorELNS0_4arch9wavefront6targetE0EEEvST_ ; -- Begin function _ZN7rocprim17ROCPRIM_400000_NS6detail17trampoline_kernelINS0_14default_configENS1_29binary_search_config_selectorIiiEEZNS1_14transform_implILb0ES3_S5_N6thrust23THRUST_200600_302600_NS6detail15normal_iteratorINS8_7pointerIiNS8_11hip_rocprim3tagENS8_11use_defaultESE_EEEESG_ZNS1_13binary_searchIS3_S5_NSA_INS8_10device_ptrIiEEEESG_SG_NS1_16binary_search_opENS9_16wrapped_functionINS8_7greaterIiEEbEEEE10hipError_tPvRmT1_T2_T3_mmT4_T5_P12ihipStream_tbEUlRKiE_EESQ_SU_SV_mSW_SZ_bEUlT_E_NS1_11comp_targetILNS1_3genE10ELNS1_11target_archE1201ELNS1_3gpuE5ELNS1_3repE0EEENS1_30default_config_static_selectorELNS0_4arch9wavefront6targetE0EEEvST_
	.globl	_ZN7rocprim17ROCPRIM_400000_NS6detail17trampoline_kernelINS0_14default_configENS1_29binary_search_config_selectorIiiEEZNS1_14transform_implILb0ES3_S5_N6thrust23THRUST_200600_302600_NS6detail15normal_iteratorINS8_7pointerIiNS8_11hip_rocprim3tagENS8_11use_defaultESE_EEEESG_ZNS1_13binary_searchIS3_S5_NSA_INS8_10device_ptrIiEEEESG_SG_NS1_16binary_search_opENS9_16wrapped_functionINS8_7greaterIiEEbEEEE10hipError_tPvRmT1_T2_T3_mmT4_T5_P12ihipStream_tbEUlRKiE_EESQ_SU_SV_mSW_SZ_bEUlT_E_NS1_11comp_targetILNS1_3genE10ELNS1_11target_archE1201ELNS1_3gpuE5ELNS1_3repE0EEENS1_30default_config_static_selectorELNS0_4arch9wavefront6targetE0EEEvST_
	.p2align	8
	.type	_ZN7rocprim17ROCPRIM_400000_NS6detail17trampoline_kernelINS0_14default_configENS1_29binary_search_config_selectorIiiEEZNS1_14transform_implILb0ES3_S5_N6thrust23THRUST_200600_302600_NS6detail15normal_iteratorINS8_7pointerIiNS8_11hip_rocprim3tagENS8_11use_defaultESE_EEEESG_ZNS1_13binary_searchIS3_S5_NSA_INS8_10device_ptrIiEEEESG_SG_NS1_16binary_search_opENS9_16wrapped_functionINS8_7greaterIiEEbEEEE10hipError_tPvRmT1_T2_T3_mmT4_T5_P12ihipStream_tbEUlRKiE_EESQ_SU_SV_mSW_SZ_bEUlT_E_NS1_11comp_targetILNS1_3genE10ELNS1_11target_archE1201ELNS1_3gpuE5ELNS1_3repE0EEENS1_30default_config_static_selectorELNS0_4arch9wavefront6targetE0EEEvST_,@function
_ZN7rocprim17ROCPRIM_400000_NS6detail17trampoline_kernelINS0_14default_configENS1_29binary_search_config_selectorIiiEEZNS1_14transform_implILb0ES3_S5_N6thrust23THRUST_200600_302600_NS6detail15normal_iteratorINS8_7pointerIiNS8_11hip_rocprim3tagENS8_11use_defaultESE_EEEESG_ZNS1_13binary_searchIS3_S5_NSA_INS8_10device_ptrIiEEEESG_SG_NS1_16binary_search_opENS9_16wrapped_functionINS8_7greaterIiEEbEEEE10hipError_tPvRmT1_T2_T3_mmT4_T5_P12ihipStream_tbEUlRKiE_EESQ_SU_SV_mSW_SZ_bEUlT_E_NS1_11comp_targetILNS1_3genE10ELNS1_11target_archE1201ELNS1_3gpuE5ELNS1_3repE0EEENS1_30default_config_static_selectorELNS0_4arch9wavefront6targetE0EEEvST_: ; @_ZN7rocprim17ROCPRIM_400000_NS6detail17trampoline_kernelINS0_14default_configENS1_29binary_search_config_selectorIiiEEZNS1_14transform_implILb0ES3_S5_N6thrust23THRUST_200600_302600_NS6detail15normal_iteratorINS8_7pointerIiNS8_11hip_rocprim3tagENS8_11use_defaultESE_EEEESG_ZNS1_13binary_searchIS3_S5_NSA_INS8_10device_ptrIiEEEESG_SG_NS1_16binary_search_opENS9_16wrapped_functionINS8_7greaterIiEEbEEEE10hipError_tPvRmT1_T2_T3_mmT4_T5_P12ihipStream_tbEUlRKiE_EESQ_SU_SV_mSW_SZ_bEUlT_E_NS1_11comp_targetILNS1_3genE10ELNS1_11target_archE1201ELNS1_3gpuE5ELNS1_3repE0EEENS1_30default_config_static_selectorELNS0_4arch9wavefront6targetE0EEEvST_
; %bb.0:
	.section	.rodata,"a",@progbits
	.p2align	6, 0x0
	.amdhsa_kernel _ZN7rocprim17ROCPRIM_400000_NS6detail17trampoline_kernelINS0_14default_configENS1_29binary_search_config_selectorIiiEEZNS1_14transform_implILb0ES3_S5_N6thrust23THRUST_200600_302600_NS6detail15normal_iteratorINS8_7pointerIiNS8_11hip_rocprim3tagENS8_11use_defaultESE_EEEESG_ZNS1_13binary_searchIS3_S5_NSA_INS8_10device_ptrIiEEEESG_SG_NS1_16binary_search_opENS9_16wrapped_functionINS8_7greaterIiEEbEEEE10hipError_tPvRmT1_T2_T3_mmT4_T5_P12ihipStream_tbEUlRKiE_EESQ_SU_SV_mSW_SZ_bEUlT_E_NS1_11comp_targetILNS1_3genE10ELNS1_11target_archE1201ELNS1_3gpuE5ELNS1_3repE0EEENS1_30default_config_static_selectorELNS0_4arch9wavefront6targetE0EEEvST_
		.amdhsa_group_segment_fixed_size 0
		.amdhsa_private_segment_fixed_size 0
		.amdhsa_kernarg_size 56
		.amdhsa_user_sgpr_count 2
		.amdhsa_user_sgpr_dispatch_ptr 0
		.amdhsa_user_sgpr_queue_ptr 0
		.amdhsa_user_sgpr_kernarg_segment_ptr 1
		.amdhsa_user_sgpr_dispatch_id 0
		.amdhsa_user_sgpr_kernarg_preload_length 0
		.amdhsa_user_sgpr_kernarg_preload_offset 0
		.amdhsa_user_sgpr_private_segment_size 0
		.amdhsa_wavefront_size32 1
		.amdhsa_uses_dynamic_stack 0
		.amdhsa_enable_private_segment 0
		.amdhsa_system_sgpr_workgroup_id_x 1
		.amdhsa_system_sgpr_workgroup_id_y 0
		.amdhsa_system_sgpr_workgroup_id_z 0
		.amdhsa_system_sgpr_workgroup_info 0
		.amdhsa_system_vgpr_workitem_id 0
		.amdhsa_next_free_vgpr 1
		.amdhsa_next_free_sgpr 1
		.amdhsa_named_barrier_count 0
		.amdhsa_reserve_vcc 0
		.amdhsa_float_round_mode_32 0
		.amdhsa_float_round_mode_16_64 0
		.amdhsa_float_denorm_mode_32 3
		.amdhsa_float_denorm_mode_16_64 3
		.amdhsa_fp16_overflow 0
		.amdhsa_memory_ordered 1
		.amdhsa_forward_progress 1
		.amdhsa_inst_pref_size 0
		.amdhsa_round_robin_scheduling 0
		.amdhsa_exception_fp_ieee_invalid_op 0
		.amdhsa_exception_fp_denorm_src 0
		.amdhsa_exception_fp_ieee_div_zero 0
		.amdhsa_exception_fp_ieee_overflow 0
		.amdhsa_exception_fp_ieee_underflow 0
		.amdhsa_exception_fp_ieee_inexact 0
		.amdhsa_exception_int_div_zero 0
	.end_amdhsa_kernel
	.section	.text._ZN7rocprim17ROCPRIM_400000_NS6detail17trampoline_kernelINS0_14default_configENS1_29binary_search_config_selectorIiiEEZNS1_14transform_implILb0ES3_S5_N6thrust23THRUST_200600_302600_NS6detail15normal_iteratorINS8_7pointerIiNS8_11hip_rocprim3tagENS8_11use_defaultESE_EEEESG_ZNS1_13binary_searchIS3_S5_NSA_INS8_10device_ptrIiEEEESG_SG_NS1_16binary_search_opENS9_16wrapped_functionINS8_7greaterIiEEbEEEE10hipError_tPvRmT1_T2_T3_mmT4_T5_P12ihipStream_tbEUlRKiE_EESQ_SU_SV_mSW_SZ_bEUlT_E_NS1_11comp_targetILNS1_3genE10ELNS1_11target_archE1201ELNS1_3gpuE5ELNS1_3repE0EEENS1_30default_config_static_selectorELNS0_4arch9wavefront6targetE0EEEvST_,"axG",@progbits,_ZN7rocprim17ROCPRIM_400000_NS6detail17trampoline_kernelINS0_14default_configENS1_29binary_search_config_selectorIiiEEZNS1_14transform_implILb0ES3_S5_N6thrust23THRUST_200600_302600_NS6detail15normal_iteratorINS8_7pointerIiNS8_11hip_rocprim3tagENS8_11use_defaultESE_EEEESG_ZNS1_13binary_searchIS3_S5_NSA_INS8_10device_ptrIiEEEESG_SG_NS1_16binary_search_opENS9_16wrapped_functionINS8_7greaterIiEEbEEEE10hipError_tPvRmT1_T2_T3_mmT4_T5_P12ihipStream_tbEUlRKiE_EESQ_SU_SV_mSW_SZ_bEUlT_E_NS1_11comp_targetILNS1_3genE10ELNS1_11target_archE1201ELNS1_3gpuE5ELNS1_3repE0EEENS1_30default_config_static_selectorELNS0_4arch9wavefront6targetE0EEEvST_,comdat
.Lfunc_end163:
	.size	_ZN7rocprim17ROCPRIM_400000_NS6detail17trampoline_kernelINS0_14default_configENS1_29binary_search_config_selectorIiiEEZNS1_14transform_implILb0ES3_S5_N6thrust23THRUST_200600_302600_NS6detail15normal_iteratorINS8_7pointerIiNS8_11hip_rocprim3tagENS8_11use_defaultESE_EEEESG_ZNS1_13binary_searchIS3_S5_NSA_INS8_10device_ptrIiEEEESG_SG_NS1_16binary_search_opENS9_16wrapped_functionINS8_7greaterIiEEbEEEE10hipError_tPvRmT1_T2_T3_mmT4_T5_P12ihipStream_tbEUlRKiE_EESQ_SU_SV_mSW_SZ_bEUlT_E_NS1_11comp_targetILNS1_3genE10ELNS1_11target_archE1201ELNS1_3gpuE5ELNS1_3repE0EEENS1_30default_config_static_selectorELNS0_4arch9wavefront6targetE0EEEvST_, .Lfunc_end163-_ZN7rocprim17ROCPRIM_400000_NS6detail17trampoline_kernelINS0_14default_configENS1_29binary_search_config_selectorIiiEEZNS1_14transform_implILb0ES3_S5_N6thrust23THRUST_200600_302600_NS6detail15normal_iteratorINS8_7pointerIiNS8_11hip_rocprim3tagENS8_11use_defaultESE_EEEESG_ZNS1_13binary_searchIS3_S5_NSA_INS8_10device_ptrIiEEEESG_SG_NS1_16binary_search_opENS9_16wrapped_functionINS8_7greaterIiEEbEEEE10hipError_tPvRmT1_T2_T3_mmT4_T5_P12ihipStream_tbEUlRKiE_EESQ_SU_SV_mSW_SZ_bEUlT_E_NS1_11comp_targetILNS1_3genE10ELNS1_11target_archE1201ELNS1_3gpuE5ELNS1_3repE0EEENS1_30default_config_static_selectorELNS0_4arch9wavefront6targetE0EEEvST_
                                        ; -- End function
	.set _ZN7rocprim17ROCPRIM_400000_NS6detail17trampoline_kernelINS0_14default_configENS1_29binary_search_config_selectorIiiEEZNS1_14transform_implILb0ES3_S5_N6thrust23THRUST_200600_302600_NS6detail15normal_iteratorINS8_7pointerIiNS8_11hip_rocprim3tagENS8_11use_defaultESE_EEEESG_ZNS1_13binary_searchIS3_S5_NSA_INS8_10device_ptrIiEEEESG_SG_NS1_16binary_search_opENS9_16wrapped_functionINS8_7greaterIiEEbEEEE10hipError_tPvRmT1_T2_T3_mmT4_T5_P12ihipStream_tbEUlRKiE_EESQ_SU_SV_mSW_SZ_bEUlT_E_NS1_11comp_targetILNS1_3genE10ELNS1_11target_archE1201ELNS1_3gpuE5ELNS1_3repE0EEENS1_30default_config_static_selectorELNS0_4arch9wavefront6targetE0EEEvST_.num_vgpr, 0
	.set _ZN7rocprim17ROCPRIM_400000_NS6detail17trampoline_kernelINS0_14default_configENS1_29binary_search_config_selectorIiiEEZNS1_14transform_implILb0ES3_S5_N6thrust23THRUST_200600_302600_NS6detail15normal_iteratorINS8_7pointerIiNS8_11hip_rocprim3tagENS8_11use_defaultESE_EEEESG_ZNS1_13binary_searchIS3_S5_NSA_INS8_10device_ptrIiEEEESG_SG_NS1_16binary_search_opENS9_16wrapped_functionINS8_7greaterIiEEbEEEE10hipError_tPvRmT1_T2_T3_mmT4_T5_P12ihipStream_tbEUlRKiE_EESQ_SU_SV_mSW_SZ_bEUlT_E_NS1_11comp_targetILNS1_3genE10ELNS1_11target_archE1201ELNS1_3gpuE5ELNS1_3repE0EEENS1_30default_config_static_selectorELNS0_4arch9wavefront6targetE0EEEvST_.num_agpr, 0
	.set _ZN7rocprim17ROCPRIM_400000_NS6detail17trampoline_kernelINS0_14default_configENS1_29binary_search_config_selectorIiiEEZNS1_14transform_implILb0ES3_S5_N6thrust23THRUST_200600_302600_NS6detail15normal_iteratorINS8_7pointerIiNS8_11hip_rocprim3tagENS8_11use_defaultESE_EEEESG_ZNS1_13binary_searchIS3_S5_NSA_INS8_10device_ptrIiEEEESG_SG_NS1_16binary_search_opENS9_16wrapped_functionINS8_7greaterIiEEbEEEE10hipError_tPvRmT1_T2_T3_mmT4_T5_P12ihipStream_tbEUlRKiE_EESQ_SU_SV_mSW_SZ_bEUlT_E_NS1_11comp_targetILNS1_3genE10ELNS1_11target_archE1201ELNS1_3gpuE5ELNS1_3repE0EEENS1_30default_config_static_selectorELNS0_4arch9wavefront6targetE0EEEvST_.numbered_sgpr, 0
	.set _ZN7rocprim17ROCPRIM_400000_NS6detail17trampoline_kernelINS0_14default_configENS1_29binary_search_config_selectorIiiEEZNS1_14transform_implILb0ES3_S5_N6thrust23THRUST_200600_302600_NS6detail15normal_iteratorINS8_7pointerIiNS8_11hip_rocprim3tagENS8_11use_defaultESE_EEEESG_ZNS1_13binary_searchIS3_S5_NSA_INS8_10device_ptrIiEEEESG_SG_NS1_16binary_search_opENS9_16wrapped_functionINS8_7greaterIiEEbEEEE10hipError_tPvRmT1_T2_T3_mmT4_T5_P12ihipStream_tbEUlRKiE_EESQ_SU_SV_mSW_SZ_bEUlT_E_NS1_11comp_targetILNS1_3genE10ELNS1_11target_archE1201ELNS1_3gpuE5ELNS1_3repE0EEENS1_30default_config_static_selectorELNS0_4arch9wavefront6targetE0EEEvST_.num_named_barrier, 0
	.set _ZN7rocprim17ROCPRIM_400000_NS6detail17trampoline_kernelINS0_14default_configENS1_29binary_search_config_selectorIiiEEZNS1_14transform_implILb0ES3_S5_N6thrust23THRUST_200600_302600_NS6detail15normal_iteratorINS8_7pointerIiNS8_11hip_rocprim3tagENS8_11use_defaultESE_EEEESG_ZNS1_13binary_searchIS3_S5_NSA_INS8_10device_ptrIiEEEESG_SG_NS1_16binary_search_opENS9_16wrapped_functionINS8_7greaterIiEEbEEEE10hipError_tPvRmT1_T2_T3_mmT4_T5_P12ihipStream_tbEUlRKiE_EESQ_SU_SV_mSW_SZ_bEUlT_E_NS1_11comp_targetILNS1_3genE10ELNS1_11target_archE1201ELNS1_3gpuE5ELNS1_3repE0EEENS1_30default_config_static_selectorELNS0_4arch9wavefront6targetE0EEEvST_.private_seg_size, 0
	.set _ZN7rocprim17ROCPRIM_400000_NS6detail17trampoline_kernelINS0_14default_configENS1_29binary_search_config_selectorIiiEEZNS1_14transform_implILb0ES3_S5_N6thrust23THRUST_200600_302600_NS6detail15normal_iteratorINS8_7pointerIiNS8_11hip_rocprim3tagENS8_11use_defaultESE_EEEESG_ZNS1_13binary_searchIS3_S5_NSA_INS8_10device_ptrIiEEEESG_SG_NS1_16binary_search_opENS9_16wrapped_functionINS8_7greaterIiEEbEEEE10hipError_tPvRmT1_T2_T3_mmT4_T5_P12ihipStream_tbEUlRKiE_EESQ_SU_SV_mSW_SZ_bEUlT_E_NS1_11comp_targetILNS1_3genE10ELNS1_11target_archE1201ELNS1_3gpuE5ELNS1_3repE0EEENS1_30default_config_static_selectorELNS0_4arch9wavefront6targetE0EEEvST_.uses_vcc, 0
	.set _ZN7rocprim17ROCPRIM_400000_NS6detail17trampoline_kernelINS0_14default_configENS1_29binary_search_config_selectorIiiEEZNS1_14transform_implILb0ES3_S5_N6thrust23THRUST_200600_302600_NS6detail15normal_iteratorINS8_7pointerIiNS8_11hip_rocprim3tagENS8_11use_defaultESE_EEEESG_ZNS1_13binary_searchIS3_S5_NSA_INS8_10device_ptrIiEEEESG_SG_NS1_16binary_search_opENS9_16wrapped_functionINS8_7greaterIiEEbEEEE10hipError_tPvRmT1_T2_T3_mmT4_T5_P12ihipStream_tbEUlRKiE_EESQ_SU_SV_mSW_SZ_bEUlT_E_NS1_11comp_targetILNS1_3genE10ELNS1_11target_archE1201ELNS1_3gpuE5ELNS1_3repE0EEENS1_30default_config_static_selectorELNS0_4arch9wavefront6targetE0EEEvST_.uses_flat_scratch, 0
	.set _ZN7rocprim17ROCPRIM_400000_NS6detail17trampoline_kernelINS0_14default_configENS1_29binary_search_config_selectorIiiEEZNS1_14transform_implILb0ES3_S5_N6thrust23THRUST_200600_302600_NS6detail15normal_iteratorINS8_7pointerIiNS8_11hip_rocprim3tagENS8_11use_defaultESE_EEEESG_ZNS1_13binary_searchIS3_S5_NSA_INS8_10device_ptrIiEEEESG_SG_NS1_16binary_search_opENS9_16wrapped_functionINS8_7greaterIiEEbEEEE10hipError_tPvRmT1_T2_T3_mmT4_T5_P12ihipStream_tbEUlRKiE_EESQ_SU_SV_mSW_SZ_bEUlT_E_NS1_11comp_targetILNS1_3genE10ELNS1_11target_archE1201ELNS1_3gpuE5ELNS1_3repE0EEENS1_30default_config_static_selectorELNS0_4arch9wavefront6targetE0EEEvST_.has_dyn_sized_stack, 0
	.set _ZN7rocprim17ROCPRIM_400000_NS6detail17trampoline_kernelINS0_14default_configENS1_29binary_search_config_selectorIiiEEZNS1_14transform_implILb0ES3_S5_N6thrust23THRUST_200600_302600_NS6detail15normal_iteratorINS8_7pointerIiNS8_11hip_rocprim3tagENS8_11use_defaultESE_EEEESG_ZNS1_13binary_searchIS3_S5_NSA_INS8_10device_ptrIiEEEESG_SG_NS1_16binary_search_opENS9_16wrapped_functionINS8_7greaterIiEEbEEEE10hipError_tPvRmT1_T2_T3_mmT4_T5_P12ihipStream_tbEUlRKiE_EESQ_SU_SV_mSW_SZ_bEUlT_E_NS1_11comp_targetILNS1_3genE10ELNS1_11target_archE1201ELNS1_3gpuE5ELNS1_3repE0EEENS1_30default_config_static_selectorELNS0_4arch9wavefront6targetE0EEEvST_.has_recursion, 0
	.set _ZN7rocprim17ROCPRIM_400000_NS6detail17trampoline_kernelINS0_14default_configENS1_29binary_search_config_selectorIiiEEZNS1_14transform_implILb0ES3_S5_N6thrust23THRUST_200600_302600_NS6detail15normal_iteratorINS8_7pointerIiNS8_11hip_rocprim3tagENS8_11use_defaultESE_EEEESG_ZNS1_13binary_searchIS3_S5_NSA_INS8_10device_ptrIiEEEESG_SG_NS1_16binary_search_opENS9_16wrapped_functionINS8_7greaterIiEEbEEEE10hipError_tPvRmT1_T2_T3_mmT4_T5_P12ihipStream_tbEUlRKiE_EESQ_SU_SV_mSW_SZ_bEUlT_E_NS1_11comp_targetILNS1_3genE10ELNS1_11target_archE1201ELNS1_3gpuE5ELNS1_3repE0EEENS1_30default_config_static_selectorELNS0_4arch9wavefront6targetE0EEEvST_.has_indirect_call, 0
	.section	.AMDGPU.csdata,"",@progbits
; Kernel info:
; codeLenInByte = 0
; TotalNumSgprs: 0
; NumVgprs: 0
; ScratchSize: 0
; MemoryBound: 0
; FloatMode: 240
; IeeeMode: 1
; LDSByteSize: 0 bytes/workgroup (compile time only)
; SGPRBlocks: 0
; VGPRBlocks: 0
; NumSGPRsForWavesPerEU: 1
; NumVGPRsForWavesPerEU: 1
; NamedBarCnt: 0
; Occupancy: 16
; WaveLimiterHint : 0
; COMPUTE_PGM_RSRC2:SCRATCH_EN: 0
; COMPUTE_PGM_RSRC2:USER_SGPR: 2
; COMPUTE_PGM_RSRC2:TRAP_HANDLER: 0
; COMPUTE_PGM_RSRC2:TGID_X_EN: 1
; COMPUTE_PGM_RSRC2:TGID_Y_EN: 0
; COMPUTE_PGM_RSRC2:TGID_Z_EN: 0
; COMPUTE_PGM_RSRC2:TIDIG_COMP_CNT: 0
	.section	.text._ZN7rocprim17ROCPRIM_400000_NS6detail17trampoline_kernelINS0_14default_configENS1_29binary_search_config_selectorIiiEEZNS1_14transform_implILb0ES3_S5_N6thrust23THRUST_200600_302600_NS6detail15normal_iteratorINS8_7pointerIiNS8_11hip_rocprim3tagENS8_11use_defaultESE_EEEESG_ZNS1_13binary_searchIS3_S5_NSA_INS8_10device_ptrIiEEEESG_SG_NS1_16binary_search_opENS9_16wrapped_functionINS8_7greaterIiEEbEEEE10hipError_tPvRmT1_T2_T3_mmT4_T5_P12ihipStream_tbEUlRKiE_EESQ_SU_SV_mSW_SZ_bEUlT_E_NS1_11comp_targetILNS1_3genE10ELNS1_11target_archE1200ELNS1_3gpuE4ELNS1_3repE0EEENS1_30default_config_static_selectorELNS0_4arch9wavefront6targetE0EEEvST_,"axG",@progbits,_ZN7rocprim17ROCPRIM_400000_NS6detail17trampoline_kernelINS0_14default_configENS1_29binary_search_config_selectorIiiEEZNS1_14transform_implILb0ES3_S5_N6thrust23THRUST_200600_302600_NS6detail15normal_iteratorINS8_7pointerIiNS8_11hip_rocprim3tagENS8_11use_defaultESE_EEEESG_ZNS1_13binary_searchIS3_S5_NSA_INS8_10device_ptrIiEEEESG_SG_NS1_16binary_search_opENS9_16wrapped_functionINS8_7greaterIiEEbEEEE10hipError_tPvRmT1_T2_T3_mmT4_T5_P12ihipStream_tbEUlRKiE_EESQ_SU_SV_mSW_SZ_bEUlT_E_NS1_11comp_targetILNS1_3genE10ELNS1_11target_archE1200ELNS1_3gpuE4ELNS1_3repE0EEENS1_30default_config_static_selectorELNS0_4arch9wavefront6targetE0EEEvST_,comdat
	.protected	_ZN7rocprim17ROCPRIM_400000_NS6detail17trampoline_kernelINS0_14default_configENS1_29binary_search_config_selectorIiiEEZNS1_14transform_implILb0ES3_S5_N6thrust23THRUST_200600_302600_NS6detail15normal_iteratorINS8_7pointerIiNS8_11hip_rocprim3tagENS8_11use_defaultESE_EEEESG_ZNS1_13binary_searchIS3_S5_NSA_INS8_10device_ptrIiEEEESG_SG_NS1_16binary_search_opENS9_16wrapped_functionINS8_7greaterIiEEbEEEE10hipError_tPvRmT1_T2_T3_mmT4_T5_P12ihipStream_tbEUlRKiE_EESQ_SU_SV_mSW_SZ_bEUlT_E_NS1_11comp_targetILNS1_3genE10ELNS1_11target_archE1200ELNS1_3gpuE4ELNS1_3repE0EEENS1_30default_config_static_selectorELNS0_4arch9wavefront6targetE0EEEvST_ ; -- Begin function _ZN7rocprim17ROCPRIM_400000_NS6detail17trampoline_kernelINS0_14default_configENS1_29binary_search_config_selectorIiiEEZNS1_14transform_implILb0ES3_S5_N6thrust23THRUST_200600_302600_NS6detail15normal_iteratorINS8_7pointerIiNS8_11hip_rocprim3tagENS8_11use_defaultESE_EEEESG_ZNS1_13binary_searchIS3_S5_NSA_INS8_10device_ptrIiEEEESG_SG_NS1_16binary_search_opENS9_16wrapped_functionINS8_7greaterIiEEbEEEE10hipError_tPvRmT1_T2_T3_mmT4_T5_P12ihipStream_tbEUlRKiE_EESQ_SU_SV_mSW_SZ_bEUlT_E_NS1_11comp_targetILNS1_3genE10ELNS1_11target_archE1200ELNS1_3gpuE4ELNS1_3repE0EEENS1_30default_config_static_selectorELNS0_4arch9wavefront6targetE0EEEvST_
	.globl	_ZN7rocprim17ROCPRIM_400000_NS6detail17trampoline_kernelINS0_14default_configENS1_29binary_search_config_selectorIiiEEZNS1_14transform_implILb0ES3_S5_N6thrust23THRUST_200600_302600_NS6detail15normal_iteratorINS8_7pointerIiNS8_11hip_rocprim3tagENS8_11use_defaultESE_EEEESG_ZNS1_13binary_searchIS3_S5_NSA_INS8_10device_ptrIiEEEESG_SG_NS1_16binary_search_opENS9_16wrapped_functionINS8_7greaterIiEEbEEEE10hipError_tPvRmT1_T2_T3_mmT4_T5_P12ihipStream_tbEUlRKiE_EESQ_SU_SV_mSW_SZ_bEUlT_E_NS1_11comp_targetILNS1_3genE10ELNS1_11target_archE1200ELNS1_3gpuE4ELNS1_3repE0EEENS1_30default_config_static_selectorELNS0_4arch9wavefront6targetE0EEEvST_
	.p2align	8
	.type	_ZN7rocprim17ROCPRIM_400000_NS6detail17trampoline_kernelINS0_14default_configENS1_29binary_search_config_selectorIiiEEZNS1_14transform_implILb0ES3_S5_N6thrust23THRUST_200600_302600_NS6detail15normal_iteratorINS8_7pointerIiNS8_11hip_rocprim3tagENS8_11use_defaultESE_EEEESG_ZNS1_13binary_searchIS3_S5_NSA_INS8_10device_ptrIiEEEESG_SG_NS1_16binary_search_opENS9_16wrapped_functionINS8_7greaterIiEEbEEEE10hipError_tPvRmT1_T2_T3_mmT4_T5_P12ihipStream_tbEUlRKiE_EESQ_SU_SV_mSW_SZ_bEUlT_E_NS1_11comp_targetILNS1_3genE10ELNS1_11target_archE1200ELNS1_3gpuE4ELNS1_3repE0EEENS1_30default_config_static_selectorELNS0_4arch9wavefront6targetE0EEEvST_,@function
_ZN7rocprim17ROCPRIM_400000_NS6detail17trampoline_kernelINS0_14default_configENS1_29binary_search_config_selectorIiiEEZNS1_14transform_implILb0ES3_S5_N6thrust23THRUST_200600_302600_NS6detail15normal_iteratorINS8_7pointerIiNS8_11hip_rocprim3tagENS8_11use_defaultESE_EEEESG_ZNS1_13binary_searchIS3_S5_NSA_INS8_10device_ptrIiEEEESG_SG_NS1_16binary_search_opENS9_16wrapped_functionINS8_7greaterIiEEbEEEE10hipError_tPvRmT1_T2_T3_mmT4_T5_P12ihipStream_tbEUlRKiE_EESQ_SU_SV_mSW_SZ_bEUlT_E_NS1_11comp_targetILNS1_3genE10ELNS1_11target_archE1200ELNS1_3gpuE4ELNS1_3repE0EEENS1_30default_config_static_selectorELNS0_4arch9wavefront6targetE0EEEvST_: ; @_ZN7rocprim17ROCPRIM_400000_NS6detail17trampoline_kernelINS0_14default_configENS1_29binary_search_config_selectorIiiEEZNS1_14transform_implILb0ES3_S5_N6thrust23THRUST_200600_302600_NS6detail15normal_iteratorINS8_7pointerIiNS8_11hip_rocprim3tagENS8_11use_defaultESE_EEEESG_ZNS1_13binary_searchIS3_S5_NSA_INS8_10device_ptrIiEEEESG_SG_NS1_16binary_search_opENS9_16wrapped_functionINS8_7greaterIiEEbEEEE10hipError_tPvRmT1_T2_T3_mmT4_T5_P12ihipStream_tbEUlRKiE_EESQ_SU_SV_mSW_SZ_bEUlT_E_NS1_11comp_targetILNS1_3genE10ELNS1_11target_archE1200ELNS1_3gpuE4ELNS1_3repE0EEENS1_30default_config_static_selectorELNS0_4arch9wavefront6targetE0EEEvST_
; %bb.0:
	.section	.rodata,"a",@progbits
	.p2align	6, 0x0
	.amdhsa_kernel _ZN7rocprim17ROCPRIM_400000_NS6detail17trampoline_kernelINS0_14default_configENS1_29binary_search_config_selectorIiiEEZNS1_14transform_implILb0ES3_S5_N6thrust23THRUST_200600_302600_NS6detail15normal_iteratorINS8_7pointerIiNS8_11hip_rocprim3tagENS8_11use_defaultESE_EEEESG_ZNS1_13binary_searchIS3_S5_NSA_INS8_10device_ptrIiEEEESG_SG_NS1_16binary_search_opENS9_16wrapped_functionINS8_7greaterIiEEbEEEE10hipError_tPvRmT1_T2_T3_mmT4_T5_P12ihipStream_tbEUlRKiE_EESQ_SU_SV_mSW_SZ_bEUlT_E_NS1_11comp_targetILNS1_3genE10ELNS1_11target_archE1200ELNS1_3gpuE4ELNS1_3repE0EEENS1_30default_config_static_selectorELNS0_4arch9wavefront6targetE0EEEvST_
		.amdhsa_group_segment_fixed_size 0
		.amdhsa_private_segment_fixed_size 0
		.amdhsa_kernarg_size 56
		.amdhsa_user_sgpr_count 2
		.amdhsa_user_sgpr_dispatch_ptr 0
		.amdhsa_user_sgpr_queue_ptr 0
		.amdhsa_user_sgpr_kernarg_segment_ptr 1
		.amdhsa_user_sgpr_dispatch_id 0
		.amdhsa_user_sgpr_kernarg_preload_length 0
		.amdhsa_user_sgpr_kernarg_preload_offset 0
		.amdhsa_user_sgpr_private_segment_size 0
		.amdhsa_wavefront_size32 1
		.amdhsa_uses_dynamic_stack 0
		.amdhsa_enable_private_segment 0
		.amdhsa_system_sgpr_workgroup_id_x 1
		.amdhsa_system_sgpr_workgroup_id_y 0
		.amdhsa_system_sgpr_workgroup_id_z 0
		.amdhsa_system_sgpr_workgroup_info 0
		.amdhsa_system_vgpr_workitem_id 0
		.amdhsa_next_free_vgpr 1
		.amdhsa_next_free_sgpr 1
		.amdhsa_named_barrier_count 0
		.amdhsa_reserve_vcc 0
		.amdhsa_float_round_mode_32 0
		.amdhsa_float_round_mode_16_64 0
		.amdhsa_float_denorm_mode_32 3
		.amdhsa_float_denorm_mode_16_64 3
		.amdhsa_fp16_overflow 0
		.amdhsa_memory_ordered 1
		.amdhsa_forward_progress 1
		.amdhsa_inst_pref_size 0
		.amdhsa_round_robin_scheduling 0
		.amdhsa_exception_fp_ieee_invalid_op 0
		.amdhsa_exception_fp_denorm_src 0
		.amdhsa_exception_fp_ieee_div_zero 0
		.amdhsa_exception_fp_ieee_overflow 0
		.amdhsa_exception_fp_ieee_underflow 0
		.amdhsa_exception_fp_ieee_inexact 0
		.amdhsa_exception_int_div_zero 0
	.end_amdhsa_kernel
	.section	.text._ZN7rocprim17ROCPRIM_400000_NS6detail17trampoline_kernelINS0_14default_configENS1_29binary_search_config_selectorIiiEEZNS1_14transform_implILb0ES3_S5_N6thrust23THRUST_200600_302600_NS6detail15normal_iteratorINS8_7pointerIiNS8_11hip_rocprim3tagENS8_11use_defaultESE_EEEESG_ZNS1_13binary_searchIS3_S5_NSA_INS8_10device_ptrIiEEEESG_SG_NS1_16binary_search_opENS9_16wrapped_functionINS8_7greaterIiEEbEEEE10hipError_tPvRmT1_T2_T3_mmT4_T5_P12ihipStream_tbEUlRKiE_EESQ_SU_SV_mSW_SZ_bEUlT_E_NS1_11comp_targetILNS1_3genE10ELNS1_11target_archE1200ELNS1_3gpuE4ELNS1_3repE0EEENS1_30default_config_static_selectorELNS0_4arch9wavefront6targetE0EEEvST_,"axG",@progbits,_ZN7rocprim17ROCPRIM_400000_NS6detail17trampoline_kernelINS0_14default_configENS1_29binary_search_config_selectorIiiEEZNS1_14transform_implILb0ES3_S5_N6thrust23THRUST_200600_302600_NS6detail15normal_iteratorINS8_7pointerIiNS8_11hip_rocprim3tagENS8_11use_defaultESE_EEEESG_ZNS1_13binary_searchIS3_S5_NSA_INS8_10device_ptrIiEEEESG_SG_NS1_16binary_search_opENS9_16wrapped_functionINS8_7greaterIiEEbEEEE10hipError_tPvRmT1_T2_T3_mmT4_T5_P12ihipStream_tbEUlRKiE_EESQ_SU_SV_mSW_SZ_bEUlT_E_NS1_11comp_targetILNS1_3genE10ELNS1_11target_archE1200ELNS1_3gpuE4ELNS1_3repE0EEENS1_30default_config_static_selectorELNS0_4arch9wavefront6targetE0EEEvST_,comdat
.Lfunc_end164:
	.size	_ZN7rocprim17ROCPRIM_400000_NS6detail17trampoline_kernelINS0_14default_configENS1_29binary_search_config_selectorIiiEEZNS1_14transform_implILb0ES3_S5_N6thrust23THRUST_200600_302600_NS6detail15normal_iteratorINS8_7pointerIiNS8_11hip_rocprim3tagENS8_11use_defaultESE_EEEESG_ZNS1_13binary_searchIS3_S5_NSA_INS8_10device_ptrIiEEEESG_SG_NS1_16binary_search_opENS9_16wrapped_functionINS8_7greaterIiEEbEEEE10hipError_tPvRmT1_T2_T3_mmT4_T5_P12ihipStream_tbEUlRKiE_EESQ_SU_SV_mSW_SZ_bEUlT_E_NS1_11comp_targetILNS1_3genE10ELNS1_11target_archE1200ELNS1_3gpuE4ELNS1_3repE0EEENS1_30default_config_static_selectorELNS0_4arch9wavefront6targetE0EEEvST_, .Lfunc_end164-_ZN7rocprim17ROCPRIM_400000_NS6detail17trampoline_kernelINS0_14default_configENS1_29binary_search_config_selectorIiiEEZNS1_14transform_implILb0ES3_S5_N6thrust23THRUST_200600_302600_NS6detail15normal_iteratorINS8_7pointerIiNS8_11hip_rocprim3tagENS8_11use_defaultESE_EEEESG_ZNS1_13binary_searchIS3_S5_NSA_INS8_10device_ptrIiEEEESG_SG_NS1_16binary_search_opENS9_16wrapped_functionINS8_7greaterIiEEbEEEE10hipError_tPvRmT1_T2_T3_mmT4_T5_P12ihipStream_tbEUlRKiE_EESQ_SU_SV_mSW_SZ_bEUlT_E_NS1_11comp_targetILNS1_3genE10ELNS1_11target_archE1200ELNS1_3gpuE4ELNS1_3repE0EEENS1_30default_config_static_selectorELNS0_4arch9wavefront6targetE0EEEvST_
                                        ; -- End function
	.set _ZN7rocprim17ROCPRIM_400000_NS6detail17trampoline_kernelINS0_14default_configENS1_29binary_search_config_selectorIiiEEZNS1_14transform_implILb0ES3_S5_N6thrust23THRUST_200600_302600_NS6detail15normal_iteratorINS8_7pointerIiNS8_11hip_rocprim3tagENS8_11use_defaultESE_EEEESG_ZNS1_13binary_searchIS3_S5_NSA_INS8_10device_ptrIiEEEESG_SG_NS1_16binary_search_opENS9_16wrapped_functionINS8_7greaterIiEEbEEEE10hipError_tPvRmT1_T2_T3_mmT4_T5_P12ihipStream_tbEUlRKiE_EESQ_SU_SV_mSW_SZ_bEUlT_E_NS1_11comp_targetILNS1_3genE10ELNS1_11target_archE1200ELNS1_3gpuE4ELNS1_3repE0EEENS1_30default_config_static_selectorELNS0_4arch9wavefront6targetE0EEEvST_.num_vgpr, 0
	.set _ZN7rocprim17ROCPRIM_400000_NS6detail17trampoline_kernelINS0_14default_configENS1_29binary_search_config_selectorIiiEEZNS1_14transform_implILb0ES3_S5_N6thrust23THRUST_200600_302600_NS6detail15normal_iteratorINS8_7pointerIiNS8_11hip_rocprim3tagENS8_11use_defaultESE_EEEESG_ZNS1_13binary_searchIS3_S5_NSA_INS8_10device_ptrIiEEEESG_SG_NS1_16binary_search_opENS9_16wrapped_functionINS8_7greaterIiEEbEEEE10hipError_tPvRmT1_T2_T3_mmT4_T5_P12ihipStream_tbEUlRKiE_EESQ_SU_SV_mSW_SZ_bEUlT_E_NS1_11comp_targetILNS1_3genE10ELNS1_11target_archE1200ELNS1_3gpuE4ELNS1_3repE0EEENS1_30default_config_static_selectorELNS0_4arch9wavefront6targetE0EEEvST_.num_agpr, 0
	.set _ZN7rocprim17ROCPRIM_400000_NS6detail17trampoline_kernelINS0_14default_configENS1_29binary_search_config_selectorIiiEEZNS1_14transform_implILb0ES3_S5_N6thrust23THRUST_200600_302600_NS6detail15normal_iteratorINS8_7pointerIiNS8_11hip_rocprim3tagENS8_11use_defaultESE_EEEESG_ZNS1_13binary_searchIS3_S5_NSA_INS8_10device_ptrIiEEEESG_SG_NS1_16binary_search_opENS9_16wrapped_functionINS8_7greaterIiEEbEEEE10hipError_tPvRmT1_T2_T3_mmT4_T5_P12ihipStream_tbEUlRKiE_EESQ_SU_SV_mSW_SZ_bEUlT_E_NS1_11comp_targetILNS1_3genE10ELNS1_11target_archE1200ELNS1_3gpuE4ELNS1_3repE0EEENS1_30default_config_static_selectorELNS0_4arch9wavefront6targetE0EEEvST_.numbered_sgpr, 0
	.set _ZN7rocprim17ROCPRIM_400000_NS6detail17trampoline_kernelINS0_14default_configENS1_29binary_search_config_selectorIiiEEZNS1_14transform_implILb0ES3_S5_N6thrust23THRUST_200600_302600_NS6detail15normal_iteratorINS8_7pointerIiNS8_11hip_rocprim3tagENS8_11use_defaultESE_EEEESG_ZNS1_13binary_searchIS3_S5_NSA_INS8_10device_ptrIiEEEESG_SG_NS1_16binary_search_opENS9_16wrapped_functionINS8_7greaterIiEEbEEEE10hipError_tPvRmT1_T2_T3_mmT4_T5_P12ihipStream_tbEUlRKiE_EESQ_SU_SV_mSW_SZ_bEUlT_E_NS1_11comp_targetILNS1_3genE10ELNS1_11target_archE1200ELNS1_3gpuE4ELNS1_3repE0EEENS1_30default_config_static_selectorELNS0_4arch9wavefront6targetE0EEEvST_.num_named_barrier, 0
	.set _ZN7rocprim17ROCPRIM_400000_NS6detail17trampoline_kernelINS0_14default_configENS1_29binary_search_config_selectorIiiEEZNS1_14transform_implILb0ES3_S5_N6thrust23THRUST_200600_302600_NS6detail15normal_iteratorINS8_7pointerIiNS8_11hip_rocprim3tagENS8_11use_defaultESE_EEEESG_ZNS1_13binary_searchIS3_S5_NSA_INS8_10device_ptrIiEEEESG_SG_NS1_16binary_search_opENS9_16wrapped_functionINS8_7greaterIiEEbEEEE10hipError_tPvRmT1_T2_T3_mmT4_T5_P12ihipStream_tbEUlRKiE_EESQ_SU_SV_mSW_SZ_bEUlT_E_NS1_11comp_targetILNS1_3genE10ELNS1_11target_archE1200ELNS1_3gpuE4ELNS1_3repE0EEENS1_30default_config_static_selectorELNS0_4arch9wavefront6targetE0EEEvST_.private_seg_size, 0
	.set _ZN7rocprim17ROCPRIM_400000_NS6detail17trampoline_kernelINS0_14default_configENS1_29binary_search_config_selectorIiiEEZNS1_14transform_implILb0ES3_S5_N6thrust23THRUST_200600_302600_NS6detail15normal_iteratorINS8_7pointerIiNS8_11hip_rocprim3tagENS8_11use_defaultESE_EEEESG_ZNS1_13binary_searchIS3_S5_NSA_INS8_10device_ptrIiEEEESG_SG_NS1_16binary_search_opENS9_16wrapped_functionINS8_7greaterIiEEbEEEE10hipError_tPvRmT1_T2_T3_mmT4_T5_P12ihipStream_tbEUlRKiE_EESQ_SU_SV_mSW_SZ_bEUlT_E_NS1_11comp_targetILNS1_3genE10ELNS1_11target_archE1200ELNS1_3gpuE4ELNS1_3repE0EEENS1_30default_config_static_selectorELNS0_4arch9wavefront6targetE0EEEvST_.uses_vcc, 0
	.set _ZN7rocprim17ROCPRIM_400000_NS6detail17trampoline_kernelINS0_14default_configENS1_29binary_search_config_selectorIiiEEZNS1_14transform_implILb0ES3_S5_N6thrust23THRUST_200600_302600_NS6detail15normal_iteratorINS8_7pointerIiNS8_11hip_rocprim3tagENS8_11use_defaultESE_EEEESG_ZNS1_13binary_searchIS3_S5_NSA_INS8_10device_ptrIiEEEESG_SG_NS1_16binary_search_opENS9_16wrapped_functionINS8_7greaterIiEEbEEEE10hipError_tPvRmT1_T2_T3_mmT4_T5_P12ihipStream_tbEUlRKiE_EESQ_SU_SV_mSW_SZ_bEUlT_E_NS1_11comp_targetILNS1_3genE10ELNS1_11target_archE1200ELNS1_3gpuE4ELNS1_3repE0EEENS1_30default_config_static_selectorELNS0_4arch9wavefront6targetE0EEEvST_.uses_flat_scratch, 0
	.set _ZN7rocprim17ROCPRIM_400000_NS6detail17trampoline_kernelINS0_14default_configENS1_29binary_search_config_selectorIiiEEZNS1_14transform_implILb0ES3_S5_N6thrust23THRUST_200600_302600_NS6detail15normal_iteratorINS8_7pointerIiNS8_11hip_rocprim3tagENS8_11use_defaultESE_EEEESG_ZNS1_13binary_searchIS3_S5_NSA_INS8_10device_ptrIiEEEESG_SG_NS1_16binary_search_opENS9_16wrapped_functionINS8_7greaterIiEEbEEEE10hipError_tPvRmT1_T2_T3_mmT4_T5_P12ihipStream_tbEUlRKiE_EESQ_SU_SV_mSW_SZ_bEUlT_E_NS1_11comp_targetILNS1_3genE10ELNS1_11target_archE1200ELNS1_3gpuE4ELNS1_3repE0EEENS1_30default_config_static_selectorELNS0_4arch9wavefront6targetE0EEEvST_.has_dyn_sized_stack, 0
	.set _ZN7rocprim17ROCPRIM_400000_NS6detail17trampoline_kernelINS0_14default_configENS1_29binary_search_config_selectorIiiEEZNS1_14transform_implILb0ES3_S5_N6thrust23THRUST_200600_302600_NS6detail15normal_iteratorINS8_7pointerIiNS8_11hip_rocprim3tagENS8_11use_defaultESE_EEEESG_ZNS1_13binary_searchIS3_S5_NSA_INS8_10device_ptrIiEEEESG_SG_NS1_16binary_search_opENS9_16wrapped_functionINS8_7greaterIiEEbEEEE10hipError_tPvRmT1_T2_T3_mmT4_T5_P12ihipStream_tbEUlRKiE_EESQ_SU_SV_mSW_SZ_bEUlT_E_NS1_11comp_targetILNS1_3genE10ELNS1_11target_archE1200ELNS1_3gpuE4ELNS1_3repE0EEENS1_30default_config_static_selectorELNS0_4arch9wavefront6targetE0EEEvST_.has_recursion, 0
	.set _ZN7rocprim17ROCPRIM_400000_NS6detail17trampoline_kernelINS0_14default_configENS1_29binary_search_config_selectorIiiEEZNS1_14transform_implILb0ES3_S5_N6thrust23THRUST_200600_302600_NS6detail15normal_iteratorINS8_7pointerIiNS8_11hip_rocprim3tagENS8_11use_defaultESE_EEEESG_ZNS1_13binary_searchIS3_S5_NSA_INS8_10device_ptrIiEEEESG_SG_NS1_16binary_search_opENS9_16wrapped_functionINS8_7greaterIiEEbEEEE10hipError_tPvRmT1_T2_T3_mmT4_T5_P12ihipStream_tbEUlRKiE_EESQ_SU_SV_mSW_SZ_bEUlT_E_NS1_11comp_targetILNS1_3genE10ELNS1_11target_archE1200ELNS1_3gpuE4ELNS1_3repE0EEENS1_30default_config_static_selectorELNS0_4arch9wavefront6targetE0EEEvST_.has_indirect_call, 0
	.section	.AMDGPU.csdata,"",@progbits
; Kernel info:
; codeLenInByte = 0
; TotalNumSgprs: 0
; NumVgprs: 0
; ScratchSize: 0
; MemoryBound: 0
; FloatMode: 240
; IeeeMode: 1
; LDSByteSize: 0 bytes/workgroup (compile time only)
; SGPRBlocks: 0
; VGPRBlocks: 0
; NumSGPRsForWavesPerEU: 1
; NumVGPRsForWavesPerEU: 1
; NamedBarCnt: 0
; Occupancy: 16
; WaveLimiterHint : 0
; COMPUTE_PGM_RSRC2:SCRATCH_EN: 0
; COMPUTE_PGM_RSRC2:USER_SGPR: 2
; COMPUTE_PGM_RSRC2:TRAP_HANDLER: 0
; COMPUTE_PGM_RSRC2:TGID_X_EN: 1
; COMPUTE_PGM_RSRC2:TGID_Y_EN: 0
; COMPUTE_PGM_RSRC2:TGID_Z_EN: 0
; COMPUTE_PGM_RSRC2:TIDIG_COMP_CNT: 0
	.section	.text._ZN7rocprim17ROCPRIM_400000_NS6detail17trampoline_kernelINS0_14default_configENS1_29binary_search_config_selectorIiiEEZNS1_14transform_implILb0ES3_S5_N6thrust23THRUST_200600_302600_NS6detail15normal_iteratorINS8_7pointerIiNS8_11hip_rocprim3tagENS8_11use_defaultESE_EEEESG_ZNS1_13binary_searchIS3_S5_NSA_INS8_10device_ptrIiEEEESG_SG_NS1_16binary_search_opENS9_16wrapped_functionINS8_7greaterIiEEbEEEE10hipError_tPvRmT1_T2_T3_mmT4_T5_P12ihipStream_tbEUlRKiE_EESQ_SU_SV_mSW_SZ_bEUlT_E_NS1_11comp_targetILNS1_3genE9ELNS1_11target_archE1100ELNS1_3gpuE3ELNS1_3repE0EEENS1_30default_config_static_selectorELNS0_4arch9wavefront6targetE0EEEvST_,"axG",@progbits,_ZN7rocprim17ROCPRIM_400000_NS6detail17trampoline_kernelINS0_14default_configENS1_29binary_search_config_selectorIiiEEZNS1_14transform_implILb0ES3_S5_N6thrust23THRUST_200600_302600_NS6detail15normal_iteratorINS8_7pointerIiNS8_11hip_rocprim3tagENS8_11use_defaultESE_EEEESG_ZNS1_13binary_searchIS3_S5_NSA_INS8_10device_ptrIiEEEESG_SG_NS1_16binary_search_opENS9_16wrapped_functionINS8_7greaterIiEEbEEEE10hipError_tPvRmT1_T2_T3_mmT4_T5_P12ihipStream_tbEUlRKiE_EESQ_SU_SV_mSW_SZ_bEUlT_E_NS1_11comp_targetILNS1_3genE9ELNS1_11target_archE1100ELNS1_3gpuE3ELNS1_3repE0EEENS1_30default_config_static_selectorELNS0_4arch9wavefront6targetE0EEEvST_,comdat
	.protected	_ZN7rocprim17ROCPRIM_400000_NS6detail17trampoline_kernelINS0_14default_configENS1_29binary_search_config_selectorIiiEEZNS1_14transform_implILb0ES3_S5_N6thrust23THRUST_200600_302600_NS6detail15normal_iteratorINS8_7pointerIiNS8_11hip_rocprim3tagENS8_11use_defaultESE_EEEESG_ZNS1_13binary_searchIS3_S5_NSA_INS8_10device_ptrIiEEEESG_SG_NS1_16binary_search_opENS9_16wrapped_functionINS8_7greaterIiEEbEEEE10hipError_tPvRmT1_T2_T3_mmT4_T5_P12ihipStream_tbEUlRKiE_EESQ_SU_SV_mSW_SZ_bEUlT_E_NS1_11comp_targetILNS1_3genE9ELNS1_11target_archE1100ELNS1_3gpuE3ELNS1_3repE0EEENS1_30default_config_static_selectorELNS0_4arch9wavefront6targetE0EEEvST_ ; -- Begin function _ZN7rocprim17ROCPRIM_400000_NS6detail17trampoline_kernelINS0_14default_configENS1_29binary_search_config_selectorIiiEEZNS1_14transform_implILb0ES3_S5_N6thrust23THRUST_200600_302600_NS6detail15normal_iteratorINS8_7pointerIiNS8_11hip_rocprim3tagENS8_11use_defaultESE_EEEESG_ZNS1_13binary_searchIS3_S5_NSA_INS8_10device_ptrIiEEEESG_SG_NS1_16binary_search_opENS9_16wrapped_functionINS8_7greaterIiEEbEEEE10hipError_tPvRmT1_T2_T3_mmT4_T5_P12ihipStream_tbEUlRKiE_EESQ_SU_SV_mSW_SZ_bEUlT_E_NS1_11comp_targetILNS1_3genE9ELNS1_11target_archE1100ELNS1_3gpuE3ELNS1_3repE0EEENS1_30default_config_static_selectorELNS0_4arch9wavefront6targetE0EEEvST_
	.globl	_ZN7rocprim17ROCPRIM_400000_NS6detail17trampoline_kernelINS0_14default_configENS1_29binary_search_config_selectorIiiEEZNS1_14transform_implILb0ES3_S5_N6thrust23THRUST_200600_302600_NS6detail15normal_iteratorINS8_7pointerIiNS8_11hip_rocprim3tagENS8_11use_defaultESE_EEEESG_ZNS1_13binary_searchIS3_S5_NSA_INS8_10device_ptrIiEEEESG_SG_NS1_16binary_search_opENS9_16wrapped_functionINS8_7greaterIiEEbEEEE10hipError_tPvRmT1_T2_T3_mmT4_T5_P12ihipStream_tbEUlRKiE_EESQ_SU_SV_mSW_SZ_bEUlT_E_NS1_11comp_targetILNS1_3genE9ELNS1_11target_archE1100ELNS1_3gpuE3ELNS1_3repE0EEENS1_30default_config_static_selectorELNS0_4arch9wavefront6targetE0EEEvST_
	.p2align	8
	.type	_ZN7rocprim17ROCPRIM_400000_NS6detail17trampoline_kernelINS0_14default_configENS1_29binary_search_config_selectorIiiEEZNS1_14transform_implILb0ES3_S5_N6thrust23THRUST_200600_302600_NS6detail15normal_iteratorINS8_7pointerIiNS8_11hip_rocprim3tagENS8_11use_defaultESE_EEEESG_ZNS1_13binary_searchIS3_S5_NSA_INS8_10device_ptrIiEEEESG_SG_NS1_16binary_search_opENS9_16wrapped_functionINS8_7greaterIiEEbEEEE10hipError_tPvRmT1_T2_T3_mmT4_T5_P12ihipStream_tbEUlRKiE_EESQ_SU_SV_mSW_SZ_bEUlT_E_NS1_11comp_targetILNS1_3genE9ELNS1_11target_archE1100ELNS1_3gpuE3ELNS1_3repE0EEENS1_30default_config_static_selectorELNS0_4arch9wavefront6targetE0EEEvST_,@function
_ZN7rocprim17ROCPRIM_400000_NS6detail17trampoline_kernelINS0_14default_configENS1_29binary_search_config_selectorIiiEEZNS1_14transform_implILb0ES3_S5_N6thrust23THRUST_200600_302600_NS6detail15normal_iteratorINS8_7pointerIiNS8_11hip_rocprim3tagENS8_11use_defaultESE_EEEESG_ZNS1_13binary_searchIS3_S5_NSA_INS8_10device_ptrIiEEEESG_SG_NS1_16binary_search_opENS9_16wrapped_functionINS8_7greaterIiEEbEEEE10hipError_tPvRmT1_T2_T3_mmT4_T5_P12ihipStream_tbEUlRKiE_EESQ_SU_SV_mSW_SZ_bEUlT_E_NS1_11comp_targetILNS1_3genE9ELNS1_11target_archE1100ELNS1_3gpuE3ELNS1_3repE0EEENS1_30default_config_static_selectorELNS0_4arch9wavefront6targetE0EEEvST_: ; @_ZN7rocprim17ROCPRIM_400000_NS6detail17trampoline_kernelINS0_14default_configENS1_29binary_search_config_selectorIiiEEZNS1_14transform_implILb0ES3_S5_N6thrust23THRUST_200600_302600_NS6detail15normal_iteratorINS8_7pointerIiNS8_11hip_rocprim3tagENS8_11use_defaultESE_EEEESG_ZNS1_13binary_searchIS3_S5_NSA_INS8_10device_ptrIiEEEESG_SG_NS1_16binary_search_opENS9_16wrapped_functionINS8_7greaterIiEEbEEEE10hipError_tPvRmT1_T2_T3_mmT4_T5_P12ihipStream_tbEUlRKiE_EESQ_SU_SV_mSW_SZ_bEUlT_E_NS1_11comp_targetILNS1_3genE9ELNS1_11target_archE1100ELNS1_3gpuE3ELNS1_3repE0EEENS1_30default_config_static_selectorELNS0_4arch9wavefront6targetE0EEEvST_
; %bb.0:
	.section	.rodata,"a",@progbits
	.p2align	6, 0x0
	.amdhsa_kernel _ZN7rocprim17ROCPRIM_400000_NS6detail17trampoline_kernelINS0_14default_configENS1_29binary_search_config_selectorIiiEEZNS1_14transform_implILb0ES3_S5_N6thrust23THRUST_200600_302600_NS6detail15normal_iteratorINS8_7pointerIiNS8_11hip_rocprim3tagENS8_11use_defaultESE_EEEESG_ZNS1_13binary_searchIS3_S5_NSA_INS8_10device_ptrIiEEEESG_SG_NS1_16binary_search_opENS9_16wrapped_functionINS8_7greaterIiEEbEEEE10hipError_tPvRmT1_T2_T3_mmT4_T5_P12ihipStream_tbEUlRKiE_EESQ_SU_SV_mSW_SZ_bEUlT_E_NS1_11comp_targetILNS1_3genE9ELNS1_11target_archE1100ELNS1_3gpuE3ELNS1_3repE0EEENS1_30default_config_static_selectorELNS0_4arch9wavefront6targetE0EEEvST_
		.amdhsa_group_segment_fixed_size 0
		.amdhsa_private_segment_fixed_size 0
		.amdhsa_kernarg_size 56
		.amdhsa_user_sgpr_count 2
		.amdhsa_user_sgpr_dispatch_ptr 0
		.amdhsa_user_sgpr_queue_ptr 0
		.amdhsa_user_sgpr_kernarg_segment_ptr 1
		.amdhsa_user_sgpr_dispatch_id 0
		.amdhsa_user_sgpr_kernarg_preload_length 0
		.amdhsa_user_sgpr_kernarg_preload_offset 0
		.amdhsa_user_sgpr_private_segment_size 0
		.amdhsa_wavefront_size32 1
		.amdhsa_uses_dynamic_stack 0
		.amdhsa_enable_private_segment 0
		.amdhsa_system_sgpr_workgroup_id_x 1
		.amdhsa_system_sgpr_workgroup_id_y 0
		.amdhsa_system_sgpr_workgroup_id_z 0
		.amdhsa_system_sgpr_workgroup_info 0
		.amdhsa_system_vgpr_workitem_id 0
		.amdhsa_next_free_vgpr 1
		.amdhsa_next_free_sgpr 1
		.amdhsa_named_barrier_count 0
		.amdhsa_reserve_vcc 0
		.amdhsa_float_round_mode_32 0
		.amdhsa_float_round_mode_16_64 0
		.amdhsa_float_denorm_mode_32 3
		.amdhsa_float_denorm_mode_16_64 3
		.amdhsa_fp16_overflow 0
		.amdhsa_memory_ordered 1
		.amdhsa_forward_progress 1
		.amdhsa_inst_pref_size 0
		.amdhsa_round_robin_scheduling 0
		.amdhsa_exception_fp_ieee_invalid_op 0
		.amdhsa_exception_fp_denorm_src 0
		.amdhsa_exception_fp_ieee_div_zero 0
		.amdhsa_exception_fp_ieee_overflow 0
		.amdhsa_exception_fp_ieee_underflow 0
		.amdhsa_exception_fp_ieee_inexact 0
		.amdhsa_exception_int_div_zero 0
	.end_amdhsa_kernel
	.section	.text._ZN7rocprim17ROCPRIM_400000_NS6detail17trampoline_kernelINS0_14default_configENS1_29binary_search_config_selectorIiiEEZNS1_14transform_implILb0ES3_S5_N6thrust23THRUST_200600_302600_NS6detail15normal_iteratorINS8_7pointerIiNS8_11hip_rocprim3tagENS8_11use_defaultESE_EEEESG_ZNS1_13binary_searchIS3_S5_NSA_INS8_10device_ptrIiEEEESG_SG_NS1_16binary_search_opENS9_16wrapped_functionINS8_7greaterIiEEbEEEE10hipError_tPvRmT1_T2_T3_mmT4_T5_P12ihipStream_tbEUlRKiE_EESQ_SU_SV_mSW_SZ_bEUlT_E_NS1_11comp_targetILNS1_3genE9ELNS1_11target_archE1100ELNS1_3gpuE3ELNS1_3repE0EEENS1_30default_config_static_selectorELNS0_4arch9wavefront6targetE0EEEvST_,"axG",@progbits,_ZN7rocprim17ROCPRIM_400000_NS6detail17trampoline_kernelINS0_14default_configENS1_29binary_search_config_selectorIiiEEZNS1_14transform_implILb0ES3_S5_N6thrust23THRUST_200600_302600_NS6detail15normal_iteratorINS8_7pointerIiNS8_11hip_rocprim3tagENS8_11use_defaultESE_EEEESG_ZNS1_13binary_searchIS3_S5_NSA_INS8_10device_ptrIiEEEESG_SG_NS1_16binary_search_opENS9_16wrapped_functionINS8_7greaterIiEEbEEEE10hipError_tPvRmT1_T2_T3_mmT4_T5_P12ihipStream_tbEUlRKiE_EESQ_SU_SV_mSW_SZ_bEUlT_E_NS1_11comp_targetILNS1_3genE9ELNS1_11target_archE1100ELNS1_3gpuE3ELNS1_3repE0EEENS1_30default_config_static_selectorELNS0_4arch9wavefront6targetE0EEEvST_,comdat
.Lfunc_end165:
	.size	_ZN7rocprim17ROCPRIM_400000_NS6detail17trampoline_kernelINS0_14default_configENS1_29binary_search_config_selectorIiiEEZNS1_14transform_implILb0ES3_S5_N6thrust23THRUST_200600_302600_NS6detail15normal_iteratorINS8_7pointerIiNS8_11hip_rocprim3tagENS8_11use_defaultESE_EEEESG_ZNS1_13binary_searchIS3_S5_NSA_INS8_10device_ptrIiEEEESG_SG_NS1_16binary_search_opENS9_16wrapped_functionINS8_7greaterIiEEbEEEE10hipError_tPvRmT1_T2_T3_mmT4_T5_P12ihipStream_tbEUlRKiE_EESQ_SU_SV_mSW_SZ_bEUlT_E_NS1_11comp_targetILNS1_3genE9ELNS1_11target_archE1100ELNS1_3gpuE3ELNS1_3repE0EEENS1_30default_config_static_selectorELNS0_4arch9wavefront6targetE0EEEvST_, .Lfunc_end165-_ZN7rocprim17ROCPRIM_400000_NS6detail17trampoline_kernelINS0_14default_configENS1_29binary_search_config_selectorIiiEEZNS1_14transform_implILb0ES3_S5_N6thrust23THRUST_200600_302600_NS6detail15normal_iteratorINS8_7pointerIiNS8_11hip_rocprim3tagENS8_11use_defaultESE_EEEESG_ZNS1_13binary_searchIS3_S5_NSA_INS8_10device_ptrIiEEEESG_SG_NS1_16binary_search_opENS9_16wrapped_functionINS8_7greaterIiEEbEEEE10hipError_tPvRmT1_T2_T3_mmT4_T5_P12ihipStream_tbEUlRKiE_EESQ_SU_SV_mSW_SZ_bEUlT_E_NS1_11comp_targetILNS1_3genE9ELNS1_11target_archE1100ELNS1_3gpuE3ELNS1_3repE0EEENS1_30default_config_static_selectorELNS0_4arch9wavefront6targetE0EEEvST_
                                        ; -- End function
	.set _ZN7rocprim17ROCPRIM_400000_NS6detail17trampoline_kernelINS0_14default_configENS1_29binary_search_config_selectorIiiEEZNS1_14transform_implILb0ES3_S5_N6thrust23THRUST_200600_302600_NS6detail15normal_iteratorINS8_7pointerIiNS8_11hip_rocprim3tagENS8_11use_defaultESE_EEEESG_ZNS1_13binary_searchIS3_S5_NSA_INS8_10device_ptrIiEEEESG_SG_NS1_16binary_search_opENS9_16wrapped_functionINS8_7greaterIiEEbEEEE10hipError_tPvRmT1_T2_T3_mmT4_T5_P12ihipStream_tbEUlRKiE_EESQ_SU_SV_mSW_SZ_bEUlT_E_NS1_11comp_targetILNS1_3genE9ELNS1_11target_archE1100ELNS1_3gpuE3ELNS1_3repE0EEENS1_30default_config_static_selectorELNS0_4arch9wavefront6targetE0EEEvST_.num_vgpr, 0
	.set _ZN7rocprim17ROCPRIM_400000_NS6detail17trampoline_kernelINS0_14default_configENS1_29binary_search_config_selectorIiiEEZNS1_14transform_implILb0ES3_S5_N6thrust23THRUST_200600_302600_NS6detail15normal_iteratorINS8_7pointerIiNS8_11hip_rocprim3tagENS8_11use_defaultESE_EEEESG_ZNS1_13binary_searchIS3_S5_NSA_INS8_10device_ptrIiEEEESG_SG_NS1_16binary_search_opENS9_16wrapped_functionINS8_7greaterIiEEbEEEE10hipError_tPvRmT1_T2_T3_mmT4_T5_P12ihipStream_tbEUlRKiE_EESQ_SU_SV_mSW_SZ_bEUlT_E_NS1_11comp_targetILNS1_3genE9ELNS1_11target_archE1100ELNS1_3gpuE3ELNS1_3repE0EEENS1_30default_config_static_selectorELNS0_4arch9wavefront6targetE0EEEvST_.num_agpr, 0
	.set _ZN7rocprim17ROCPRIM_400000_NS6detail17trampoline_kernelINS0_14default_configENS1_29binary_search_config_selectorIiiEEZNS1_14transform_implILb0ES3_S5_N6thrust23THRUST_200600_302600_NS6detail15normal_iteratorINS8_7pointerIiNS8_11hip_rocprim3tagENS8_11use_defaultESE_EEEESG_ZNS1_13binary_searchIS3_S5_NSA_INS8_10device_ptrIiEEEESG_SG_NS1_16binary_search_opENS9_16wrapped_functionINS8_7greaterIiEEbEEEE10hipError_tPvRmT1_T2_T3_mmT4_T5_P12ihipStream_tbEUlRKiE_EESQ_SU_SV_mSW_SZ_bEUlT_E_NS1_11comp_targetILNS1_3genE9ELNS1_11target_archE1100ELNS1_3gpuE3ELNS1_3repE0EEENS1_30default_config_static_selectorELNS0_4arch9wavefront6targetE0EEEvST_.numbered_sgpr, 0
	.set _ZN7rocprim17ROCPRIM_400000_NS6detail17trampoline_kernelINS0_14default_configENS1_29binary_search_config_selectorIiiEEZNS1_14transform_implILb0ES3_S5_N6thrust23THRUST_200600_302600_NS6detail15normal_iteratorINS8_7pointerIiNS8_11hip_rocprim3tagENS8_11use_defaultESE_EEEESG_ZNS1_13binary_searchIS3_S5_NSA_INS8_10device_ptrIiEEEESG_SG_NS1_16binary_search_opENS9_16wrapped_functionINS8_7greaterIiEEbEEEE10hipError_tPvRmT1_T2_T3_mmT4_T5_P12ihipStream_tbEUlRKiE_EESQ_SU_SV_mSW_SZ_bEUlT_E_NS1_11comp_targetILNS1_3genE9ELNS1_11target_archE1100ELNS1_3gpuE3ELNS1_3repE0EEENS1_30default_config_static_selectorELNS0_4arch9wavefront6targetE0EEEvST_.num_named_barrier, 0
	.set _ZN7rocprim17ROCPRIM_400000_NS6detail17trampoline_kernelINS0_14default_configENS1_29binary_search_config_selectorIiiEEZNS1_14transform_implILb0ES3_S5_N6thrust23THRUST_200600_302600_NS6detail15normal_iteratorINS8_7pointerIiNS8_11hip_rocprim3tagENS8_11use_defaultESE_EEEESG_ZNS1_13binary_searchIS3_S5_NSA_INS8_10device_ptrIiEEEESG_SG_NS1_16binary_search_opENS9_16wrapped_functionINS8_7greaterIiEEbEEEE10hipError_tPvRmT1_T2_T3_mmT4_T5_P12ihipStream_tbEUlRKiE_EESQ_SU_SV_mSW_SZ_bEUlT_E_NS1_11comp_targetILNS1_3genE9ELNS1_11target_archE1100ELNS1_3gpuE3ELNS1_3repE0EEENS1_30default_config_static_selectorELNS0_4arch9wavefront6targetE0EEEvST_.private_seg_size, 0
	.set _ZN7rocprim17ROCPRIM_400000_NS6detail17trampoline_kernelINS0_14default_configENS1_29binary_search_config_selectorIiiEEZNS1_14transform_implILb0ES3_S5_N6thrust23THRUST_200600_302600_NS6detail15normal_iteratorINS8_7pointerIiNS8_11hip_rocprim3tagENS8_11use_defaultESE_EEEESG_ZNS1_13binary_searchIS3_S5_NSA_INS8_10device_ptrIiEEEESG_SG_NS1_16binary_search_opENS9_16wrapped_functionINS8_7greaterIiEEbEEEE10hipError_tPvRmT1_T2_T3_mmT4_T5_P12ihipStream_tbEUlRKiE_EESQ_SU_SV_mSW_SZ_bEUlT_E_NS1_11comp_targetILNS1_3genE9ELNS1_11target_archE1100ELNS1_3gpuE3ELNS1_3repE0EEENS1_30default_config_static_selectorELNS0_4arch9wavefront6targetE0EEEvST_.uses_vcc, 0
	.set _ZN7rocprim17ROCPRIM_400000_NS6detail17trampoline_kernelINS0_14default_configENS1_29binary_search_config_selectorIiiEEZNS1_14transform_implILb0ES3_S5_N6thrust23THRUST_200600_302600_NS6detail15normal_iteratorINS8_7pointerIiNS8_11hip_rocprim3tagENS8_11use_defaultESE_EEEESG_ZNS1_13binary_searchIS3_S5_NSA_INS8_10device_ptrIiEEEESG_SG_NS1_16binary_search_opENS9_16wrapped_functionINS8_7greaterIiEEbEEEE10hipError_tPvRmT1_T2_T3_mmT4_T5_P12ihipStream_tbEUlRKiE_EESQ_SU_SV_mSW_SZ_bEUlT_E_NS1_11comp_targetILNS1_3genE9ELNS1_11target_archE1100ELNS1_3gpuE3ELNS1_3repE0EEENS1_30default_config_static_selectorELNS0_4arch9wavefront6targetE0EEEvST_.uses_flat_scratch, 0
	.set _ZN7rocprim17ROCPRIM_400000_NS6detail17trampoline_kernelINS0_14default_configENS1_29binary_search_config_selectorIiiEEZNS1_14transform_implILb0ES3_S5_N6thrust23THRUST_200600_302600_NS6detail15normal_iteratorINS8_7pointerIiNS8_11hip_rocprim3tagENS8_11use_defaultESE_EEEESG_ZNS1_13binary_searchIS3_S5_NSA_INS8_10device_ptrIiEEEESG_SG_NS1_16binary_search_opENS9_16wrapped_functionINS8_7greaterIiEEbEEEE10hipError_tPvRmT1_T2_T3_mmT4_T5_P12ihipStream_tbEUlRKiE_EESQ_SU_SV_mSW_SZ_bEUlT_E_NS1_11comp_targetILNS1_3genE9ELNS1_11target_archE1100ELNS1_3gpuE3ELNS1_3repE0EEENS1_30default_config_static_selectorELNS0_4arch9wavefront6targetE0EEEvST_.has_dyn_sized_stack, 0
	.set _ZN7rocprim17ROCPRIM_400000_NS6detail17trampoline_kernelINS0_14default_configENS1_29binary_search_config_selectorIiiEEZNS1_14transform_implILb0ES3_S5_N6thrust23THRUST_200600_302600_NS6detail15normal_iteratorINS8_7pointerIiNS8_11hip_rocprim3tagENS8_11use_defaultESE_EEEESG_ZNS1_13binary_searchIS3_S5_NSA_INS8_10device_ptrIiEEEESG_SG_NS1_16binary_search_opENS9_16wrapped_functionINS8_7greaterIiEEbEEEE10hipError_tPvRmT1_T2_T3_mmT4_T5_P12ihipStream_tbEUlRKiE_EESQ_SU_SV_mSW_SZ_bEUlT_E_NS1_11comp_targetILNS1_3genE9ELNS1_11target_archE1100ELNS1_3gpuE3ELNS1_3repE0EEENS1_30default_config_static_selectorELNS0_4arch9wavefront6targetE0EEEvST_.has_recursion, 0
	.set _ZN7rocprim17ROCPRIM_400000_NS6detail17trampoline_kernelINS0_14default_configENS1_29binary_search_config_selectorIiiEEZNS1_14transform_implILb0ES3_S5_N6thrust23THRUST_200600_302600_NS6detail15normal_iteratorINS8_7pointerIiNS8_11hip_rocprim3tagENS8_11use_defaultESE_EEEESG_ZNS1_13binary_searchIS3_S5_NSA_INS8_10device_ptrIiEEEESG_SG_NS1_16binary_search_opENS9_16wrapped_functionINS8_7greaterIiEEbEEEE10hipError_tPvRmT1_T2_T3_mmT4_T5_P12ihipStream_tbEUlRKiE_EESQ_SU_SV_mSW_SZ_bEUlT_E_NS1_11comp_targetILNS1_3genE9ELNS1_11target_archE1100ELNS1_3gpuE3ELNS1_3repE0EEENS1_30default_config_static_selectorELNS0_4arch9wavefront6targetE0EEEvST_.has_indirect_call, 0
	.section	.AMDGPU.csdata,"",@progbits
; Kernel info:
; codeLenInByte = 0
; TotalNumSgprs: 0
; NumVgprs: 0
; ScratchSize: 0
; MemoryBound: 0
; FloatMode: 240
; IeeeMode: 1
; LDSByteSize: 0 bytes/workgroup (compile time only)
; SGPRBlocks: 0
; VGPRBlocks: 0
; NumSGPRsForWavesPerEU: 1
; NumVGPRsForWavesPerEU: 1
; NamedBarCnt: 0
; Occupancy: 16
; WaveLimiterHint : 0
; COMPUTE_PGM_RSRC2:SCRATCH_EN: 0
; COMPUTE_PGM_RSRC2:USER_SGPR: 2
; COMPUTE_PGM_RSRC2:TRAP_HANDLER: 0
; COMPUTE_PGM_RSRC2:TGID_X_EN: 1
; COMPUTE_PGM_RSRC2:TGID_Y_EN: 0
; COMPUTE_PGM_RSRC2:TGID_Z_EN: 0
; COMPUTE_PGM_RSRC2:TIDIG_COMP_CNT: 0
	.section	.text._ZN7rocprim17ROCPRIM_400000_NS6detail17trampoline_kernelINS0_14default_configENS1_29binary_search_config_selectorIiiEEZNS1_14transform_implILb0ES3_S5_N6thrust23THRUST_200600_302600_NS6detail15normal_iteratorINS8_7pointerIiNS8_11hip_rocprim3tagENS8_11use_defaultESE_EEEESG_ZNS1_13binary_searchIS3_S5_NSA_INS8_10device_ptrIiEEEESG_SG_NS1_16binary_search_opENS9_16wrapped_functionINS8_7greaterIiEEbEEEE10hipError_tPvRmT1_T2_T3_mmT4_T5_P12ihipStream_tbEUlRKiE_EESQ_SU_SV_mSW_SZ_bEUlT_E_NS1_11comp_targetILNS1_3genE8ELNS1_11target_archE1030ELNS1_3gpuE2ELNS1_3repE0EEENS1_30default_config_static_selectorELNS0_4arch9wavefront6targetE0EEEvST_,"axG",@progbits,_ZN7rocprim17ROCPRIM_400000_NS6detail17trampoline_kernelINS0_14default_configENS1_29binary_search_config_selectorIiiEEZNS1_14transform_implILb0ES3_S5_N6thrust23THRUST_200600_302600_NS6detail15normal_iteratorINS8_7pointerIiNS8_11hip_rocprim3tagENS8_11use_defaultESE_EEEESG_ZNS1_13binary_searchIS3_S5_NSA_INS8_10device_ptrIiEEEESG_SG_NS1_16binary_search_opENS9_16wrapped_functionINS8_7greaterIiEEbEEEE10hipError_tPvRmT1_T2_T3_mmT4_T5_P12ihipStream_tbEUlRKiE_EESQ_SU_SV_mSW_SZ_bEUlT_E_NS1_11comp_targetILNS1_3genE8ELNS1_11target_archE1030ELNS1_3gpuE2ELNS1_3repE0EEENS1_30default_config_static_selectorELNS0_4arch9wavefront6targetE0EEEvST_,comdat
	.protected	_ZN7rocprim17ROCPRIM_400000_NS6detail17trampoline_kernelINS0_14default_configENS1_29binary_search_config_selectorIiiEEZNS1_14transform_implILb0ES3_S5_N6thrust23THRUST_200600_302600_NS6detail15normal_iteratorINS8_7pointerIiNS8_11hip_rocprim3tagENS8_11use_defaultESE_EEEESG_ZNS1_13binary_searchIS3_S5_NSA_INS8_10device_ptrIiEEEESG_SG_NS1_16binary_search_opENS9_16wrapped_functionINS8_7greaterIiEEbEEEE10hipError_tPvRmT1_T2_T3_mmT4_T5_P12ihipStream_tbEUlRKiE_EESQ_SU_SV_mSW_SZ_bEUlT_E_NS1_11comp_targetILNS1_3genE8ELNS1_11target_archE1030ELNS1_3gpuE2ELNS1_3repE0EEENS1_30default_config_static_selectorELNS0_4arch9wavefront6targetE0EEEvST_ ; -- Begin function _ZN7rocprim17ROCPRIM_400000_NS6detail17trampoline_kernelINS0_14default_configENS1_29binary_search_config_selectorIiiEEZNS1_14transform_implILb0ES3_S5_N6thrust23THRUST_200600_302600_NS6detail15normal_iteratorINS8_7pointerIiNS8_11hip_rocprim3tagENS8_11use_defaultESE_EEEESG_ZNS1_13binary_searchIS3_S5_NSA_INS8_10device_ptrIiEEEESG_SG_NS1_16binary_search_opENS9_16wrapped_functionINS8_7greaterIiEEbEEEE10hipError_tPvRmT1_T2_T3_mmT4_T5_P12ihipStream_tbEUlRKiE_EESQ_SU_SV_mSW_SZ_bEUlT_E_NS1_11comp_targetILNS1_3genE8ELNS1_11target_archE1030ELNS1_3gpuE2ELNS1_3repE0EEENS1_30default_config_static_selectorELNS0_4arch9wavefront6targetE0EEEvST_
	.globl	_ZN7rocprim17ROCPRIM_400000_NS6detail17trampoline_kernelINS0_14default_configENS1_29binary_search_config_selectorIiiEEZNS1_14transform_implILb0ES3_S5_N6thrust23THRUST_200600_302600_NS6detail15normal_iteratorINS8_7pointerIiNS8_11hip_rocprim3tagENS8_11use_defaultESE_EEEESG_ZNS1_13binary_searchIS3_S5_NSA_INS8_10device_ptrIiEEEESG_SG_NS1_16binary_search_opENS9_16wrapped_functionINS8_7greaterIiEEbEEEE10hipError_tPvRmT1_T2_T3_mmT4_T5_P12ihipStream_tbEUlRKiE_EESQ_SU_SV_mSW_SZ_bEUlT_E_NS1_11comp_targetILNS1_3genE8ELNS1_11target_archE1030ELNS1_3gpuE2ELNS1_3repE0EEENS1_30default_config_static_selectorELNS0_4arch9wavefront6targetE0EEEvST_
	.p2align	8
	.type	_ZN7rocprim17ROCPRIM_400000_NS6detail17trampoline_kernelINS0_14default_configENS1_29binary_search_config_selectorIiiEEZNS1_14transform_implILb0ES3_S5_N6thrust23THRUST_200600_302600_NS6detail15normal_iteratorINS8_7pointerIiNS8_11hip_rocprim3tagENS8_11use_defaultESE_EEEESG_ZNS1_13binary_searchIS3_S5_NSA_INS8_10device_ptrIiEEEESG_SG_NS1_16binary_search_opENS9_16wrapped_functionINS8_7greaterIiEEbEEEE10hipError_tPvRmT1_T2_T3_mmT4_T5_P12ihipStream_tbEUlRKiE_EESQ_SU_SV_mSW_SZ_bEUlT_E_NS1_11comp_targetILNS1_3genE8ELNS1_11target_archE1030ELNS1_3gpuE2ELNS1_3repE0EEENS1_30default_config_static_selectorELNS0_4arch9wavefront6targetE0EEEvST_,@function
_ZN7rocprim17ROCPRIM_400000_NS6detail17trampoline_kernelINS0_14default_configENS1_29binary_search_config_selectorIiiEEZNS1_14transform_implILb0ES3_S5_N6thrust23THRUST_200600_302600_NS6detail15normal_iteratorINS8_7pointerIiNS8_11hip_rocprim3tagENS8_11use_defaultESE_EEEESG_ZNS1_13binary_searchIS3_S5_NSA_INS8_10device_ptrIiEEEESG_SG_NS1_16binary_search_opENS9_16wrapped_functionINS8_7greaterIiEEbEEEE10hipError_tPvRmT1_T2_T3_mmT4_T5_P12ihipStream_tbEUlRKiE_EESQ_SU_SV_mSW_SZ_bEUlT_E_NS1_11comp_targetILNS1_3genE8ELNS1_11target_archE1030ELNS1_3gpuE2ELNS1_3repE0EEENS1_30default_config_static_selectorELNS0_4arch9wavefront6targetE0EEEvST_: ; @_ZN7rocprim17ROCPRIM_400000_NS6detail17trampoline_kernelINS0_14default_configENS1_29binary_search_config_selectorIiiEEZNS1_14transform_implILb0ES3_S5_N6thrust23THRUST_200600_302600_NS6detail15normal_iteratorINS8_7pointerIiNS8_11hip_rocprim3tagENS8_11use_defaultESE_EEEESG_ZNS1_13binary_searchIS3_S5_NSA_INS8_10device_ptrIiEEEESG_SG_NS1_16binary_search_opENS9_16wrapped_functionINS8_7greaterIiEEbEEEE10hipError_tPvRmT1_T2_T3_mmT4_T5_P12ihipStream_tbEUlRKiE_EESQ_SU_SV_mSW_SZ_bEUlT_E_NS1_11comp_targetILNS1_3genE8ELNS1_11target_archE1030ELNS1_3gpuE2ELNS1_3repE0EEENS1_30default_config_static_selectorELNS0_4arch9wavefront6targetE0EEEvST_
; %bb.0:
	.section	.rodata,"a",@progbits
	.p2align	6, 0x0
	.amdhsa_kernel _ZN7rocprim17ROCPRIM_400000_NS6detail17trampoline_kernelINS0_14default_configENS1_29binary_search_config_selectorIiiEEZNS1_14transform_implILb0ES3_S5_N6thrust23THRUST_200600_302600_NS6detail15normal_iteratorINS8_7pointerIiNS8_11hip_rocprim3tagENS8_11use_defaultESE_EEEESG_ZNS1_13binary_searchIS3_S5_NSA_INS8_10device_ptrIiEEEESG_SG_NS1_16binary_search_opENS9_16wrapped_functionINS8_7greaterIiEEbEEEE10hipError_tPvRmT1_T2_T3_mmT4_T5_P12ihipStream_tbEUlRKiE_EESQ_SU_SV_mSW_SZ_bEUlT_E_NS1_11comp_targetILNS1_3genE8ELNS1_11target_archE1030ELNS1_3gpuE2ELNS1_3repE0EEENS1_30default_config_static_selectorELNS0_4arch9wavefront6targetE0EEEvST_
		.amdhsa_group_segment_fixed_size 0
		.amdhsa_private_segment_fixed_size 0
		.amdhsa_kernarg_size 56
		.amdhsa_user_sgpr_count 2
		.amdhsa_user_sgpr_dispatch_ptr 0
		.amdhsa_user_sgpr_queue_ptr 0
		.amdhsa_user_sgpr_kernarg_segment_ptr 1
		.amdhsa_user_sgpr_dispatch_id 0
		.amdhsa_user_sgpr_kernarg_preload_length 0
		.amdhsa_user_sgpr_kernarg_preload_offset 0
		.amdhsa_user_sgpr_private_segment_size 0
		.amdhsa_wavefront_size32 1
		.amdhsa_uses_dynamic_stack 0
		.amdhsa_enable_private_segment 0
		.amdhsa_system_sgpr_workgroup_id_x 1
		.amdhsa_system_sgpr_workgroup_id_y 0
		.amdhsa_system_sgpr_workgroup_id_z 0
		.amdhsa_system_sgpr_workgroup_info 0
		.amdhsa_system_vgpr_workitem_id 0
		.amdhsa_next_free_vgpr 1
		.amdhsa_next_free_sgpr 1
		.amdhsa_named_barrier_count 0
		.amdhsa_reserve_vcc 0
		.amdhsa_float_round_mode_32 0
		.amdhsa_float_round_mode_16_64 0
		.amdhsa_float_denorm_mode_32 3
		.amdhsa_float_denorm_mode_16_64 3
		.amdhsa_fp16_overflow 0
		.amdhsa_memory_ordered 1
		.amdhsa_forward_progress 1
		.amdhsa_inst_pref_size 0
		.amdhsa_round_robin_scheduling 0
		.amdhsa_exception_fp_ieee_invalid_op 0
		.amdhsa_exception_fp_denorm_src 0
		.amdhsa_exception_fp_ieee_div_zero 0
		.amdhsa_exception_fp_ieee_overflow 0
		.amdhsa_exception_fp_ieee_underflow 0
		.amdhsa_exception_fp_ieee_inexact 0
		.amdhsa_exception_int_div_zero 0
	.end_amdhsa_kernel
	.section	.text._ZN7rocprim17ROCPRIM_400000_NS6detail17trampoline_kernelINS0_14default_configENS1_29binary_search_config_selectorIiiEEZNS1_14transform_implILb0ES3_S5_N6thrust23THRUST_200600_302600_NS6detail15normal_iteratorINS8_7pointerIiNS8_11hip_rocprim3tagENS8_11use_defaultESE_EEEESG_ZNS1_13binary_searchIS3_S5_NSA_INS8_10device_ptrIiEEEESG_SG_NS1_16binary_search_opENS9_16wrapped_functionINS8_7greaterIiEEbEEEE10hipError_tPvRmT1_T2_T3_mmT4_T5_P12ihipStream_tbEUlRKiE_EESQ_SU_SV_mSW_SZ_bEUlT_E_NS1_11comp_targetILNS1_3genE8ELNS1_11target_archE1030ELNS1_3gpuE2ELNS1_3repE0EEENS1_30default_config_static_selectorELNS0_4arch9wavefront6targetE0EEEvST_,"axG",@progbits,_ZN7rocprim17ROCPRIM_400000_NS6detail17trampoline_kernelINS0_14default_configENS1_29binary_search_config_selectorIiiEEZNS1_14transform_implILb0ES3_S5_N6thrust23THRUST_200600_302600_NS6detail15normal_iteratorINS8_7pointerIiNS8_11hip_rocprim3tagENS8_11use_defaultESE_EEEESG_ZNS1_13binary_searchIS3_S5_NSA_INS8_10device_ptrIiEEEESG_SG_NS1_16binary_search_opENS9_16wrapped_functionINS8_7greaterIiEEbEEEE10hipError_tPvRmT1_T2_T3_mmT4_T5_P12ihipStream_tbEUlRKiE_EESQ_SU_SV_mSW_SZ_bEUlT_E_NS1_11comp_targetILNS1_3genE8ELNS1_11target_archE1030ELNS1_3gpuE2ELNS1_3repE0EEENS1_30default_config_static_selectorELNS0_4arch9wavefront6targetE0EEEvST_,comdat
.Lfunc_end166:
	.size	_ZN7rocprim17ROCPRIM_400000_NS6detail17trampoline_kernelINS0_14default_configENS1_29binary_search_config_selectorIiiEEZNS1_14transform_implILb0ES3_S5_N6thrust23THRUST_200600_302600_NS6detail15normal_iteratorINS8_7pointerIiNS8_11hip_rocprim3tagENS8_11use_defaultESE_EEEESG_ZNS1_13binary_searchIS3_S5_NSA_INS8_10device_ptrIiEEEESG_SG_NS1_16binary_search_opENS9_16wrapped_functionINS8_7greaterIiEEbEEEE10hipError_tPvRmT1_T2_T3_mmT4_T5_P12ihipStream_tbEUlRKiE_EESQ_SU_SV_mSW_SZ_bEUlT_E_NS1_11comp_targetILNS1_3genE8ELNS1_11target_archE1030ELNS1_3gpuE2ELNS1_3repE0EEENS1_30default_config_static_selectorELNS0_4arch9wavefront6targetE0EEEvST_, .Lfunc_end166-_ZN7rocprim17ROCPRIM_400000_NS6detail17trampoline_kernelINS0_14default_configENS1_29binary_search_config_selectorIiiEEZNS1_14transform_implILb0ES3_S5_N6thrust23THRUST_200600_302600_NS6detail15normal_iteratorINS8_7pointerIiNS8_11hip_rocprim3tagENS8_11use_defaultESE_EEEESG_ZNS1_13binary_searchIS3_S5_NSA_INS8_10device_ptrIiEEEESG_SG_NS1_16binary_search_opENS9_16wrapped_functionINS8_7greaterIiEEbEEEE10hipError_tPvRmT1_T2_T3_mmT4_T5_P12ihipStream_tbEUlRKiE_EESQ_SU_SV_mSW_SZ_bEUlT_E_NS1_11comp_targetILNS1_3genE8ELNS1_11target_archE1030ELNS1_3gpuE2ELNS1_3repE0EEENS1_30default_config_static_selectorELNS0_4arch9wavefront6targetE0EEEvST_
                                        ; -- End function
	.set _ZN7rocprim17ROCPRIM_400000_NS6detail17trampoline_kernelINS0_14default_configENS1_29binary_search_config_selectorIiiEEZNS1_14transform_implILb0ES3_S5_N6thrust23THRUST_200600_302600_NS6detail15normal_iteratorINS8_7pointerIiNS8_11hip_rocprim3tagENS8_11use_defaultESE_EEEESG_ZNS1_13binary_searchIS3_S5_NSA_INS8_10device_ptrIiEEEESG_SG_NS1_16binary_search_opENS9_16wrapped_functionINS8_7greaterIiEEbEEEE10hipError_tPvRmT1_T2_T3_mmT4_T5_P12ihipStream_tbEUlRKiE_EESQ_SU_SV_mSW_SZ_bEUlT_E_NS1_11comp_targetILNS1_3genE8ELNS1_11target_archE1030ELNS1_3gpuE2ELNS1_3repE0EEENS1_30default_config_static_selectorELNS0_4arch9wavefront6targetE0EEEvST_.num_vgpr, 0
	.set _ZN7rocprim17ROCPRIM_400000_NS6detail17trampoline_kernelINS0_14default_configENS1_29binary_search_config_selectorIiiEEZNS1_14transform_implILb0ES3_S5_N6thrust23THRUST_200600_302600_NS6detail15normal_iteratorINS8_7pointerIiNS8_11hip_rocprim3tagENS8_11use_defaultESE_EEEESG_ZNS1_13binary_searchIS3_S5_NSA_INS8_10device_ptrIiEEEESG_SG_NS1_16binary_search_opENS9_16wrapped_functionINS8_7greaterIiEEbEEEE10hipError_tPvRmT1_T2_T3_mmT4_T5_P12ihipStream_tbEUlRKiE_EESQ_SU_SV_mSW_SZ_bEUlT_E_NS1_11comp_targetILNS1_3genE8ELNS1_11target_archE1030ELNS1_3gpuE2ELNS1_3repE0EEENS1_30default_config_static_selectorELNS0_4arch9wavefront6targetE0EEEvST_.num_agpr, 0
	.set _ZN7rocprim17ROCPRIM_400000_NS6detail17trampoline_kernelINS0_14default_configENS1_29binary_search_config_selectorIiiEEZNS1_14transform_implILb0ES3_S5_N6thrust23THRUST_200600_302600_NS6detail15normal_iteratorINS8_7pointerIiNS8_11hip_rocprim3tagENS8_11use_defaultESE_EEEESG_ZNS1_13binary_searchIS3_S5_NSA_INS8_10device_ptrIiEEEESG_SG_NS1_16binary_search_opENS9_16wrapped_functionINS8_7greaterIiEEbEEEE10hipError_tPvRmT1_T2_T3_mmT4_T5_P12ihipStream_tbEUlRKiE_EESQ_SU_SV_mSW_SZ_bEUlT_E_NS1_11comp_targetILNS1_3genE8ELNS1_11target_archE1030ELNS1_3gpuE2ELNS1_3repE0EEENS1_30default_config_static_selectorELNS0_4arch9wavefront6targetE0EEEvST_.numbered_sgpr, 0
	.set _ZN7rocprim17ROCPRIM_400000_NS6detail17trampoline_kernelINS0_14default_configENS1_29binary_search_config_selectorIiiEEZNS1_14transform_implILb0ES3_S5_N6thrust23THRUST_200600_302600_NS6detail15normal_iteratorINS8_7pointerIiNS8_11hip_rocprim3tagENS8_11use_defaultESE_EEEESG_ZNS1_13binary_searchIS3_S5_NSA_INS8_10device_ptrIiEEEESG_SG_NS1_16binary_search_opENS9_16wrapped_functionINS8_7greaterIiEEbEEEE10hipError_tPvRmT1_T2_T3_mmT4_T5_P12ihipStream_tbEUlRKiE_EESQ_SU_SV_mSW_SZ_bEUlT_E_NS1_11comp_targetILNS1_3genE8ELNS1_11target_archE1030ELNS1_3gpuE2ELNS1_3repE0EEENS1_30default_config_static_selectorELNS0_4arch9wavefront6targetE0EEEvST_.num_named_barrier, 0
	.set _ZN7rocprim17ROCPRIM_400000_NS6detail17trampoline_kernelINS0_14default_configENS1_29binary_search_config_selectorIiiEEZNS1_14transform_implILb0ES3_S5_N6thrust23THRUST_200600_302600_NS6detail15normal_iteratorINS8_7pointerIiNS8_11hip_rocprim3tagENS8_11use_defaultESE_EEEESG_ZNS1_13binary_searchIS3_S5_NSA_INS8_10device_ptrIiEEEESG_SG_NS1_16binary_search_opENS9_16wrapped_functionINS8_7greaterIiEEbEEEE10hipError_tPvRmT1_T2_T3_mmT4_T5_P12ihipStream_tbEUlRKiE_EESQ_SU_SV_mSW_SZ_bEUlT_E_NS1_11comp_targetILNS1_3genE8ELNS1_11target_archE1030ELNS1_3gpuE2ELNS1_3repE0EEENS1_30default_config_static_selectorELNS0_4arch9wavefront6targetE0EEEvST_.private_seg_size, 0
	.set _ZN7rocprim17ROCPRIM_400000_NS6detail17trampoline_kernelINS0_14default_configENS1_29binary_search_config_selectorIiiEEZNS1_14transform_implILb0ES3_S5_N6thrust23THRUST_200600_302600_NS6detail15normal_iteratorINS8_7pointerIiNS8_11hip_rocprim3tagENS8_11use_defaultESE_EEEESG_ZNS1_13binary_searchIS3_S5_NSA_INS8_10device_ptrIiEEEESG_SG_NS1_16binary_search_opENS9_16wrapped_functionINS8_7greaterIiEEbEEEE10hipError_tPvRmT1_T2_T3_mmT4_T5_P12ihipStream_tbEUlRKiE_EESQ_SU_SV_mSW_SZ_bEUlT_E_NS1_11comp_targetILNS1_3genE8ELNS1_11target_archE1030ELNS1_3gpuE2ELNS1_3repE0EEENS1_30default_config_static_selectorELNS0_4arch9wavefront6targetE0EEEvST_.uses_vcc, 0
	.set _ZN7rocprim17ROCPRIM_400000_NS6detail17trampoline_kernelINS0_14default_configENS1_29binary_search_config_selectorIiiEEZNS1_14transform_implILb0ES3_S5_N6thrust23THRUST_200600_302600_NS6detail15normal_iteratorINS8_7pointerIiNS8_11hip_rocprim3tagENS8_11use_defaultESE_EEEESG_ZNS1_13binary_searchIS3_S5_NSA_INS8_10device_ptrIiEEEESG_SG_NS1_16binary_search_opENS9_16wrapped_functionINS8_7greaterIiEEbEEEE10hipError_tPvRmT1_T2_T3_mmT4_T5_P12ihipStream_tbEUlRKiE_EESQ_SU_SV_mSW_SZ_bEUlT_E_NS1_11comp_targetILNS1_3genE8ELNS1_11target_archE1030ELNS1_3gpuE2ELNS1_3repE0EEENS1_30default_config_static_selectorELNS0_4arch9wavefront6targetE0EEEvST_.uses_flat_scratch, 0
	.set _ZN7rocprim17ROCPRIM_400000_NS6detail17trampoline_kernelINS0_14default_configENS1_29binary_search_config_selectorIiiEEZNS1_14transform_implILb0ES3_S5_N6thrust23THRUST_200600_302600_NS6detail15normal_iteratorINS8_7pointerIiNS8_11hip_rocprim3tagENS8_11use_defaultESE_EEEESG_ZNS1_13binary_searchIS3_S5_NSA_INS8_10device_ptrIiEEEESG_SG_NS1_16binary_search_opENS9_16wrapped_functionINS8_7greaterIiEEbEEEE10hipError_tPvRmT1_T2_T3_mmT4_T5_P12ihipStream_tbEUlRKiE_EESQ_SU_SV_mSW_SZ_bEUlT_E_NS1_11comp_targetILNS1_3genE8ELNS1_11target_archE1030ELNS1_3gpuE2ELNS1_3repE0EEENS1_30default_config_static_selectorELNS0_4arch9wavefront6targetE0EEEvST_.has_dyn_sized_stack, 0
	.set _ZN7rocprim17ROCPRIM_400000_NS6detail17trampoline_kernelINS0_14default_configENS1_29binary_search_config_selectorIiiEEZNS1_14transform_implILb0ES3_S5_N6thrust23THRUST_200600_302600_NS6detail15normal_iteratorINS8_7pointerIiNS8_11hip_rocprim3tagENS8_11use_defaultESE_EEEESG_ZNS1_13binary_searchIS3_S5_NSA_INS8_10device_ptrIiEEEESG_SG_NS1_16binary_search_opENS9_16wrapped_functionINS8_7greaterIiEEbEEEE10hipError_tPvRmT1_T2_T3_mmT4_T5_P12ihipStream_tbEUlRKiE_EESQ_SU_SV_mSW_SZ_bEUlT_E_NS1_11comp_targetILNS1_3genE8ELNS1_11target_archE1030ELNS1_3gpuE2ELNS1_3repE0EEENS1_30default_config_static_selectorELNS0_4arch9wavefront6targetE0EEEvST_.has_recursion, 0
	.set _ZN7rocprim17ROCPRIM_400000_NS6detail17trampoline_kernelINS0_14default_configENS1_29binary_search_config_selectorIiiEEZNS1_14transform_implILb0ES3_S5_N6thrust23THRUST_200600_302600_NS6detail15normal_iteratorINS8_7pointerIiNS8_11hip_rocprim3tagENS8_11use_defaultESE_EEEESG_ZNS1_13binary_searchIS3_S5_NSA_INS8_10device_ptrIiEEEESG_SG_NS1_16binary_search_opENS9_16wrapped_functionINS8_7greaterIiEEbEEEE10hipError_tPvRmT1_T2_T3_mmT4_T5_P12ihipStream_tbEUlRKiE_EESQ_SU_SV_mSW_SZ_bEUlT_E_NS1_11comp_targetILNS1_3genE8ELNS1_11target_archE1030ELNS1_3gpuE2ELNS1_3repE0EEENS1_30default_config_static_selectorELNS0_4arch9wavefront6targetE0EEEvST_.has_indirect_call, 0
	.section	.AMDGPU.csdata,"",@progbits
; Kernel info:
; codeLenInByte = 0
; TotalNumSgprs: 0
; NumVgprs: 0
; ScratchSize: 0
; MemoryBound: 0
; FloatMode: 240
; IeeeMode: 1
; LDSByteSize: 0 bytes/workgroup (compile time only)
; SGPRBlocks: 0
; VGPRBlocks: 0
; NumSGPRsForWavesPerEU: 1
; NumVGPRsForWavesPerEU: 1
; NamedBarCnt: 0
; Occupancy: 16
; WaveLimiterHint : 0
; COMPUTE_PGM_RSRC2:SCRATCH_EN: 0
; COMPUTE_PGM_RSRC2:USER_SGPR: 2
; COMPUTE_PGM_RSRC2:TRAP_HANDLER: 0
; COMPUTE_PGM_RSRC2:TGID_X_EN: 1
; COMPUTE_PGM_RSRC2:TGID_Y_EN: 0
; COMPUTE_PGM_RSRC2:TGID_Z_EN: 0
; COMPUTE_PGM_RSRC2:TIDIG_COMP_CNT: 0
	.section	.text._ZN7rocprim17ROCPRIM_400000_NS6detail17trampoline_kernelINS0_14default_configENS1_29binary_search_config_selectorIfiEEZNS1_14transform_implILb0ES3_S5_N6thrust23THRUST_200600_302600_NS6detail15normal_iteratorINS8_7pointerIfNS8_11hip_rocprim3tagENS8_11use_defaultESE_EEEENSA_INSB_IiSD_SE_SE_EEEEZNS1_13binary_searchIS3_S5_NSA_INS8_10device_ptrIfEEEESG_SI_NS1_16binary_search_opENS9_16wrapped_functionINS8_7greaterIfEEbEEEE10hipError_tPvRmT1_T2_T3_mmT4_T5_P12ihipStream_tbEUlRKfE_EESS_SW_SX_mSY_S11_bEUlT_E_NS1_11comp_targetILNS1_3genE0ELNS1_11target_archE4294967295ELNS1_3gpuE0ELNS1_3repE0EEENS1_30default_config_static_selectorELNS0_4arch9wavefront6targetE0EEEvSV_,"axG",@progbits,_ZN7rocprim17ROCPRIM_400000_NS6detail17trampoline_kernelINS0_14default_configENS1_29binary_search_config_selectorIfiEEZNS1_14transform_implILb0ES3_S5_N6thrust23THRUST_200600_302600_NS6detail15normal_iteratorINS8_7pointerIfNS8_11hip_rocprim3tagENS8_11use_defaultESE_EEEENSA_INSB_IiSD_SE_SE_EEEEZNS1_13binary_searchIS3_S5_NSA_INS8_10device_ptrIfEEEESG_SI_NS1_16binary_search_opENS9_16wrapped_functionINS8_7greaterIfEEbEEEE10hipError_tPvRmT1_T2_T3_mmT4_T5_P12ihipStream_tbEUlRKfE_EESS_SW_SX_mSY_S11_bEUlT_E_NS1_11comp_targetILNS1_3genE0ELNS1_11target_archE4294967295ELNS1_3gpuE0ELNS1_3repE0EEENS1_30default_config_static_selectorELNS0_4arch9wavefront6targetE0EEEvSV_,comdat
	.protected	_ZN7rocprim17ROCPRIM_400000_NS6detail17trampoline_kernelINS0_14default_configENS1_29binary_search_config_selectorIfiEEZNS1_14transform_implILb0ES3_S5_N6thrust23THRUST_200600_302600_NS6detail15normal_iteratorINS8_7pointerIfNS8_11hip_rocprim3tagENS8_11use_defaultESE_EEEENSA_INSB_IiSD_SE_SE_EEEEZNS1_13binary_searchIS3_S5_NSA_INS8_10device_ptrIfEEEESG_SI_NS1_16binary_search_opENS9_16wrapped_functionINS8_7greaterIfEEbEEEE10hipError_tPvRmT1_T2_T3_mmT4_T5_P12ihipStream_tbEUlRKfE_EESS_SW_SX_mSY_S11_bEUlT_E_NS1_11comp_targetILNS1_3genE0ELNS1_11target_archE4294967295ELNS1_3gpuE0ELNS1_3repE0EEENS1_30default_config_static_selectorELNS0_4arch9wavefront6targetE0EEEvSV_ ; -- Begin function _ZN7rocprim17ROCPRIM_400000_NS6detail17trampoline_kernelINS0_14default_configENS1_29binary_search_config_selectorIfiEEZNS1_14transform_implILb0ES3_S5_N6thrust23THRUST_200600_302600_NS6detail15normal_iteratorINS8_7pointerIfNS8_11hip_rocprim3tagENS8_11use_defaultESE_EEEENSA_INSB_IiSD_SE_SE_EEEEZNS1_13binary_searchIS3_S5_NSA_INS8_10device_ptrIfEEEESG_SI_NS1_16binary_search_opENS9_16wrapped_functionINS8_7greaterIfEEbEEEE10hipError_tPvRmT1_T2_T3_mmT4_T5_P12ihipStream_tbEUlRKfE_EESS_SW_SX_mSY_S11_bEUlT_E_NS1_11comp_targetILNS1_3genE0ELNS1_11target_archE4294967295ELNS1_3gpuE0ELNS1_3repE0EEENS1_30default_config_static_selectorELNS0_4arch9wavefront6targetE0EEEvSV_
	.globl	_ZN7rocprim17ROCPRIM_400000_NS6detail17trampoline_kernelINS0_14default_configENS1_29binary_search_config_selectorIfiEEZNS1_14transform_implILb0ES3_S5_N6thrust23THRUST_200600_302600_NS6detail15normal_iteratorINS8_7pointerIfNS8_11hip_rocprim3tagENS8_11use_defaultESE_EEEENSA_INSB_IiSD_SE_SE_EEEEZNS1_13binary_searchIS3_S5_NSA_INS8_10device_ptrIfEEEESG_SI_NS1_16binary_search_opENS9_16wrapped_functionINS8_7greaterIfEEbEEEE10hipError_tPvRmT1_T2_T3_mmT4_T5_P12ihipStream_tbEUlRKfE_EESS_SW_SX_mSY_S11_bEUlT_E_NS1_11comp_targetILNS1_3genE0ELNS1_11target_archE4294967295ELNS1_3gpuE0ELNS1_3repE0EEENS1_30default_config_static_selectorELNS0_4arch9wavefront6targetE0EEEvSV_
	.p2align	8
	.type	_ZN7rocprim17ROCPRIM_400000_NS6detail17trampoline_kernelINS0_14default_configENS1_29binary_search_config_selectorIfiEEZNS1_14transform_implILb0ES3_S5_N6thrust23THRUST_200600_302600_NS6detail15normal_iteratorINS8_7pointerIfNS8_11hip_rocprim3tagENS8_11use_defaultESE_EEEENSA_INSB_IiSD_SE_SE_EEEEZNS1_13binary_searchIS3_S5_NSA_INS8_10device_ptrIfEEEESG_SI_NS1_16binary_search_opENS9_16wrapped_functionINS8_7greaterIfEEbEEEE10hipError_tPvRmT1_T2_T3_mmT4_T5_P12ihipStream_tbEUlRKfE_EESS_SW_SX_mSY_S11_bEUlT_E_NS1_11comp_targetILNS1_3genE0ELNS1_11target_archE4294967295ELNS1_3gpuE0ELNS1_3repE0EEENS1_30default_config_static_selectorELNS0_4arch9wavefront6targetE0EEEvSV_,@function
_ZN7rocprim17ROCPRIM_400000_NS6detail17trampoline_kernelINS0_14default_configENS1_29binary_search_config_selectorIfiEEZNS1_14transform_implILb0ES3_S5_N6thrust23THRUST_200600_302600_NS6detail15normal_iteratorINS8_7pointerIfNS8_11hip_rocprim3tagENS8_11use_defaultESE_EEEENSA_INSB_IiSD_SE_SE_EEEEZNS1_13binary_searchIS3_S5_NSA_INS8_10device_ptrIfEEEESG_SI_NS1_16binary_search_opENS9_16wrapped_functionINS8_7greaterIfEEbEEEE10hipError_tPvRmT1_T2_T3_mmT4_T5_P12ihipStream_tbEUlRKfE_EESS_SW_SX_mSY_S11_bEUlT_E_NS1_11comp_targetILNS1_3genE0ELNS1_11target_archE4294967295ELNS1_3gpuE0ELNS1_3repE0EEENS1_30default_config_static_selectorELNS0_4arch9wavefront6targetE0EEEvSV_: ; @_ZN7rocprim17ROCPRIM_400000_NS6detail17trampoline_kernelINS0_14default_configENS1_29binary_search_config_selectorIfiEEZNS1_14transform_implILb0ES3_S5_N6thrust23THRUST_200600_302600_NS6detail15normal_iteratorINS8_7pointerIfNS8_11hip_rocprim3tagENS8_11use_defaultESE_EEEENSA_INSB_IiSD_SE_SE_EEEEZNS1_13binary_searchIS3_S5_NSA_INS8_10device_ptrIfEEEESG_SI_NS1_16binary_search_opENS9_16wrapped_functionINS8_7greaterIfEEbEEEE10hipError_tPvRmT1_T2_T3_mmT4_T5_P12ihipStream_tbEUlRKfE_EESS_SW_SX_mSY_S11_bEUlT_E_NS1_11comp_targetILNS1_3genE0ELNS1_11target_archE4294967295ELNS1_3gpuE0ELNS1_3repE0EEENS1_30default_config_static_selectorELNS0_4arch9wavefront6targetE0EEEvSV_
; %bb.0:
	s_clause 0x3
	s_load_b128 s[12:15], s[0:1], 0x0
	s_load_b32 s8, s[0:1], 0x38
	s_load_b64 s[10:11], s[0:1], 0x28
	s_load_b128 s[4:7], s[0:1], 0x18
	s_bfe_u32 s2, ttmp6, 0x4000c
	s_and_b32 s3, ttmp6, 15
	s_add_co_i32 s2, s2, 1
	s_getreg_b32 s9, hwreg(HW_REG_IB_STS2, 6, 4)
	s_mul_i32 s2, ttmp9, s2
	s_delay_alu instid0(SALU_CYCLE_1)
	s_add_co_i32 s16, s3, s2
	s_wait_kmcnt 0x0
	s_lshl_b64 s[2:3], s[14:15], 2
	s_cmp_eq_u32 s9, 0
	s_add_nc_u64 s[12:13], s[12:13], s[2:3]
	s_cselect_b32 s14, ttmp9, s16
	s_add_co_i32 s15, s8, -1
	s_lshl_b32 s8, s14, 8
	s_mov_b32 s9, 0
	s_cmp_lg_u32 s14, s15
	s_mov_b32 s16, -1
	s_cbranch_scc0 .LBB167_6
; %bb.1:
	s_lshl_b64 s[14:15], s[8:9], 2
	v_mov_b64_e32 v[2:3], 0
	s_add_nc_u64 s[14:15], s[12:13], s[14:15]
	v_mov_b32_e32 v1, 0
	flat_load_b32 v6, v0, s[14:15] scale_offset
	s_cmp_eq_u64 s[10:11], 0
	s_cbranch_scc1 .LBB167_5
; %bb.2:
	v_mov_b64_e32 v[4:5], s[10:11]
	s_wait_xcnt 0x0
	s_mov_b32 s14, 0
.LBB167_3:                              ; =>This Inner Loop Header: Depth=1
	s_delay_alu instid0(VALU_DEP_1) | instskip(NEXT) | instid1(VALU_DEP_1)
	v_sub_nc_u64_e32 v[8:9], v[4:5], v[2:3]
	v_lshrrev_b64 v[10:11], 1, v[8:9]
	v_lshrrev_b64 v[8:9], 6, v[8:9]
	s_delay_alu instid0(VALU_DEP_2) | instskip(NEXT) | instid1(VALU_DEP_1)
	v_add_nc_u64_e32 v[10:11], v[10:11], v[2:3]
	v_add_nc_u64_e32 v[8:9], v[10:11], v[8:9]
	s_delay_alu instid0(VALU_DEP_1)
	v_lshl_add_u64 v[10:11], v[8:9], 2, s[6:7]
	global_load_b32 v7, v[10:11], off
	s_wait_xcnt 0x0
	v_add_nc_u64_e32 v[10:11], 1, v[8:9]
	s_wait_loadcnt_dscnt 0x0
	v_cmp_gt_f32_e32 vcc_lo, v7, v6
	v_dual_cndmask_b32 v5, v9, v5 :: v_dual_cndmask_b32 v4, v8, v4
	s_delay_alu instid0(VALU_DEP_3) | instskip(NEXT) | instid1(VALU_DEP_1)
	v_dual_cndmask_b32 v3, v3, v11 :: v_dual_cndmask_b32 v2, v2, v10
	v_cmp_ge_u64_e32 vcc_lo, v[2:3], v[4:5]
	s_or_b32 s14, vcc_lo, s14
	s_delay_alu instid0(SALU_CYCLE_1)
	s_and_not1_b32 exec_lo, exec_lo, s14
	s_cbranch_execnz .LBB167_3
; %bb.4:
	s_or_b32 exec_lo, exec_lo, s14
.LBB167_5:
	s_wait_xcnt 0x0
	v_cmp_eq_u64_e64 s14, s[10:11], v[2:3]
	v_cmp_ne_u64_e64 s15, s[10:11], v[2:3]
	s_branch .LBB167_14
.LBB167_6:
	s_mov_b32 s15, s9
	s_mov_b32 s14, s9
                                        ; implicit-def: $vgpr6
                                        ; implicit-def: $vgpr2_vgpr3
	s_and_b32 vcc_lo, exec_lo, s16
	s_cbranch_vccz .LBB167_14
; %bb.7:
	s_load_b32 s0, s[0:1], 0x10
	s_wait_xcnt 0x0
	s_mov_b32 s1, exec_lo
                                        ; implicit-def: $vgpr6
                                        ; implicit-def: $vgpr2_vgpr3
	s_wait_kmcnt 0x0
	s_sub_co_i32 s0, s0, s8
	s_delay_alu instid0(SALU_CYCLE_1)
	v_cmpx_gt_u32_e64 s0, v0
	s_cbranch_execz .LBB167_13
; %bb.8:
	s_lshl_b64 s[16:17], s[8:9], 2
	v_mov_b64_e32 v[2:3], 0
	s_add_nc_u64 s[12:13], s[12:13], s[16:17]
	v_mov_b32_e32 v1, 0
	s_wait_loadcnt_dscnt 0x0
	flat_load_b32 v6, v0, s[12:13] scale_offset
	s_cmp_eq_u64 s[10:11], 0
	s_cbranch_scc1 .LBB167_12
; %bb.9:
	v_mov_b64_e32 v[4:5], s[10:11]
	s_mov_b32 s0, 0
.LBB167_10:                             ; =>This Inner Loop Header: Depth=1
	s_delay_alu instid0(VALU_DEP_1) | instskip(NEXT) | instid1(VALU_DEP_1)
	v_sub_nc_u64_e32 v[8:9], v[4:5], v[2:3]
	v_lshrrev_b64 v[10:11], 1, v[8:9]
	v_lshrrev_b64 v[8:9], 6, v[8:9]
	s_delay_alu instid0(VALU_DEP_2) | instskip(NEXT) | instid1(VALU_DEP_1)
	v_add_nc_u64_e32 v[10:11], v[10:11], v[2:3]
	v_add_nc_u64_e32 v[8:9], v[10:11], v[8:9]
	s_delay_alu instid0(VALU_DEP_1)
	v_lshl_add_u64 v[10:11], v[8:9], 2, s[6:7]
	global_load_b32 v7, v[10:11], off
	s_wait_xcnt 0x0
	v_add_nc_u64_e32 v[10:11], 1, v[8:9]
	s_wait_loadcnt_dscnt 0x0
	v_cmp_gt_f32_e32 vcc_lo, v7, v6
	v_dual_cndmask_b32 v5, v9, v5 :: v_dual_cndmask_b32 v4, v8, v4
	s_delay_alu instid0(VALU_DEP_3) | instskip(NEXT) | instid1(VALU_DEP_1)
	v_dual_cndmask_b32 v3, v3, v11 :: v_dual_cndmask_b32 v2, v2, v10
	v_cmp_ge_u64_e32 vcc_lo, v[2:3], v[4:5]
	s_or_b32 s0, vcc_lo, s0
	s_delay_alu instid0(SALU_CYCLE_1)
	s_and_not1_b32 exec_lo, exec_lo, s0
	s_cbranch_execnz .LBB167_10
; %bb.11:
	s_or_b32 exec_lo, exec_lo, s0
.LBB167_12:
	v_cmp_eq_u64_e32 vcc_lo, s[10:11], v[2:3]
	v_cmp_ne_u64_e64 s0, s[10:11], v[2:3]
	s_and_not1_b32 s10, s14, exec_lo
	s_and_not1_b32 s11, s15, exec_lo
	s_wait_xcnt 0x0
	s_and_b32 s12, vcc_lo, exec_lo
	s_and_b32 s0, s0, exec_lo
	s_or_b32 s14, s10, s12
	s_or_b32 s15, s11, s0
.LBB167_13:
	s_or_b32 exec_lo, exec_lo, s1
.LBB167_14:
	v_mov_b32_e32 v4, 0
	s_delay_alu instid0(VALU_DEP_2)
	s_and_saveexec_b32 s0, s15
	s_cbranch_execnz .LBB167_17
; %bb.15:
	s_or_b32 exec_lo, exec_lo, s0
	s_and_saveexec_b32 s0, s14
	s_cbranch_execnz .LBB167_18
.LBB167_16:
	s_endpgm
.LBB167_17:
	v_lshl_add_u64 v[2:3], v[2:3], 2, s[6:7]
	s_or_b32 s14, s14, exec_lo
	global_load_b32 v2, v[2:3], off
	s_wait_loadcnt_dscnt 0x0
	v_cmp_ngt_f32_e32 vcc_lo, v6, v2
	v_cndmask_b32_e64 v4, 0, 1, vcc_lo
	s_or_b32 exec_lo, exec_lo, s0
	s_and_saveexec_b32 s0, s14
	s_cbranch_execz .LBB167_16
.LBB167_18:
	s_add_nc_u64 s[0:1], s[4:5], s[2:3]
	s_lshl_b64 s[2:3], s[8:9], 2
	s_delay_alu instid0(SALU_CYCLE_1) | instskip(NEXT) | instid1(SALU_CYCLE_1)
	s_add_nc_u64 s[0:1], s[0:1], s[2:3]
	v_lshl_add_u64 v[0:1], v[0:1], 2, s[0:1]
	flat_store_b32 v[0:1], v4
	s_endpgm
	.section	.rodata,"a",@progbits
	.p2align	6, 0x0
	.amdhsa_kernel _ZN7rocprim17ROCPRIM_400000_NS6detail17trampoline_kernelINS0_14default_configENS1_29binary_search_config_selectorIfiEEZNS1_14transform_implILb0ES3_S5_N6thrust23THRUST_200600_302600_NS6detail15normal_iteratorINS8_7pointerIfNS8_11hip_rocprim3tagENS8_11use_defaultESE_EEEENSA_INSB_IiSD_SE_SE_EEEEZNS1_13binary_searchIS3_S5_NSA_INS8_10device_ptrIfEEEESG_SI_NS1_16binary_search_opENS9_16wrapped_functionINS8_7greaterIfEEbEEEE10hipError_tPvRmT1_T2_T3_mmT4_T5_P12ihipStream_tbEUlRKfE_EESS_SW_SX_mSY_S11_bEUlT_E_NS1_11comp_targetILNS1_3genE0ELNS1_11target_archE4294967295ELNS1_3gpuE0ELNS1_3repE0EEENS1_30default_config_static_selectorELNS0_4arch9wavefront6targetE0EEEvSV_
		.amdhsa_group_segment_fixed_size 0
		.amdhsa_private_segment_fixed_size 0
		.amdhsa_kernarg_size 312
		.amdhsa_user_sgpr_count 2
		.amdhsa_user_sgpr_dispatch_ptr 0
		.amdhsa_user_sgpr_queue_ptr 0
		.amdhsa_user_sgpr_kernarg_segment_ptr 1
		.amdhsa_user_sgpr_dispatch_id 0
		.amdhsa_user_sgpr_kernarg_preload_length 0
		.amdhsa_user_sgpr_kernarg_preload_offset 0
		.amdhsa_user_sgpr_private_segment_size 0
		.amdhsa_wavefront_size32 1
		.amdhsa_uses_dynamic_stack 0
		.amdhsa_enable_private_segment 0
		.amdhsa_system_sgpr_workgroup_id_x 1
		.amdhsa_system_sgpr_workgroup_id_y 0
		.amdhsa_system_sgpr_workgroup_id_z 0
		.amdhsa_system_sgpr_workgroup_info 0
		.amdhsa_system_vgpr_workitem_id 0
		.amdhsa_next_free_vgpr 12
		.amdhsa_next_free_sgpr 18
		.amdhsa_named_barrier_count 0
		.amdhsa_reserve_vcc 1
		.amdhsa_float_round_mode_32 0
		.amdhsa_float_round_mode_16_64 0
		.amdhsa_float_denorm_mode_32 3
		.amdhsa_float_denorm_mode_16_64 3
		.amdhsa_fp16_overflow 0
		.amdhsa_memory_ordered 1
		.amdhsa_forward_progress 1
		.amdhsa_inst_pref_size 6
		.amdhsa_round_robin_scheduling 0
		.amdhsa_exception_fp_ieee_invalid_op 0
		.amdhsa_exception_fp_denorm_src 0
		.amdhsa_exception_fp_ieee_div_zero 0
		.amdhsa_exception_fp_ieee_overflow 0
		.amdhsa_exception_fp_ieee_underflow 0
		.amdhsa_exception_fp_ieee_inexact 0
		.amdhsa_exception_int_div_zero 0
	.end_amdhsa_kernel
	.section	.text._ZN7rocprim17ROCPRIM_400000_NS6detail17trampoline_kernelINS0_14default_configENS1_29binary_search_config_selectorIfiEEZNS1_14transform_implILb0ES3_S5_N6thrust23THRUST_200600_302600_NS6detail15normal_iteratorINS8_7pointerIfNS8_11hip_rocprim3tagENS8_11use_defaultESE_EEEENSA_INSB_IiSD_SE_SE_EEEEZNS1_13binary_searchIS3_S5_NSA_INS8_10device_ptrIfEEEESG_SI_NS1_16binary_search_opENS9_16wrapped_functionINS8_7greaterIfEEbEEEE10hipError_tPvRmT1_T2_T3_mmT4_T5_P12ihipStream_tbEUlRKfE_EESS_SW_SX_mSY_S11_bEUlT_E_NS1_11comp_targetILNS1_3genE0ELNS1_11target_archE4294967295ELNS1_3gpuE0ELNS1_3repE0EEENS1_30default_config_static_selectorELNS0_4arch9wavefront6targetE0EEEvSV_,"axG",@progbits,_ZN7rocprim17ROCPRIM_400000_NS6detail17trampoline_kernelINS0_14default_configENS1_29binary_search_config_selectorIfiEEZNS1_14transform_implILb0ES3_S5_N6thrust23THRUST_200600_302600_NS6detail15normal_iteratorINS8_7pointerIfNS8_11hip_rocprim3tagENS8_11use_defaultESE_EEEENSA_INSB_IiSD_SE_SE_EEEEZNS1_13binary_searchIS3_S5_NSA_INS8_10device_ptrIfEEEESG_SI_NS1_16binary_search_opENS9_16wrapped_functionINS8_7greaterIfEEbEEEE10hipError_tPvRmT1_T2_T3_mmT4_T5_P12ihipStream_tbEUlRKfE_EESS_SW_SX_mSY_S11_bEUlT_E_NS1_11comp_targetILNS1_3genE0ELNS1_11target_archE4294967295ELNS1_3gpuE0ELNS1_3repE0EEENS1_30default_config_static_selectorELNS0_4arch9wavefront6targetE0EEEvSV_,comdat
.Lfunc_end167:
	.size	_ZN7rocprim17ROCPRIM_400000_NS6detail17trampoline_kernelINS0_14default_configENS1_29binary_search_config_selectorIfiEEZNS1_14transform_implILb0ES3_S5_N6thrust23THRUST_200600_302600_NS6detail15normal_iteratorINS8_7pointerIfNS8_11hip_rocprim3tagENS8_11use_defaultESE_EEEENSA_INSB_IiSD_SE_SE_EEEEZNS1_13binary_searchIS3_S5_NSA_INS8_10device_ptrIfEEEESG_SI_NS1_16binary_search_opENS9_16wrapped_functionINS8_7greaterIfEEbEEEE10hipError_tPvRmT1_T2_T3_mmT4_T5_P12ihipStream_tbEUlRKfE_EESS_SW_SX_mSY_S11_bEUlT_E_NS1_11comp_targetILNS1_3genE0ELNS1_11target_archE4294967295ELNS1_3gpuE0ELNS1_3repE0EEENS1_30default_config_static_selectorELNS0_4arch9wavefront6targetE0EEEvSV_, .Lfunc_end167-_ZN7rocprim17ROCPRIM_400000_NS6detail17trampoline_kernelINS0_14default_configENS1_29binary_search_config_selectorIfiEEZNS1_14transform_implILb0ES3_S5_N6thrust23THRUST_200600_302600_NS6detail15normal_iteratorINS8_7pointerIfNS8_11hip_rocprim3tagENS8_11use_defaultESE_EEEENSA_INSB_IiSD_SE_SE_EEEEZNS1_13binary_searchIS3_S5_NSA_INS8_10device_ptrIfEEEESG_SI_NS1_16binary_search_opENS9_16wrapped_functionINS8_7greaterIfEEbEEEE10hipError_tPvRmT1_T2_T3_mmT4_T5_P12ihipStream_tbEUlRKfE_EESS_SW_SX_mSY_S11_bEUlT_E_NS1_11comp_targetILNS1_3genE0ELNS1_11target_archE4294967295ELNS1_3gpuE0ELNS1_3repE0EEENS1_30default_config_static_selectorELNS0_4arch9wavefront6targetE0EEEvSV_
                                        ; -- End function
	.set _ZN7rocprim17ROCPRIM_400000_NS6detail17trampoline_kernelINS0_14default_configENS1_29binary_search_config_selectorIfiEEZNS1_14transform_implILb0ES3_S5_N6thrust23THRUST_200600_302600_NS6detail15normal_iteratorINS8_7pointerIfNS8_11hip_rocprim3tagENS8_11use_defaultESE_EEEENSA_INSB_IiSD_SE_SE_EEEEZNS1_13binary_searchIS3_S5_NSA_INS8_10device_ptrIfEEEESG_SI_NS1_16binary_search_opENS9_16wrapped_functionINS8_7greaterIfEEbEEEE10hipError_tPvRmT1_T2_T3_mmT4_T5_P12ihipStream_tbEUlRKfE_EESS_SW_SX_mSY_S11_bEUlT_E_NS1_11comp_targetILNS1_3genE0ELNS1_11target_archE4294967295ELNS1_3gpuE0ELNS1_3repE0EEENS1_30default_config_static_selectorELNS0_4arch9wavefront6targetE0EEEvSV_.num_vgpr, 12
	.set _ZN7rocprim17ROCPRIM_400000_NS6detail17trampoline_kernelINS0_14default_configENS1_29binary_search_config_selectorIfiEEZNS1_14transform_implILb0ES3_S5_N6thrust23THRUST_200600_302600_NS6detail15normal_iteratorINS8_7pointerIfNS8_11hip_rocprim3tagENS8_11use_defaultESE_EEEENSA_INSB_IiSD_SE_SE_EEEEZNS1_13binary_searchIS3_S5_NSA_INS8_10device_ptrIfEEEESG_SI_NS1_16binary_search_opENS9_16wrapped_functionINS8_7greaterIfEEbEEEE10hipError_tPvRmT1_T2_T3_mmT4_T5_P12ihipStream_tbEUlRKfE_EESS_SW_SX_mSY_S11_bEUlT_E_NS1_11comp_targetILNS1_3genE0ELNS1_11target_archE4294967295ELNS1_3gpuE0ELNS1_3repE0EEENS1_30default_config_static_selectorELNS0_4arch9wavefront6targetE0EEEvSV_.num_agpr, 0
	.set _ZN7rocprim17ROCPRIM_400000_NS6detail17trampoline_kernelINS0_14default_configENS1_29binary_search_config_selectorIfiEEZNS1_14transform_implILb0ES3_S5_N6thrust23THRUST_200600_302600_NS6detail15normal_iteratorINS8_7pointerIfNS8_11hip_rocprim3tagENS8_11use_defaultESE_EEEENSA_INSB_IiSD_SE_SE_EEEEZNS1_13binary_searchIS3_S5_NSA_INS8_10device_ptrIfEEEESG_SI_NS1_16binary_search_opENS9_16wrapped_functionINS8_7greaterIfEEbEEEE10hipError_tPvRmT1_T2_T3_mmT4_T5_P12ihipStream_tbEUlRKfE_EESS_SW_SX_mSY_S11_bEUlT_E_NS1_11comp_targetILNS1_3genE0ELNS1_11target_archE4294967295ELNS1_3gpuE0ELNS1_3repE0EEENS1_30default_config_static_selectorELNS0_4arch9wavefront6targetE0EEEvSV_.numbered_sgpr, 18
	.set _ZN7rocprim17ROCPRIM_400000_NS6detail17trampoline_kernelINS0_14default_configENS1_29binary_search_config_selectorIfiEEZNS1_14transform_implILb0ES3_S5_N6thrust23THRUST_200600_302600_NS6detail15normal_iteratorINS8_7pointerIfNS8_11hip_rocprim3tagENS8_11use_defaultESE_EEEENSA_INSB_IiSD_SE_SE_EEEEZNS1_13binary_searchIS3_S5_NSA_INS8_10device_ptrIfEEEESG_SI_NS1_16binary_search_opENS9_16wrapped_functionINS8_7greaterIfEEbEEEE10hipError_tPvRmT1_T2_T3_mmT4_T5_P12ihipStream_tbEUlRKfE_EESS_SW_SX_mSY_S11_bEUlT_E_NS1_11comp_targetILNS1_3genE0ELNS1_11target_archE4294967295ELNS1_3gpuE0ELNS1_3repE0EEENS1_30default_config_static_selectorELNS0_4arch9wavefront6targetE0EEEvSV_.num_named_barrier, 0
	.set _ZN7rocprim17ROCPRIM_400000_NS6detail17trampoline_kernelINS0_14default_configENS1_29binary_search_config_selectorIfiEEZNS1_14transform_implILb0ES3_S5_N6thrust23THRUST_200600_302600_NS6detail15normal_iteratorINS8_7pointerIfNS8_11hip_rocprim3tagENS8_11use_defaultESE_EEEENSA_INSB_IiSD_SE_SE_EEEEZNS1_13binary_searchIS3_S5_NSA_INS8_10device_ptrIfEEEESG_SI_NS1_16binary_search_opENS9_16wrapped_functionINS8_7greaterIfEEbEEEE10hipError_tPvRmT1_T2_T3_mmT4_T5_P12ihipStream_tbEUlRKfE_EESS_SW_SX_mSY_S11_bEUlT_E_NS1_11comp_targetILNS1_3genE0ELNS1_11target_archE4294967295ELNS1_3gpuE0ELNS1_3repE0EEENS1_30default_config_static_selectorELNS0_4arch9wavefront6targetE0EEEvSV_.private_seg_size, 0
	.set _ZN7rocprim17ROCPRIM_400000_NS6detail17trampoline_kernelINS0_14default_configENS1_29binary_search_config_selectorIfiEEZNS1_14transform_implILb0ES3_S5_N6thrust23THRUST_200600_302600_NS6detail15normal_iteratorINS8_7pointerIfNS8_11hip_rocprim3tagENS8_11use_defaultESE_EEEENSA_INSB_IiSD_SE_SE_EEEEZNS1_13binary_searchIS3_S5_NSA_INS8_10device_ptrIfEEEESG_SI_NS1_16binary_search_opENS9_16wrapped_functionINS8_7greaterIfEEbEEEE10hipError_tPvRmT1_T2_T3_mmT4_T5_P12ihipStream_tbEUlRKfE_EESS_SW_SX_mSY_S11_bEUlT_E_NS1_11comp_targetILNS1_3genE0ELNS1_11target_archE4294967295ELNS1_3gpuE0ELNS1_3repE0EEENS1_30default_config_static_selectorELNS0_4arch9wavefront6targetE0EEEvSV_.uses_vcc, 1
	.set _ZN7rocprim17ROCPRIM_400000_NS6detail17trampoline_kernelINS0_14default_configENS1_29binary_search_config_selectorIfiEEZNS1_14transform_implILb0ES3_S5_N6thrust23THRUST_200600_302600_NS6detail15normal_iteratorINS8_7pointerIfNS8_11hip_rocprim3tagENS8_11use_defaultESE_EEEENSA_INSB_IiSD_SE_SE_EEEEZNS1_13binary_searchIS3_S5_NSA_INS8_10device_ptrIfEEEESG_SI_NS1_16binary_search_opENS9_16wrapped_functionINS8_7greaterIfEEbEEEE10hipError_tPvRmT1_T2_T3_mmT4_T5_P12ihipStream_tbEUlRKfE_EESS_SW_SX_mSY_S11_bEUlT_E_NS1_11comp_targetILNS1_3genE0ELNS1_11target_archE4294967295ELNS1_3gpuE0ELNS1_3repE0EEENS1_30default_config_static_selectorELNS0_4arch9wavefront6targetE0EEEvSV_.uses_flat_scratch, 0
	.set _ZN7rocprim17ROCPRIM_400000_NS6detail17trampoline_kernelINS0_14default_configENS1_29binary_search_config_selectorIfiEEZNS1_14transform_implILb0ES3_S5_N6thrust23THRUST_200600_302600_NS6detail15normal_iteratorINS8_7pointerIfNS8_11hip_rocprim3tagENS8_11use_defaultESE_EEEENSA_INSB_IiSD_SE_SE_EEEEZNS1_13binary_searchIS3_S5_NSA_INS8_10device_ptrIfEEEESG_SI_NS1_16binary_search_opENS9_16wrapped_functionINS8_7greaterIfEEbEEEE10hipError_tPvRmT1_T2_T3_mmT4_T5_P12ihipStream_tbEUlRKfE_EESS_SW_SX_mSY_S11_bEUlT_E_NS1_11comp_targetILNS1_3genE0ELNS1_11target_archE4294967295ELNS1_3gpuE0ELNS1_3repE0EEENS1_30default_config_static_selectorELNS0_4arch9wavefront6targetE0EEEvSV_.has_dyn_sized_stack, 0
	.set _ZN7rocprim17ROCPRIM_400000_NS6detail17trampoline_kernelINS0_14default_configENS1_29binary_search_config_selectorIfiEEZNS1_14transform_implILb0ES3_S5_N6thrust23THRUST_200600_302600_NS6detail15normal_iteratorINS8_7pointerIfNS8_11hip_rocprim3tagENS8_11use_defaultESE_EEEENSA_INSB_IiSD_SE_SE_EEEEZNS1_13binary_searchIS3_S5_NSA_INS8_10device_ptrIfEEEESG_SI_NS1_16binary_search_opENS9_16wrapped_functionINS8_7greaterIfEEbEEEE10hipError_tPvRmT1_T2_T3_mmT4_T5_P12ihipStream_tbEUlRKfE_EESS_SW_SX_mSY_S11_bEUlT_E_NS1_11comp_targetILNS1_3genE0ELNS1_11target_archE4294967295ELNS1_3gpuE0ELNS1_3repE0EEENS1_30default_config_static_selectorELNS0_4arch9wavefront6targetE0EEEvSV_.has_recursion, 0
	.set _ZN7rocprim17ROCPRIM_400000_NS6detail17trampoline_kernelINS0_14default_configENS1_29binary_search_config_selectorIfiEEZNS1_14transform_implILb0ES3_S5_N6thrust23THRUST_200600_302600_NS6detail15normal_iteratorINS8_7pointerIfNS8_11hip_rocprim3tagENS8_11use_defaultESE_EEEENSA_INSB_IiSD_SE_SE_EEEEZNS1_13binary_searchIS3_S5_NSA_INS8_10device_ptrIfEEEESG_SI_NS1_16binary_search_opENS9_16wrapped_functionINS8_7greaterIfEEbEEEE10hipError_tPvRmT1_T2_T3_mmT4_T5_P12ihipStream_tbEUlRKfE_EESS_SW_SX_mSY_S11_bEUlT_E_NS1_11comp_targetILNS1_3genE0ELNS1_11target_archE4294967295ELNS1_3gpuE0ELNS1_3repE0EEENS1_30default_config_static_selectorELNS0_4arch9wavefront6targetE0EEEvSV_.has_indirect_call, 0
	.section	.AMDGPU.csdata,"",@progbits
; Kernel info:
; codeLenInByte = 696
; TotalNumSgprs: 20
; NumVgprs: 12
; ScratchSize: 0
; MemoryBound: 0
; FloatMode: 240
; IeeeMode: 1
; LDSByteSize: 0 bytes/workgroup (compile time only)
; SGPRBlocks: 0
; VGPRBlocks: 0
; NumSGPRsForWavesPerEU: 20
; NumVGPRsForWavesPerEU: 12
; NamedBarCnt: 0
; Occupancy: 16
; WaveLimiterHint : 0
; COMPUTE_PGM_RSRC2:SCRATCH_EN: 0
; COMPUTE_PGM_RSRC2:USER_SGPR: 2
; COMPUTE_PGM_RSRC2:TRAP_HANDLER: 0
; COMPUTE_PGM_RSRC2:TGID_X_EN: 1
; COMPUTE_PGM_RSRC2:TGID_Y_EN: 0
; COMPUTE_PGM_RSRC2:TGID_Z_EN: 0
; COMPUTE_PGM_RSRC2:TIDIG_COMP_CNT: 0
	.section	.text._ZN7rocprim17ROCPRIM_400000_NS6detail17trampoline_kernelINS0_14default_configENS1_29binary_search_config_selectorIfiEEZNS1_14transform_implILb0ES3_S5_N6thrust23THRUST_200600_302600_NS6detail15normal_iteratorINS8_7pointerIfNS8_11hip_rocprim3tagENS8_11use_defaultESE_EEEENSA_INSB_IiSD_SE_SE_EEEEZNS1_13binary_searchIS3_S5_NSA_INS8_10device_ptrIfEEEESG_SI_NS1_16binary_search_opENS9_16wrapped_functionINS8_7greaterIfEEbEEEE10hipError_tPvRmT1_T2_T3_mmT4_T5_P12ihipStream_tbEUlRKfE_EESS_SW_SX_mSY_S11_bEUlT_E_NS1_11comp_targetILNS1_3genE5ELNS1_11target_archE942ELNS1_3gpuE9ELNS1_3repE0EEENS1_30default_config_static_selectorELNS0_4arch9wavefront6targetE0EEEvSV_,"axG",@progbits,_ZN7rocprim17ROCPRIM_400000_NS6detail17trampoline_kernelINS0_14default_configENS1_29binary_search_config_selectorIfiEEZNS1_14transform_implILb0ES3_S5_N6thrust23THRUST_200600_302600_NS6detail15normal_iteratorINS8_7pointerIfNS8_11hip_rocprim3tagENS8_11use_defaultESE_EEEENSA_INSB_IiSD_SE_SE_EEEEZNS1_13binary_searchIS3_S5_NSA_INS8_10device_ptrIfEEEESG_SI_NS1_16binary_search_opENS9_16wrapped_functionINS8_7greaterIfEEbEEEE10hipError_tPvRmT1_T2_T3_mmT4_T5_P12ihipStream_tbEUlRKfE_EESS_SW_SX_mSY_S11_bEUlT_E_NS1_11comp_targetILNS1_3genE5ELNS1_11target_archE942ELNS1_3gpuE9ELNS1_3repE0EEENS1_30default_config_static_selectorELNS0_4arch9wavefront6targetE0EEEvSV_,comdat
	.protected	_ZN7rocprim17ROCPRIM_400000_NS6detail17trampoline_kernelINS0_14default_configENS1_29binary_search_config_selectorIfiEEZNS1_14transform_implILb0ES3_S5_N6thrust23THRUST_200600_302600_NS6detail15normal_iteratorINS8_7pointerIfNS8_11hip_rocprim3tagENS8_11use_defaultESE_EEEENSA_INSB_IiSD_SE_SE_EEEEZNS1_13binary_searchIS3_S5_NSA_INS8_10device_ptrIfEEEESG_SI_NS1_16binary_search_opENS9_16wrapped_functionINS8_7greaterIfEEbEEEE10hipError_tPvRmT1_T2_T3_mmT4_T5_P12ihipStream_tbEUlRKfE_EESS_SW_SX_mSY_S11_bEUlT_E_NS1_11comp_targetILNS1_3genE5ELNS1_11target_archE942ELNS1_3gpuE9ELNS1_3repE0EEENS1_30default_config_static_selectorELNS0_4arch9wavefront6targetE0EEEvSV_ ; -- Begin function _ZN7rocprim17ROCPRIM_400000_NS6detail17trampoline_kernelINS0_14default_configENS1_29binary_search_config_selectorIfiEEZNS1_14transform_implILb0ES3_S5_N6thrust23THRUST_200600_302600_NS6detail15normal_iteratorINS8_7pointerIfNS8_11hip_rocprim3tagENS8_11use_defaultESE_EEEENSA_INSB_IiSD_SE_SE_EEEEZNS1_13binary_searchIS3_S5_NSA_INS8_10device_ptrIfEEEESG_SI_NS1_16binary_search_opENS9_16wrapped_functionINS8_7greaterIfEEbEEEE10hipError_tPvRmT1_T2_T3_mmT4_T5_P12ihipStream_tbEUlRKfE_EESS_SW_SX_mSY_S11_bEUlT_E_NS1_11comp_targetILNS1_3genE5ELNS1_11target_archE942ELNS1_3gpuE9ELNS1_3repE0EEENS1_30default_config_static_selectorELNS0_4arch9wavefront6targetE0EEEvSV_
	.globl	_ZN7rocprim17ROCPRIM_400000_NS6detail17trampoline_kernelINS0_14default_configENS1_29binary_search_config_selectorIfiEEZNS1_14transform_implILb0ES3_S5_N6thrust23THRUST_200600_302600_NS6detail15normal_iteratorINS8_7pointerIfNS8_11hip_rocprim3tagENS8_11use_defaultESE_EEEENSA_INSB_IiSD_SE_SE_EEEEZNS1_13binary_searchIS3_S5_NSA_INS8_10device_ptrIfEEEESG_SI_NS1_16binary_search_opENS9_16wrapped_functionINS8_7greaterIfEEbEEEE10hipError_tPvRmT1_T2_T3_mmT4_T5_P12ihipStream_tbEUlRKfE_EESS_SW_SX_mSY_S11_bEUlT_E_NS1_11comp_targetILNS1_3genE5ELNS1_11target_archE942ELNS1_3gpuE9ELNS1_3repE0EEENS1_30default_config_static_selectorELNS0_4arch9wavefront6targetE0EEEvSV_
	.p2align	8
	.type	_ZN7rocprim17ROCPRIM_400000_NS6detail17trampoline_kernelINS0_14default_configENS1_29binary_search_config_selectorIfiEEZNS1_14transform_implILb0ES3_S5_N6thrust23THRUST_200600_302600_NS6detail15normal_iteratorINS8_7pointerIfNS8_11hip_rocprim3tagENS8_11use_defaultESE_EEEENSA_INSB_IiSD_SE_SE_EEEEZNS1_13binary_searchIS3_S5_NSA_INS8_10device_ptrIfEEEESG_SI_NS1_16binary_search_opENS9_16wrapped_functionINS8_7greaterIfEEbEEEE10hipError_tPvRmT1_T2_T3_mmT4_T5_P12ihipStream_tbEUlRKfE_EESS_SW_SX_mSY_S11_bEUlT_E_NS1_11comp_targetILNS1_3genE5ELNS1_11target_archE942ELNS1_3gpuE9ELNS1_3repE0EEENS1_30default_config_static_selectorELNS0_4arch9wavefront6targetE0EEEvSV_,@function
_ZN7rocprim17ROCPRIM_400000_NS6detail17trampoline_kernelINS0_14default_configENS1_29binary_search_config_selectorIfiEEZNS1_14transform_implILb0ES3_S5_N6thrust23THRUST_200600_302600_NS6detail15normal_iteratorINS8_7pointerIfNS8_11hip_rocprim3tagENS8_11use_defaultESE_EEEENSA_INSB_IiSD_SE_SE_EEEEZNS1_13binary_searchIS3_S5_NSA_INS8_10device_ptrIfEEEESG_SI_NS1_16binary_search_opENS9_16wrapped_functionINS8_7greaterIfEEbEEEE10hipError_tPvRmT1_T2_T3_mmT4_T5_P12ihipStream_tbEUlRKfE_EESS_SW_SX_mSY_S11_bEUlT_E_NS1_11comp_targetILNS1_3genE5ELNS1_11target_archE942ELNS1_3gpuE9ELNS1_3repE0EEENS1_30default_config_static_selectorELNS0_4arch9wavefront6targetE0EEEvSV_: ; @_ZN7rocprim17ROCPRIM_400000_NS6detail17trampoline_kernelINS0_14default_configENS1_29binary_search_config_selectorIfiEEZNS1_14transform_implILb0ES3_S5_N6thrust23THRUST_200600_302600_NS6detail15normal_iteratorINS8_7pointerIfNS8_11hip_rocprim3tagENS8_11use_defaultESE_EEEENSA_INSB_IiSD_SE_SE_EEEEZNS1_13binary_searchIS3_S5_NSA_INS8_10device_ptrIfEEEESG_SI_NS1_16binary_search_opENS9_16wrapped_functionINS8_7greaterIfEEbEEEE10hipError_tPvRmT1_T2_T3_mmT4_T5_P12ihipStream_tbEUlRKfE_EESS_SW_SX_mSY_S11_bEUlT_E_NS1_11comp_targetILNS1_3genE5ELNS1_11target_archE942ELNS1_3gpuE9ELNS1_3repE0EEENS1_30default_config_static_selectorELNS0_4arch9wavefront6targetE0EEEvSV_
; %bb.0:
	.section	.rodata,"a",@progbits
	.p2align	6, 0x0
	.amdhsa_kernel _ZN7rocprim17ROCPRIM_400000_NS6detail17trampoline_kernelINS0_14default_configENS1_29binary_search_config_selectorIfiEEZNS1_14transform_implILb0ES3_S5_N6thrust23THRUST_200600_302600_NS6detail15normal_iteratorINS8_7pointerIfNS8_11hip_rocprim3tagENS8_11use_defaultESE_EEEENSA_INSB_IiSD_SE_SE_EEEEZNS1_13binary_searchIS3_S5_NSA_INS8_10device_ptrIfEEEESG_SI_NS1_16binary_search_opENS9_16wrapped_functionINS8_7greaterIfEEbEEEE10hipError_tPvRmT1_T2_T3_mmT4_T5_P12ihipStream_tbEUlRKfE_EESS_SW_SX_mSY_S11_bEUlT_E_NS1_11comp_targetILNS1_3genE5ELNS1_11target_archE942ELNS1_3gpuE9ELNS1_3repE0EEENS1_30default_config_static_selectorELNS0_4arch9wavefront6targetE0EEEvSV_
		.amdhsa_group_segment_fixed_size 0
		.amdhsa_private_segment_fixed_size 0
		.amdhsa_kernarg_size 56
		.amdhsa_user_sgpr_count 2
		.amdhsa_user_sgpr_dispatch_ptr 0
		.amdhsa_user_sgpr_queue_ptr 0
		.amdhsa_user_sgpr_kernarg_segment_ptr 1
		.amdhsa_user_sgpr_dispatch_id 0
		.amdhsa_user_sgpr_kernarg_preload_length 0
		.amdhsa_user_sgpr_kernarg_preload_offset 0
		.amdhsa_user_sgpr_private_segment_size 0
		.amdhsa_wavefront_size32 1
		.amdhsa_uses_dynamic_stack 0
		.amdhsa_enable_private_segment 0
		.amdhsa_system_sgpr_workgroup_id_x 1
		.amdhsa_system_sgpr_workgroup_id_y 0
		.amdhsa_system_sgpr_workgroup_id_z 0
		.amdhsa_system_sgpr_workgroup_info 0
		.amdhsa_system_vgpr_workitem_id 0
		.amdhsa_next_free_vgpr 1
		.amdhsa_next_free_sgpr 1
		.amdhsa_named_barrier_count 0
		.amdhsa_reserve_vcc 0
		.amdhsa_float_round_mode_32 0
		.amdhsa_float_round_mode_16_64 0
		.amdhsa_float_denorm_mode_32 3
		.amdhsa_float_denorm_mode_16_64 3
		.amdhsa_fp16_overflow 0
		.amdhsa_memory_ordered 1
		.amdhsa_forward_progress 1
		.amdhsa_inst_pref_size 0
		.amdhsa_round_robin_scheduling 0
		.amdhsa_exception_fp_ieee_invalid_op 0
		.amdhsa_exception_fp_denorm_src 0
		.amdhsa_exception_fp_ieee_div_zero 0
		.amdhsa_exception_fp_ieee_overflow 0
		.amdhsa_exception_fp_ieee_underflow 0
		.amdhsa_exception_fp_ieee_inexact 0
		.amdhsa_exception_int_div_zero 0
	.end_amdhsa_kernel
	.section	.text._ZN7rocprim17ROCPRIM_400000_NS6detail17trampoline_kernelINS0_14default_configENS1_29binary_search_config_selectorIfiEEZNS1_14transform_implILb0ES3_S5_N6thrust23THRUST_200600_302600_NS6detail15normal_iteratorINS8_7pointerIfNS8_11hip_rocprim3tagENS8_11use_defaultESE_EEEENSA_INSB_IiSD_SE_SE_EEEEZNS1_13binary_searchIS3_S5_NSA_INS8_10device_ptrIfEEEESG_SI_NS1_16binary_search_opENS9_16wrapped_functionINS8_7greaterIfEEbEEEE10hipError_tPvRmT1_T2_T3_mmT4_T5_P12ihipStream_tbEUlRKfE_EESS_SW_SX_mSY_S11_bEUlT_E_NS1_11comp_targetILNS1_3genE5ELNS1_11target_archE942ELNS1_3gpuE9ELNS1_3repE0EEENS1_30default_config_static_selectorELNS0_4arch9wavefront6targetE0EEEvSV_,"axG",@progbits,_ZN7rocprim17ROCPRIM_400000_NS6detail17trampoline_kernelINS0_14default_configENS1_29binary_search_config_selectorIfiEEZNS1_14transform_implILb0ES3_S5_N6thrust23THRUST_200600_302600_NS6detail15normal_iteratorINS8_7pointerIfNS8_11hip_rocprim3tagENS8_11use_defaultESE_EEEENSA_INSB_IiSD_SE_SE_EEEEZNS1_13binary_searchIS3_S5_NSA_INS8_10device_ptrIfEEEESG_SI_NS1_16binary_search_opENS9_16wrapped_functionINS8_7greaterIfEEbEEEE10hipError_tPvRmT1_T2_T3_mmT4_T5_P12ihipStream_tbEUlRKfE_EESS_SW_SX_mSY_S11_bEUlT_E_NS1_11comp_targetILNS1_3genE5ELNS1_11target_archE942ELNS1_3gpuE9ELNS1_3repE0EEENS1_30default_config_static_selectorELNS0_4arch9wavefront6targetE0EEEvSV_,comdat
.Lfunc_end168:
	.size	_ZN7rocprim17ROCPRIM_400000_NS6detail17trampoline_kernelINS0_14default_configENS1_29binary_search_config_selectorIfiEEZNS1_14transform_implILb0ES3_S5_N6thrust23THRUST_200600_302600_NS6detail15normal_iteratorINS8_7pointerIfNS8_11hip_rocprim3tagENS8_11use_defaultESE_EEEENSA_INSB_IiSD_SE_SE_EEEEZNS1_13binary_searchIS3_S5_NSA_INS8_10device_ptrIfEEEESG_SI_NS1_16binary_search_opENS9_16wrapped_functionINS8_7greaterIfEEbEEEE10hipError_tPvRmT1_T2_T3_mmT4_T5_P12ihipStream_tbEUlRKfE_EESS_SW_SX_mSY_S11_bEUlT_E_NS1_11comp_targetILNS1_3genE5ELNS1_11target_archE942ELNS1_3gpuE9ELNS1_3repE0EEENS1_30default_config_static_selectorELNS0_4arch9wavefront6targetE0EEEvSV_, .Lfunc_end168-_ZN7rocprim17ROCPRIM_400000_NS6detail17trampoline_kernelINS0_14default_configENS1_29binary_search_config_selectorIfiEEZNS1_14transform_implILb0ES3_S5_N6thrust23THRUST_200600_302600_NS6detail15normal_iteratorINS8_7pointerIfNS8_11hip_rocprim3tagENS8_11use_defaultESE_EEEENSA_INSB_IiSD_SE_SE_EEEEZNS1_13binary_searchIS3_S5_NSA_INS8_10device_ptrIfEEEESG_SI_NS1_16binary_search_opENS9_16wrapped_functionINS8_7greaterIfEEbEEEE10hipError_tPvRmT1_T2_T3_mmT4_T5_P12ihipStream_tbEUlRKfE_EESS_SW_SX_mSY_S11_bEUlT_E_NS1_11comp_targetILNS1_3genE5ELNS1_11target_archE942ELNS1_3gpuE9ELNS1_3repE0EEENS1_30default_config_static_selectorELNS0_4arch9wavefront6targetE0EEEvSV_
                                        ; -- End function
	.set _ZN7rocprim17ROCPRIM_400000_NS6detail17trampoline_kernelINS0_14default_configENS1_29binary_search_config_selectorIfiEEZNS1_14transform_implILb0ES3_S5_N6thrust23THRUST_200600_302600_NS6detail15normal_iteratorINS8_7pointerIfNS8_11hip_rocprim3tagENS8_11use_defaultESE_EEEENSA_INSB_IiSD_SE_SE_EEEEZNS1_13binary_searchIS3_S5_NSA_INS8_10device_ptrIfEEEESG_SI_NS1_16binary_search_opENS9_16wrapped_functionINS8_7greaterIfEEbEEEE10hipError_tPvRmT1_T2_T3_mmT4_T5_P12ihipStream_tbEUlRKfE_EESS_SW_SX_mSY_S11_bEUlT_E_NS1_11comp_targetILNS1_3genE5ELNS1_11target_archE942ELNS1_3gpuE9ELNS1_3repE0EEENS1_30default_config_static_selectorELNS0_4arch9wavefront6targetE0EEEvSV_.num_vgpr, 0
	.set _ZN7rocprim17ROCPRIM_400000_NS6detail17trampoline_kernelINS0_14default_configENS1_29binary_search_config_selectorIfiEEZNS1_14transform_implILb0ES3_S5_N6thrust23THRUST_200600_302600_NS6detail15normal_iteratorINS8_7pointerIfNS8_11hip_rocprim3tagENS8_11use_defaultESE_EEEENSA_INSB_IiSD_SE_SE_EEEEZNS1_13binary_searchIS3_S5_NSA_INS8_10device_ptrIfEEEESG_SI_NS1_16binary_search_opENS9_16wrapped_functionINS8_7greaterIfEEbEEEE10hipError_tPvRmT1_T2_T3_mmT4_T5_P12ihipStream_tbEUlRKfE_EESS_SW_SX_mSY_S11_bEUlT_E_NS1_11comp_targetILNS1_3genE5ELNS1_11target_archE942ELNS1_3gpuE9ELNS1_3repE0EEENS1_30default_config_static_selectorELNS0_4arch9wavefront6targetE0EEEvSV_.num_agpr, 0
	.set _ZN7rocprim17ROCPRIM_400000_NS6detail17trampoline_kernelINS0_14default_configENS1_29binary_search_config_selectorIfiEEZNS1_14transform_implILb0ES3_S5_N6thrust23THRUST_200600_302600_NS6detail15normal_iteratorINS8_7pointerIfNS8_11hip_rocprim3tagENS8_11use_defaultESE_EEEENSA_INSB_IiSD_SE_SE_EEEEZNS1_13binary_searchIS3_S5_NSA_INS8_10device_ptrIfEEEESG_SI_NS1_16binary_search_opENS9_16wrapped_functionINS8_7greaterIfEEbEEEE10hipError_tPvRmT1_T2_T3_mmT4_T5_P12ihipStream_tbEUlRKfE_EESS_SW_SX_mSY_S11_bEUlT_E_NS1_11comp_targetILNS1_3genE5ELNS1_11target_archE942ELNS1_3gpuE9ELNS1_3repE0EEENS1_30default_config_static_selectorELNS0_4arch9wavefront6targetE0EEEvSV_.numbered_sgpr, 0
	.set _ZN7rocprim17ROCPRIM_400000_NS6detail17trampoline_kernelINS0_14default_configENS1_29binary_search_config_selectorIfiEEZNS1_14transform_implILb0ES3_S5_N6thrust23THRUST_200600_302600_NS6detail15normal_iteratorINS8_7pointerIfNS8_11hip_rocprim3tagENS8_11use_defaultESE_EEEENSA_INSB_IiSD_SE_SE_EEEEZNS1_13binary_searchIS3_S5_NSA_INS8_10device_ptrIfEEEESG_SI_NS1_16binary_search_opENS9_16wrapped_functionINS8_7greaterIfEEbEEEE10hipError_tPvRmT1_T2_T3_mmT4_T5_P12ihipStream_tbEUlRKfE_EESS_SW_SX_mSY_S11_bEUlT_E_NS1_11comp_targetILNS1_3genE5ELNS1_11target_archE942ELNS1_3gpuE9ELNS1_3repE0EEENS1_30default_config_static_selectorELNS0_4arch9wavefront6targetE0EEEvSV_.num_named_barrier, 0
	.set _ZN7rocprim17ROCPRIM_400000_NS6detail17trampoline_kernelINS0_14default_configENS1_29binary_search_config_selectorIfiEEZNS1_14transform_implILb0ES3_S5_N6thrust23THRUST_200600_302600_NS6detail15normal_iteratorINS8_7pointerIfNS8_11hip_rocprim3tagENS8_11use_defaultESE_EEEENSA_INSB_IiSD_SE_SE_EEEEZNS1_13binary_searchIS3_S5_NSA_INS8_10device_ptrIfEEEESG_SI_NS1_16binary_search_opENS9_16wrapped_functionINS8_7greaterIfEEbEEEE10hipError_tPvRmT1_T2_T3_mmT4_T5_P12ihipStream_tbEUlRKfE_EESS_SW_SX_mSY_S11_bEUlT_E_NS1_11comp_targetILNS1_3genE5ELNS1_11target_archE942ELNS1_3gpuE9ELNS1_3repE0EEENS1_30default_config_static_selectorELNS0_4arch9wavefront6targetE0EEEvSV_.private_seg_size, 0
	.set _ZN7rocprim17ROCPRIM_400000_NS6detail17trampoline_kernelINS0_14default_configENS1_29binary_search_config_selectorIfiEEZNS1_14transform_implILb0ES3_S5_N6thrust23THRUST_200600_302600_NS6detail15normal_iteratorINS8_7pointerIfNS8_11hip_rocprim3tagENS8_11use_defaultESE_EEEENSA_INSB_IiSD_SE_SE_EEEEZNS1_13binary_searchIS3_S5_NSA_INS8_10device_ptrIfEEEESG_SI_NS1_16binary_search_opENS9_16wrapped_functionINS8_7greaterIfEEbEEEE10hipError_tPvRmT1_T2_T3_mmT4_T5_P12ihipStream_tbEUlRKfE_EESS_SW_SX_mSY_S11_bEUlT_E_NS1_11comp_targetILNS1_3genE5ELNS1_11target_archE942ELNS1_3gpuE9ELNS1_3repE0EEENS1_30default_config_static_selectorELNS0_4arch9wavefront6targetE0EEEvSV_.uses_vcc, 0
	.set _ZN7rocprim17ROCPRIM_400000_NS6detail17trampoline_kernelINS0_14default_configENS1_29binary_search_config_selectorIfiEEZNS1_14transform_implILb0ES3_S5_N6thrust23THRUST_200600_302600_NS6detail15normal_iteratorINS8_7pointerIfNS8_11hip_rocprim3tagENS8_11use_defaultESE_EEEENSA_INSB_IiSD_SE_SE_EEEEZNS1_13binary_searchIS3_S5_NSA_INS8_10device_ptrIfEEEESG_SI_NS1_16binary_search_opENS9_16wrapped_functionINS8_7greaterIfEEbEEEE10hipError_tPvRmT1_T2_T3_mmT4_T5_P12ihipStream_tbEUlRKfE_EESS_SW_SX_mSY_S11_bEUlT_E_NS1_11comp_targetILNS1_3genE5ELNS1_11target_archE942ELNS1_3gpuE9ELNS1_3repE0EEENS1_30default_config_static_selectorELNS0_4arch9wavefront6targetE0EEEvSV_.uses_flat_scratch, 0
	.set _ZN7rocprim17ROCPRIM_400000_NS6detail17trampoline_kernelINS0_14default_configENS1_29binary_search_config_selectorIfiEEZNS1_14transform_implILb0ES3_S5_N6thrust23THRUST_200600_302600_NS6detail15normal_iteratorINS8_7pointerIfNS8_11hip_rocprim3tagENS8_11use_defaultESE_EEEENSA_INSB_IiSD_SE_SE_EEEEZNS1_13binary_searchIS3_S5_NSA_INS8_10device_ptrIfEEEESG_SI_NS1_16binary_search_opENS9_16wrapped_functionINS8_7greaterIfEEbEEEE10hipError_tPvRmT1_T2_T3_mmT4_T5_P12ihipStream_tbEUlRKfE_EESS_SW_SX_mSY_S11_bEUlT_E_NS1_11comp_targetILNS1_3genE5ELNS1_11target_archE942ELNS1_3gpuE9ELNS1_3repE0EEENS1_30default_config_static_selectorELNS0_4arch9wavefront6targetE0EEEvSV_.has_dyn_sized_stack, 0
	.set _ZN7rocprim17ROCPRIM_400000_NS6detail17trampoline_kernelINS0_14default_configENS1_29binary_search_config_selectorIfiEEZNS1_14transform_implILb0ES3_S5_N6thrust23THRUST_200600_302600_NS6detail15normal_iteratorINS8_7pointerIfNS8_11hip_rocprim3tagENS8_11use_defaultESE_EEEENSA_INSB_IiSD_SE_SE_EEEEZNS1_13binary_searchIS3_S5_NSA_INS8_10device_ptrIfEEEESG_SI_NS1_16binary_search_opENS9_16wrapped_functionINS8_7greaterIfEEbEEEE10hipError_tPvRmT1_T2_T3_mmT4_T5_P12ihipStream_tbEUlRKfE_EESS_SW_SX_mSY_S11_bEUlT_E_NS1_11comp_targetILNS1_3genE5ELNS1_11target_archE942ELNS1_3gpuE9ELNS1_3repE0EEENS1_30default_config_static_selectorELNS0_4arch9wavefront6targetE0EEEvSV_.has_recursion, 0
	.set _ZN7rocprim17ROCPRIM_400000_NS6detail17trampoline_kernelINS0_14default_configENS1_29binary_search_config_selectorIfiEEZNS1_14transform_implILb0ES3_S5_N6thrust23THRUST_200600_302600_NS6detail15normal_iteratorINS8_7pointerIfNS8_11hip_rocprim3tagENS8_11use_defaultESE_EEEENSA_INSB_IiSD_SE_SE_EEEEZNS1_13binary_searchIS3_S5_NSA_INS8_10device_ptrIfEEEESG_SI_NS1_16binary_search_opENS9_16wrapped_functionINS8_7greaterIfEEbEEEE10hipError_tPvRmT1_T2_T3_mmT4_T5_P12ihipStream_tbEUlRKfE_EESS_SW_SX_mSY_S11_bEUlT_E_NS1_11comp_targetILNS1_3genE5ELNS1_11target_archE942ELNS1_3gpuE9ELNS1_3repE0EEENS1_30default_config_static_selectorELNS0_4arch9wavefront6targetE0EEEvSV_.has_indirect_call, 0
	.section	.AMDGPU.csdata,"",@progbits
; Kernel info:
; codeLenInByte = 0
; TotalNumSgprs: 0
; NumVgprs: 0
; ScratchSize: 0
; MemoryBound: 0
; FloatMode: 240
; IeeeMode: 1
; LDSByteSize: 0 bytes/workgroup (compile time only)
; SGPRBlocks: 0
; VGPRBlocks: 0
; NumSGPRsForWavesPerEU: 1
; NumVGPRsForWavesPerEU: 1
; NamedBarCnt: 0
; Occupancy: 16
; WaveLimiterHint : 0
; COMPUTE_PGM_RSRC2:SCRATCH_EN: 0
; COMPUTE_PGM_RSRC2:USER_SGPR: 2
; COMPUTE_PGM_RSRC2:TRAP_HANDLER: 0
; COMPUTE_PGM_RSRC2:TGID_X_EN: 1
; COMPUTE_PGM_RSRC2:TGID_Y_EN: 0
; COMPUTE_PGM_RSRC2:TGID_Z_EN: 0
; COMPUTE_PGM_RSRC2:TIDIG_COMP_CNT: 0
	.section	.text._ZN7rocprim17ROCPRIM_400000_NS6detail17trampoline_kernelINS0_14default_configENS1_29binary_search_config_selectorIfiEEZNS1_14transform_implILb0ES3_S5_N6thrust23THRUST_200600_302600_NS6detail15normal_iteratorINS8_7pointerIfNS8_11hip_rocprim3tagENS8_11use_defaultESE_EEEENSA_INSB_IiSD_SE_SE_EEEEZNS1_13binary_searchIS3_S5_NSA_INS8_10device_ptrIfEEEESG_SI_NS1_16binary_search_opENS9_16wrapped_functionINS8_7greaterIfEEbEEEE10hipError_tPvRmT1_T2_T3_mmT4_T5_P12ihipStream_tbEUlRKfE_EESS_SW_SX_mSY_S11_bEUlT_E_NS1_11comp_targetILNS1_3genE4ELNS1_11target_archE910ELNS1_3gpuE8ELNS1_3repE0EEENS1_30default_config_static_selectorELNS0_4arch9wavefront6targetE0EEEvSV_,"axG",@progbits,_ZN7rocprim17ROCPRIM_400000_NS6detail17trampoline_kernelINS0_14default_configENS1_29binary_search_config_selectorIfiEEZNS1_14transform_implILb0ES3_S5_N6thrust23THRUST_200600_302600_NS6detail15normal_iteratorINS8_7pointerIfNS8_11hip_rocprim3tagENS8_11use_defaultESE_EEEENSA_INSB_IiSD_SE_SE_EEEEZNS1_13binary_searchIS3_S5_NSA_INS8_10device_ptrIfEEEESG_SI_NS1_16binary_search_opENS9_16wrapped_functionINS8_7greaterIfEEbEEEE10hipError_tPvRmT1_T2_T3_mmT4_T5_P12ihipStream_tbEUlRKfE_EESS_SW_SX_mSY_S11_bEUlT_E_NS1_11comp_targetILNS1_3genE4ELNS1_11target_archE910ELNS1_3gpuE8ELNS1_3repE0EEENS1_30default_config_static_selectorELNS0_4arch9wavefront6targetE0EEEvSV_,comdat
	.protected	_ZN7rocprim17ROCPRIM_400000_NS6detail17trampoline_kernelINS0_14default_configENS1_29binary_search_config_selectorIfiEEZNS1_14transform_implILb0ES3_S5_N6thrust23THRUST_200600_302600_NS6detail15normal_iteratorINS8_7pointerIfNS8_11hip_rocprim3tagENS8_11use_defaultESE_EEEENSA_INSB_IiSD_SE_SE_EEEEZNS1_13binary_searchIS3_S5_NSA_INS8_10device_ptrIfEEEESG_SI_NS1_16binary_search_opENS9_16wrapped_functionINS8_7greaterIfEEbEEEE10hipError_tPvRmT1_T2_T3_mmT4_T5_P12ihipStream_tbEUlRKfE_EESS_SW_SX_mSY_S11_bEUlT_E_NS1_11comp_targetILNS1_3genE4ELNS1_11target_archE910ELNS1_3gpuE8ELNS1_3repE0EEENS1_30default_config_static_selectorELNS0_4arch9wavefront6targetE0EEEvSV_ ; -- Begin function _ZN7rocprim17ROCPRIM_400000_NS6detail17trampoline_kernelINS0_14default_configENS1_29binary_search_config_selectorIfiEEZNS1_14transform_implILb0ES3_S5_N6thrust23THRUST_200600_302600_NS6detail15normal_iteratorINS8_7pointerIfNS8_11hip_rocprim3tagENS8_11use_defaultESE_EEEENSA_INSB_IiSD_SE_SE_EEEEZNS1_13binary_searchIS3_S5_NSA_INS8_10device_ptrIfEEEESG_SI_NS1_16binary_search_opENS9_16wrapped_functionINS8_7greaterIfEEbEEEE10hipError_tPvRmT1_T2_T3_mmT4_T5_P12ihipStream_tbEUlRKfE_EESS_SW_SX_mSY_S11_bEUlT_E_NS1_11comp_targetILNS1_3genE4ELNS1_11target_archE910ELNS1_3gpuE8ELNS1_3repE0EEENS1_30default_config_static_selectorELNS0_4arch9wavefront6targetE0EEEvSV_
	.globl	_ZN7rocprim17ROCPRIM_400000_NS6detail17trampoline_kernelINS0_14default_configENS1_29binary_search_config_selectorIfiEEZNS1_14transform_implILb0ES3_S5_N6thrust23THRUST_200600_302600_NS6detail15normal_iteratorINS8_7pointerIfNS8_11hip_rocprim3tagENS8_11use_defaultESE_EEEENSA_INSB_IiSD_SE_SE_EEEEZNS1_13binary_searchIS3_S5_NSA_INS8_10device_ptrIfEEEESG_SI_NS1_16binary_search_opENS9_16wrapped_functionINS8_7greaterIfEEbEEEE10hipError_tPvRmT1_T2_T3_mmT4_T5_P12ihipStream_tbEUlRKfE_EESS_SW_SX_mSY_S11_bEUlT_E_NS1_11comp_targetILNS1_3genE4ELNS1_11target_archE910ELNS1_3gpuE8ELNS1_3repE0EEENS1_30default_config_static_selectorELNS0_4arch9wavefront6targetE0EEEvSV_
	.p2align	8
	.type	_ZN7rocprim17ROCPRIM_400000_NS6detail17trampoline_kernelINS0_14default_configENS1_29binary_search_config_selectorIfiEEZNS1_14transform_implILb0ES3_S5_N6thrust23THRUST_200600_302600_NS6detail15normal_iteratorINS8_7pointerIfNS8_11hip_rocprim3tagENS8_11use_defaultESE_EEEENSA_INSB_IiSD_SE_SE_EEEEZNS1_13binary_searchIS3_S5_NSA_INS8_10device_ptrIfEEEESG_SI_NS1_16binary_search_opENS9_16wrapped_functionINS8_7greaterIfEEbEEEE10hipError_tPvRmT1_T2_T3_mmT4_T5_P12ihipStream_tbEUlRKfE_EESS_SW_SX_mSY_S11_bEUlT_E_NS1_11comp_targetILNS1_3genE4ELNS1_11target_archE910ELNS1_3gpuE8ELNS1_3repE0EEENS1_30default_config_static_selectorELNS0_4arch9wavefront6targetE0EEEvSV_,@function
_ZN7rocprim17ROCPRIM_400000_NS6detail17trampoline_kernelINS0_14default_configENS1_29binary_search_config_selectorIfiEEZNS1_14transform_implILb0ES3_S5_N6thrust23THRUST_200600_302600_NS6detail15normal_iteratorINS8_7pointerIfNS8_11hip_rocprim3tagENS8_11use_defaultESE_EEEENSA_INSB_IiSD_SE_SE_EEEEZNS1_13binary_searchIS3_S5_NSA_INS8_10device_ptrIfEEEESG_SI_NS1_16binary_search_opENS9_16wrapped_functionINS8_7greaterIfEEbEEEE10hipError_tPvRmT1_T2_T3_mmT4_T5_P12ihipStream_tbEUlRKfE_EESS_SW_SX_mSY_S11_bEUlT_E_NS1_11comp_targetILNS1_3genE4ELNS1_11target_archE910ELNS1_3gpuE8ELNS1_3repE0EEENS1_30default_config_static_selectorELNS0_4arch9wavefront6targetE0EEEvSV_: ; @_ZN7rocprim17ROCPRIM_400000_NS6detail17trampoline_kernelINS0_14default_configENS1_29binary_search_config_selectorIfiEEZNS1_14transform_implILb0ES3_S5_N6thrust23THRUST_200600_302600_NS6detail15normal_iteratorINS8_7pointerIfNS8_11hip_rocprim3tagENS8_11use_defaultESE_EEEENSA_INSB_IiSD_SE_SE_EEEEZNS1_13binary_searchIS3_S5_NSA_INS8_10device_ptrIfEEEESG_SI_NS1_16binary_search_opENS9_16wrapped_functionINS8_7greaterIfEEbEEEE10hipError_tPvRmT1_T2_T3_mmT4_T5_P12ihipStream_tbEUlRKfE_EESS_SW_SX_mSY_S11_bEUlT_E_NS1_11comp_targetILNS1_3genE4ELNS1_11target_archE910ELNS1_3gpuE8ELNS1_3repE0EEENS1_30default_config_static_selectorELNS0_4arch9wavefront6targetE0EEEvSV_
; %bb.0:
	.section	.rodata,"a",@progbits
	.p2align	6, 0x0
	.amdhsa_kernel _ZN7rocprim17ROCPRIM_400000_NS6detail17trampoline_kernelINS0_14default_configENS1_29binary_search_config_selectorIfiEEZNS1_14transform_implILb0ES3_S5_N6thrust23THRUST_200600_302600_NS6detail15normal_iteratorINS8_7pointerIfNS8_11hip_rocprim3tagENS8_11use_defaultESE_EEEENSA_INSB_IiSD_SE_SE_EEEEZNS1_13binary_searchIS3_S5_NSA_INS8_10device_ptrIfEEEESG_SI_NS1_16binary_search_opENS9_16wrapped_functionINS8_7greaterIfEEbEEEE10hipError_tPvRmT1_T2_T3_mmT4_T5_P12ihipStream_tbEUlRKfE_EESS_SW_SX_mSY_S11_bEUlT_E_NS1_11comp_targetILNS1_3genE4ELNS1_11target_archE910ELNS1_3gpuE8ELNS1_3repE0EEENS1_30default_config_static_selectorELNS0_4arch9wavefront6targetE0EEEvSV_
		.amdhsa_group_segment_fixed_size 0
		.amdhsa_private_segment_fixed_size 0
		.amdhsa_kernarg_size 56
		.amdhsa_user_sgpr_count 2
		.amdhsa_user_sgpr_dispatch_ptr 0
		.amdhsa_user_sgpr_queue_ptr 0
		.amdhsa_user_sgpr_kernarg_segment_ptr 1
		.amdhsa_user_sgpr_dispatch_id 0
		.amdhsa_user_sgpr_kernarg_preload_length 0
		.amdhsa_user_sgpr_kernarg_preload_offset 0
		.amdhsa_user_sgpr_private_segment_size 0
		.amdhsa_wavefront_size32 1
		.amdhsa_uses_dynamic_stack 0
		.amdhsa_enable_private_segment 0
		.amdhsa_system_sgpr_workgroup_id_x 1
		.amdhsa_system_sgpr_workgroup_id_y 0
		.amdhsa_system_sgpr_workgroup_id_z 0
		.amdhsa_system_sgpr_workgroup_info 0
		.amdhsa_system_vgpr_workitem_id 0
		.amdhsa_next_free_vgpr 1
		.amdhsa_next_free_sgpr 1
		.amdhsa_named_barrier_count 0
		.amdhsa_reserve_vcc 0
		.amdhsa_float_round_mode_32 0
		.amdhsa_float_round_mode_16_64 0
		.amdhsa_float_denorm_mode_32 3
		.amdhsa_float_denorm_mode_16_64 3
		.amdhsa_fp16_overflow 0
		.amdhsa_memory_ordered 1
		.amdhsa_forward_progress 1
		.amdhsa_inst_pref_size 0
		.amdhsa_round_robin_scheduling 0
		.amdhsa_exception_fp_ieee_invalid_op 0
		.amdhsa_exception_fp_denorm_src 0
		.amdhsa_exception_fp_ieee_div_zero 0
		.amdhsa_exception_fp_ieee_overflow 0
		.amdhsa_exception_fp_ieee_underflow 0
		.amdhsa_exception_fp_ieee_inexact 0
		.amdhsa_exception_int_div_zero 0
	.end_amdhsa_kernel
	.section	.text._ZN7rocprim17ROCPRIM_400000_NS6detail17trampoline_kernelINS0_14default_configENS1_29binary_search_config_selectorIfiEEZNS1_14transform_implILb0ES3_S5_N6thrust23THRUST_200600_302600_NS6detail15normal_iteratorINS8_7pointerIfNS8_11hip_rocprim3tagENS8_11use_defaultESE_EEEENSA_INSB_IiSD_SE_SE_EEEEZNS1_13binary_searchIS3_S5_NSA_INS8_10device_ptrIfEEEESG_SI_NS1_16binary_search_opENS9_16wrapped_functionINS8_7greaterIfEEbEEEE10hipError_tPvRmT1_T2_T3_mmT4_T5_P12ihipStream_tbEUlRKfE_EESS_SW_SX_mSY_S11_bEUlT_E_NS1_11comp_targetILNS1_3genE4ELNS1_11target_archE910ELNS1_3gpuE8ELNS1_3repE0EEENS1_30default_config_static_selectorELNS0_4arch9wavefront6targetE0EEEvSV_,"axG",@progbits,_ZN7rocprim17ROCPRIM_400000_NS6detail17trampoline_kernelINS0_14default_configENS1_29binary_search_config_selectorIfiEEZNS1_14transform_implILb0ES3_S5_N6thrust23THRUST_200600_302600_NS6detail15normal_iteratorINS8_7pointerIfNS8_11hip_rocprim3tagENS8_11use_defaultESE_EEEENSA_INSB_IiSD_SE_SE_EEEEZNS1_13binary_searchIS3_S5_NSA_INS8_10device_ptrIfEEEESG_SI_NS1_16binary_search_opENS9_16wrapped_functionINS8_7greaterIfEEbEEEE10hipError_tPvRmT1_T2_T3_mmT4_T5_P12ihipStream_tbEUlRKfE_EESS_SW_SX_mSY_S11_bEUlT_E_NS1_11comp_targetILNS1_3genE4ELNS1_11target_archE910ELNS1_3gpuE8ELNS1_3repE0EEENS1_30default_config_static_selectorELNS0_4arch9wavefront6targetE0EEEvSV_,comdat
.Lfunc_end169:
	.size	_ZN7rocprim17ROCPRIM_400000_NS6detail17trampoline_kernelINS0_14default_configENS1_29binary_search_config_selectorIfiEEZNS1_14transform_implILb0ES3_S5_N6thrust23THRUST_200600_302600_NS6detail15normal_iteratorINS8_7pointerIfNS8_11hip_rocprim3tagENS8_11use_defaultESE_EEEENSA_INSB_IiSD_SE_SE_EEEEZNS1_13binary_searchIS3_S5_NSA_INS8_10device_ptrIfEEEESG_SI_NS1_16binary_search_opENS9_16wrapped_functionINS8_7greaterIfEEbEEEE10hipError_tPvRmT1_T2_T3_mmT4_T5_P12ihipStream_tbEUlRKfE_EESS_SW_SX_mSY_S11_bEUlT_E_NS1_11comp_targetILNS1_3genE4ELNS1_11target_archE910ELNS1_3gpuE8ELNS1_3repE0EEENS1_30default_config_static_selectorELNS0_4arch9wavefront6targetE0EEEvSV_, .Lfunc_end169-_ZN7rocprim17ROCPRIM_400000_NS6detail17trampoline_kernelINS0_14default_configENS1_29binary_search_config_selectorIfiEEZNS1_14transform_implILb0ES3_S5_N6thrust23THRUST_200600_302600_NS6detail15normal_iteratorINS8_7pointerIfNS8_11hip_rocprim3tagENS8_11use_defaultESE_EEEENSA_INSB_IiSD_SE_SE_EEEEZNS1_13binary_searchIS3_S5_NSA_INS8_10device_ptrIfEEEESG_SI_NS1_16binary_search_opENS9_16wrapped_functionINS8_7greaterIfEEbEEEE10hipError_tPvRmT1_T2_T3_mmT4_T5_P12ihipStream_tbEUlRKfE_EESS_SW_SX_mSY_S11_bEUlT_E_NS1_11comp_targetILNS1_3genE4ELNS1_11target_archE910ELNS1_3gpuE8ELNS1_3repE0EEENS1_30default_config_static_selectorELNS0_4arch9wavefront6targetE0EEEvSV_
                                        ; -- End function
	.set _ZN7rocprim17ROCPRIM_400000_NS6detail17trampoline_kernelINS0_14default_configENS1_29binary_search_config_selectorIfiEEZNS1_14transform_implILb0ES3_S5_N6thrust23THRUST_200600_302600_NS6detail15normal_iteratorINS8_7pointerIfNS8_11hip_rocprim3tagENS8_11use_defaultESE_EEEENSA_INSB_IiSD_SE_SE_EEEEZNS1_13binary_searchIS3_S5_NSA_INS8_10device_ptrIfEEEESG_SI_NS1_16binary_search_opENS9_16wrapped_functionINS8_7greaterIfEEbEEEE10hipError_tPvRmT1_T2_T3_mmT4_T5_P12ihipStream_tbEUlRKfE_EESS_SW_SX_mSY_S11_bEUlT_E_NS1_11comp_targetILNS1_3genE4ELNS1_11target_archE910ELNS1_3gpuE8ELNS1_3repE0EEENS1_30default_config_static_selectorELNS0_4arch9wavefront6targetE0EEEvSV_.num_vgpr, 0
	.set _ZN7rocprim17ROCPRIM_400000_NS6detail17trampoline_kernelINS0_14default_configENS1_29binary_search_config_selectorIfiEEZNS1_14transform_implILb0ES3_S5_N6thrust23THRUST_200600_302600_NS6detail15normal_iteratorINS8_7pointerIfNS8_11hip_rocprim3tagENS8_11use_defaultESE_EEEENSA_INSB_IiSD_SE_SE_EEEEZNS1_13binary_searchIS3_S5_NSA_INS8_10device_ptrIfEEEESG_SI_NS1_16binary_search_opENS9_16wrapped_functionINS8_7greaterIfEEbEEEE10hipError_tPvRmT1_T2_T3_mmT4_T5_P12ihipStream_tbEUlRKfE_EESS_SW_SX_mSY_S11_bEUlT_E_NS1_11comp_targetILNS1_3genE4ELNS1_11target_archE910ELNS1_3gpuE8ELNS1_3repE0EEENS1_30default_config_static_selectorELNS0_4arch9wavefront6targetE0EEEvSV_.num_agpr, 0
	.set _ZN7rocprim17ROCPRIM_400000_NS6detail17trampoline_kernelINS0_14default_configENS1_29binary_search_config_selectorIfiEEZNS1_14transform_implILb0ES3_S5_N6thrust23THRUST_200600_302600_NS6detail15normal_iteratorINS8_7pointerIfNS8_11hip_rocprim3tagENS8_11use_defaultESE_EEEENSA_INSB_IiSD_SE_SE_EEEEZNS1_13binary_searchIS3_S5_NSA_INS8_10device_ptrIfEEEESG_SI_NS1_16binary_search_opENS9_16wrapped_functionINS8_7greaterIfEEbEEEE10hipError_tPvRmT1_T2_T3_mmT4_T5_P12ihipStream_tbEUlRKfE_EESS_SW_SX_mSY_S11_bEUlT_E_NS1_11comp_targetILNS1_3genE4ELNS1_11target_archE910ELNS1_3gpuE8ELNS1_3repE0EEENS1_30default_config_static_selectorELNS0_4arch9wavefront6targetE0EEEvSV_.numbered_sgpr, 0
	.set _ZN7rocprim17ROCPRIM_400000_NS6detail17trampoline_kernelINS0_14default_configENS1_29binary_search_config_selectorIfiEEZNS1_14transform_implILb0ES3_S5_N6thrust23THRUST_200600_302600_NS6detail15normal_iteratorINS8_7pointerIfNS8_11hip_rocprim3tagENS8_11use_defaultESE_EEEENSA_INSB_IiSD_SE_SE_EEEEZNS1_13binary_searchIS3_S5_NSA_INS8_10device_ptrIfEEEESG_SI_NS1_16binary_search_opENS9_16wrapped_functionINS8_7greaterIfEEbEEEE10hipError_tPvRmT1_T2_T3_mmT4_T5_P12ihipStream_tbEUlRKfE_EESS_SW_SX_mSY_S11_bEUlT_E_NS1_11comp_targetILNS1_3genE4ELNS1_11target_archE910ELNS1_3gpuE8ELNS1_3repE0EEENS1_30default_config_static_selectorELNS0_4arch9wavefront6targetE0EEEvSV_.num_named_barrier, 0
	.set _ZN7rocprim17ROCPRIM_400000_NS6detail17trampoline_kernelINS0_14default_configENS1_29binary_search_config_selectorIfiEEZNS1_14transform_implILb0ES3_S5_N6thrust23THRUST_200600_302600_NS6detail15normal_iteratorINS8_7pointerIfNS8_11hip_rocprim3tagENS8_11use_defaultESE_EEEENSA_INSB_IiSD_SE_SE_EEEEZNS1_13binary_searchIS3_S5_NSA_INS8_10device_ptrIfEEEESG_SI_NS1_16binary_search_opENS9_16wrapped_functionINS8_7greaterIfEEbEEEE10hipError_tPvRmT1_T2_T3_mmT4_T5_P12ihipStream_tbEUlRKfE_EESS_SW_SX_mSY_S11_bEUlT_E_NS1_11comp_targetILNS1_3genE4ELNS1_11target_archE910ELNS1_3gpuE8ELNS1_3repE0EEENS1_30default_config_static_selectorELNS0_4arch9wavefront6targetE0EEEvSV_.private_seg_size, 0
	.set _ZN7rocprim17ROCPRIM_400000_NS6detail17trampoline_kernelINS0_14default_configENS1_29binary_search_config_selectorIfiEEZNS1_14transform_implILb0ES3_S5_N6thrust23THRUST_200600_302600_NS6detail15normal_iteratorINS8_7pointerIfNS8_11hip_rocprim3tagENS8_11use_defaultESE_EEEENSA_INSB_IiSD_SE_SE_EEEEZNS1_13binary_searchIS3_S5_NSA_INS8_10device_ptrIfEEEESG_SI_NS1_16binary_search_opENS9_16wrapped_functionINS8_7greaterIfEEbEEEE10hipError_tPvRmT1_T2_T3_mmT4_T5_P12ihipStream_tbEUlRKfE_EESS_SW_SX_mSY_S11_bEUlT_E_NS1_11comp_targetILNS1_3genE4ELNS1_11target_archE910ELNS1_3gpuE8ELNS1_3repE0EEENS1_30default_config_static_selectorELNS0_4arch9wavefront6targetE0EEEvSV_.uses_vcc, 0
	.set _ZN7rocprim17ROCPRIM_400000_NS6detail17trampoline_kernelINS0_14default_configENS1_29binary_search_config_selectorIfiEEZNS1_14transform_implILb0ES3_S5_N6thrust23THRUST_200600_302600_NS6detail15normal_iteratorINS8_7pointerIfNS8_11hip_rocprim3tagENS8_11use_defaultESE_EEEENSA_INSB_IiSD_SE_SE_EEEEZNS1_13binary_searchIS3_S5_NSA_INS8_10device_ptrIfEEEESG_SI_NS1_16binary_search_opENS9_16wrapped_functionINS8_7greaterIfEEbEEEE10hipError_tPvRmT1_T2_T3_mmT4_T5_P12ihipStream_tbEUlRKfE_EESS_SW_SX_mSY_S11_bEUlT_E_NS1_11comp_targetILNS1_3genE4ELNS1_11target_archE910ELNS1_3gpuE8ELNS1_3repE0EEENS1_30default_config_static_selectorELNS0_4arch9wavefront6targetE0EEEvSV_.uses_flat_scratch, 0
	.set _ZN7rocprim17ROCPRIM_400000_NS6detail17trampoline_kernelINS0_14default_configENS1_29binary_search_config_selectorIfiEEZNS1_14transform_implILb0ES3_S5_N6thrust23THRUST_200600_302600_NS6detail15normal_iteratorINS8_7pointerIfNS8_11hip_rocprim3tagENS8_11use_defaultESE_EEEENSA_INSB_IiSD_SE_SE_EEEEZNS1_13binary_searchIS3_S5_NSA_INS8_10device_ptrIfEEEESG_SI_NS1_16binary_search_opENS9_16wrapped_functionINS8_7greaterIfEEbEEEE10hipError_tPvRmT1_T2_T3_mmT4_T5_P12ihipStream_tbEUlRKfE_EESS_SW_SX_mSY_S11_bEUlT_E_NS1_11comp_targetILNS1_3genE4ELNS1_11target_archE910ELNS1_3gpuE8ELNS1_3repE0EEENS1_30default_config_static_selectorELNS0_4arch9wavefront6targetE0EEEvSV_.has_dyn_sized_stack, 0
	.set _ZN7rocprim17ROCPRIM_400000_NS6detail17trampoline_kernelINS0_14default_configENS1_29binary_search_config_selectorIfiEEZNS1_14transform_implILb0ES3_S5_N6thrust23THRUST_200600_302600_NS6detail15normal_iteratorINS8_7pointerIfNS8_11hip_rocprim3tagENS8_11use_defaultESE_EEEENSA_INSB_IiSD_SE_SE_EEEEZNS1_13binary_searchIS3_S5_NSA_INS8_10device_ptrIfEEEESG_SI_NS1_16binary_search_opENS9_16wrapped_functionINS8_7greaterIfEEbEEEE10hipError_tPvRmT1_T2_T3_mmT4_T5_P12ihipStream_tbEUlRKfE_EESS_SW_SX_mSY_S11_bEUlT_E_NS1_11comp_targetILNS1_3genE4ELNS1_11target_archE910ELNS1_3gpuE8ELNS1_3repE0EEENS1_30default_config_static_selectorELNS0_4arch9wavefront6targetE0EEEvSV_.has_recursion, 0
	.set _ZN7rocprim17ROCPRIM_400000_NS6detail17trampoline_kernelINS0_14default_configENS1_29binary_search_config_selectorIfiEEZNS1_14transform_implILb0ES3_S5_N6thrust23THRUST_200600_302600_NS6detail15normal_iteratorINS8_7pointerIfNS8_11hip_rocprim3tagENS8_11use_defaultESE_EEEENSA_INSB_IiSD_SE_SE_EEEEZNS1_13binary_searchIS3_S5_NSA_INS8_10device_ptrIfEEEESG_SI_NS1_16binary_search_opENS9_16wrapped_functionINS8_7greaterIfEEbEEEE10hipError_tPvRmT1_T2_T3_mmT4_T5_P12ihipStream_tbEUlRKfE_EESS_SW_SX_mSY_S11_bEUlT_E_NS1_11comp_targetILNS1_3genE4ELNS1_11target_archE910ELNS1_3gpuE8ELNS1_3repE0EEENS1_30default_config_static_selectorELNS0_4arch9wavefront6targetE0EEEvSV_.has_indirect_call, 0
	.section	.AMDGPU.csdata,"",@progbits
; Kernel info:
; codeLenInByte = 0
; TotalNumSgprs: 0
; NumVgprs: 0
; ScratchSize: 0
; MemoryBound: 0
; FloatMode: 240
; IeeeMode: 1
; LDSByteSize: 0 bytes/workgroup (compile time only)
; SGPRBlocks: 0
; VGPRBlocks: 0
; NumSGPRsForWavesPerEU: 1
; NumVGPRsForWavesPerEU: 1
; NamedBarCnt: 0
; Occupancy: 16
; WaveLimiterHint : 0
; COMPUTE_PGM_RSRC2:SCRATCH_EN: 0
; COMPUTE_PGM_RSRC2:USER_SGPR: 2
; COMPUTE_PGM_RSRC2:TRAP_HANDLER: 0
; COMPUTE_PGM_RSRC2:TGID_X_EN: 1
; COMPUTE_PGM_RSRC2:TGID_Y_EN: 0
; COMPUTE_PGM_RSRC2:TGID_Z_EN: 0
; COMPUTE_PGM_RSRC2:TIDIG_COMP_CNT: 0
	.section	.text._ZN7rocprim17ROCPRIM_400000_NS6detail17trampoline_kernelINS0_14default_configENS1_29binary_search_config_selectorIfiEEZNS1_14transform_implILb0ES3_S5_N6thrust23THRUST_200600_302600_NS6detail15normal_iteratorINS8_7pointerIfNS8_11hip_rocprim3tagENS8_11use_defaultESE_EEEENSA_INSB_IiSD_SE_SE_EEEEZNS1_13binary_searchIS3_S5_NSA_INS8_10device_ptrIfEEEESG_SI_NS1_16binary_search_opENS9_16wrapped_functionINS8_7greaterIfEEbEEEE10hipError_tPvRmT1_T2_T3_mmT4_T5_P12ihipStream_tbEUlRKfE_EESS_SW_SX_mSY_S11_bEUlT_E_NS1_11comp_targetILNS1_3genE3ELNS1_11target_archE908ELNS1_3gpuE7ELNS1_3repE0EEENS1_30default_config_static_selectorELNS0_4arch9wavefront6targetE0EEEvSV_,"axG",@progbits,_ZN7rocprim17ROCPRIM_400000_NS6detail17trampoline_kernelINS0_14default_configENS1_29binary_search_config_selectorIfiEEZNS1_14transform_implILb0ES3_S5_N6thrust23THRUST_200600_302600_NS6detail15normal_iteratorINS8_7pointerIfNS8_11hip_rocprim3tagENS8_11use_defaultESE_EEEENSA_INSB_IiSD_SE_SE_EEEEZNS1_13binary_searchIS3_S5_NSA_INS8_10device_ptrIfEEEESG_SI_NS1_16binary_search_opENS9_16wrapped_functionINS8_7greaterIfEEbEEEE10hipError_tPvRmT1_T2_T3_mmT4_T5_P12ihipStream_tbEUlRKfE_EESS_SW_SX_mSY_S11_bEUlT_E_NS1_11comp_targetILNS1_3genE3ELNS1_11target_archE908ELNS1_3gpuE7ELNS1_3repE0EEENS1_30default_config_static_selectorELNS0_4arch9wavefront6targetE0EEEvSV_,comdat
	.protected	_ZN7rocprim17ROCPRIM_400000_NS6detail17trampoline_kernelINS0_14default_configENS1_29binary_search_config_selectorIfiEEZNS1_14transform_implILb0ES3_S5_N6thrust23THRUST_200600_302600_NS6detail15normal_iteratorINS8_7pointerIfNS8_11hip_rocprim3tagENS8_11use_defaultESE_EEEENSA_INSB_IiSD_SE_SE_EEEEZNS1_13binary_searchIS3_S5_NSA_INS8_10device_ptrIfEEEESG_SI_NS1_16binary_search_opENS9_16wrapped_functionINS8_7greaterIfEEbEEEE10hipError_tPvRmT1_T2_T3_mmT4_T5_P12ihipStream_tbEUlRKfE_EESS_SW_SX_mSY_S11_bEUlT_E_NS1_11comp_targetILNS1_3genE3ELNS1_11target_archE908ELNS1_3gpuE7ELNS1_3repE0EEENS1_30default_config_static_selectorELNS0_4arch9wavefront6targetE0EEEvSV_ ; -- Begin function _ZN7rocprim17ROCPRIM_400000_NS6detail17trampoline_kernelINS0_14default_configENS1_29binary_search_config_selectorIfiEEZNS1_14transform_implILb0ES3_S5_N6thrust23THRUST_200600_302600_NS6detail15normal_iteratorINS8_7pointerIfNS8_11hip_rocprim3tagENS8_11use_defaultESE_EEEENSA_INSB_IiSD_SE_SE_EEEEZNS1_13binary_searchIS3_S5_NSA_INS8_10device_ptrIfEEEESG_SI_NS1_16binary_search_opENS9_16wrapped_functionINS8_7greaterIfEEbEEEE10hipError_tPvRmT1_T2_T3_mmT4_T5_P12ihipStream_tbEUlRKfE_EESS_SW_SX_mSY_S11_bEUlT_E_NS1_11comp_targetILNS1_3genE3ELNS1_11target_archE908ELNS1_3gpuE7ELNS1_3repE0EEENS1_30default_config_static_selectorELNS0_4arch9wavefront6targetE0EEEvSV_
	.globl	_ZN7rocprim17ROCPRIM_400000_NS6detail17trampoline_kernelINS0_14default_configENS1_29binary_search_config_selectorIfiEEZNS1_14transform_implILb0ES3_S5_N6thrust23THRUST_200600_302600_NS6detail15normal_iteratorINS8_7pointerIfNS8_11hip_rocprim3tagENS8_11use_defaultESE_EEEENSA_INSB_IiSD_SE_SE_EEEEZNS1_13binary_searchIS3_S5_NSA_INS8_10device_ptrIfEEEESG_SI_NS1_16binary_search_opENS9_16wrapped_functionINS8_7greaterIfEEbEEEE10hipError_tPvRmT1_T2_T3_mmT4_T5_P12ihipStream_tbEUlRKfE_EESS_SW_SX_mSY_S11_bEUlT_E_NS1_11comp_targetILNS1_3genE3ELNS1_11target_archE908ELNS1_3gpuE7ELNS1_3repE0EEENS1_30default_config_static_selectorELNS0_4arch9wavefront6targetE0EEEvSV_
	.p2align	8
	.type	_ZN7rocprim17ROCPRIM_400000_NS6detail17trampoline_kernelINS0_14default_configENS1_29binary_search_config_selectorIfiEEZNS1_14transform_implILb0ES3_S5_N6thrust23THRUST_200600_302600_NS6detail15normal_iteratorINS8_7pointerIfNS8_11hip_rocprim3tagENS8_11use_defaultESE_EEEENSA_INSB_IiSD_SE_SE_EEEEZNS1_13binary_searchIS3_S5_NSA_INS8_10device_ptrIfEEEESG_SI_NS1_16binary_search_opENS9_16wrapped_functionINS8_7greaterIfEEbEEEE10hipError_tPvRmT1_T2_T3_mmT4_T5_P12ihipStream_tbEUlRKfE_EESS_SW_SX_mSY_S11_bEUlT_E_NS1_11comp_targetILNS1_3genE3ELNS1_11target_archE908ELNS1_3gpuE7ELNS1_3repE0EEENS1_30default_config_static_selectorELNS0_4arch9wavefront6targetE0EEEvSV_,@function
_ZN7rocprim17ROCPRIM_400000_NS6detail17trampoline_kernelINS0_14default_configENS1_29binary_search_config_selectorIfiEEZNS1_14transform_implILb0ES3_S5_N6thrust23THRUST_200600_302600_NS6detail15normal_iteratorINS8_7pointerIfNS8_11hip_rocprim3tagENS8_11use_defaultESE_EEEENSA_INSB_IiSD_SE_SE_EEEEZNS1_13binary_searchIS3_S5_NSA_INS8_10device_ptrIfEEEESG_SI_NS1_16binary_search_opENS9_16wrapped_functionINS8_7greaterIfEEbEEEE10hipError_tPvRmT1_T2_T3_mmT4_T5_P12ihipStream_tbEUlRKfE_EESS_SW_SX_mSY_S11_bEUlT_E_NS1_11comp_targetILNS1_3genE3ELNS1_11target_archE908ELNS1_3gpuE7ELNS1_3repE0EEENS1_30default_config_static_selectorELNS0_4arch9wavefront6targetE0EEEvSV_: ; @_ZN7rocprim17ROCPRIM_400000_NS6detail17trampoline_kernelINS0_14default_configENS1_29binary_search_config_selectorIfiEEZNS1_14transform_implILb0ES3_S5_N6thrust23THRUST_200600_302600_NS6detail15normal_iteratorINS8_7pointerIfNS8_11hip_rocprim3tagENS8_11use_defaultESE_EEEENSA_INSB_IiSD_SE_SE_EEEEZNS1_13binary_searchIS3_S5_NSA_INS8_10device_ptrIfEEEESG_SI_NS1_16binary_search_opENS9_16wrapped_functionINS8_7greaterIfEEbEEEE10hipError_tPvRmT1_T2_T3_mmT4_T5_P12ihipStream_tbEUlRKfE_EESS_SW_SX_mSY_S11_bEUlT_E_NS1_11comp_targetILNS1_3genE3ELNS1_11target_archE908ELNS1_3gpuE7ELNS1_3repE0EEENS1_30default_config_static_selectorELNS0_4arch9wavefront6targetE0EEEvSV_
; %bb.0:
	.section	.rodata,"a",@progbits
	.p2align	6, 0x0
	.amdhsa_kernel _ZN7rocprim17ROCPRIM_400000_NS6detail17trampoline_kernelINS0_14default_configENS1_29binary_search_config_selectorIfiEEZNS1_14transform_implILb0ES3_S5_N6thrust23THRUST_200600_302600_NS6detail15normal_iteratorINS8_7pointerIfNS8_11hip_rocprim3tagENS8_11use_defaultESE_EEEENSA_INSB_IiSD_SE_SE_EEEEZNS1_13binary_searchIS3_S5_NSA_INS8_10device_ptrIfEEEESG_SI_NS1_16binary_search_opENS9_16wrapped_functionINS8_7greaterIfEEbEEEE10hipError_tPvRmT1_T2_T3_mmT4_T5_P12ihipStream_tbEUlRKfE_EESS_SW_SX_mSY_S11_bEUlT_E_NS1_11comp_targetILNS1_3genE3ELNS1_11target_archE908ELNS1_3gpuE7ELNS1_3repE0EEENS1_30default_config_static_selectorELNS0_4arch9wavefront6targetE0EEEvSV_
		.amdhsa_group_segment_fixed_size 0
		.amdhsa_private_segment_fixed_size 0
		.amdhsa_kernarg_size 56
		.amdhsa_user_sgpr_count 2
		.amdhsa_user_sgpr_dispatch_ptr 0
		.amdhsa_user_sgpr_queue_ptr 0
		.amdhsa_user_sgpr_kernarg_segment_ptr 1
		.amdhsa_user_sgpr_dispatch_id 0
		.amdhsa_user_sgpr_kernarg_preload_length 0
		.amdhsa_user_sgpr_kernarg_preload_offset 0
		.amdhsa_user_sgpr_private_segment_size 0
		.amdhsa_wavefront_size32 1
		.amdhsa_uses_dynamic_stack 0
		.amdhsa_enable_private_segment 0
		.amdhsa_system_sgpr_workgroup_id_x 1
		.amdhsa_system_sgpr_workgroup_id_y 0
		.amdhsa_system_sgpr_workgroup_id_z 0
		.amdhsa_system_sgpr_workgroup_info 0
		.amdhsa_system_vgpr_workitem_id 0
		.amdhsa_next_free_vgpr 1
		.amdhsa_next_free_sgpr 1
		.amdhsa_named_barrier_count 0
		.amdhsa_reserve_vcc 0
		.amdhsa_float_round_mode_32 0
		.amdhsa_float_round_mode_16_64 0
		.amdhsa_float_denorm_mode_32 3
		.amdhsa_float_denorm_mode_16_64 3
		.amdhsa_fp16_overflow 0
		.amdhsa_memory_ordered 1
		.amdhsa_forward_progress 1
		.amdhsa_inst_pref_size 0
		.amdhsa_round_robin_scheduling 0
		.amdhsa_exception_fp_ieee_invalid_op 0
		.amdhsa_exception_fp_denorm_src 0
		.amdhsa_exception_fp_ieee_div_zero 0
		.amdhsa_exception_fp_ieee_overflow 0
		.amdhsa_exception_fp_ieee_underflow 0
		.amdhsa_exception_fp_ieee_inexact 0
		.amdhsa_exception_int_div_zero 0
	.end_amdhsa_kernel
	.section	.text._ZN7rocprim17ROCPRIM_400000_NS6detail17trampoline_kernelINS0_14default_configENS1_29binary_search_config_selectorIfiEEZNS1_14transform_implILb0ES3_S5_N6thrust23THRUST_200600_302600_NS6detail15normal_iteratorINS8_7pointerIfNS8_11hip_rocprim3tagENS8_11use_defaultESE_EEEENSA_INSB_IiSD_SE_SE_EEEEZNS1_13binary_searchIS3_S5_NSA_INS8_10device_ptrIfEEEESG_SI_NS1_16binary_search_opENS9_16wrapped_functionINS8_7greaterIfEEbEEEE10hipError_tPvRmT1_T2_T3_mmT4_T5_P12ihipStream_tbEUlRKfE_EESS_SW_SX_mSY_S11_bEUlT_E_NS1_11comp_targetILNS1_3genE3ELNS1_11target_archE908ELNS1_3gpuE7ELNS1_3repE0EEENS1_30default_config_static_selectorELNS0_4arch9wavefront6targetE0EEEvSV_,"axG",@progbits,_ZN7rocprim17ROCPRIM_400000_NS6detail17trampoline_kernelINS0_14default_configENS1_29binary_search_config_selectorIfiEEZNS1_14transform_implILb0ES3_S5_N6thrust23THRUST_200600_302600_NS6detail15normal_iteratorINS8_7pointerIfNS8_11hip_rocprim3tagENS8_11use_defaultESE_EEEENSA_INSB_IiSD_SE_SE_EEEEZNS1_13binary_searchIS3_S5_NSA_INS8_10device_ptrIfEEEESG_SI_NS1_16binary_search_opENS9_16wrapped_functionINS8_7greaterIfEEbEEEE10hipError_tPvRmT1_T2_T3_mmT4_T5_P12ihipStream_tbEUlRKfE_EESS_SW_SX_mSY_S11_bEUlT_E_NS1_11comp_targetILNS1_3genE3ELNS1_11target_archE908ELNS1_3gpuE7ELNS1_3repE0EEENS1_30default_config_static_selectorELNS0_4arch9wavefront6targetE0EEEvSV_,comdat
.Lfunc_end170:
	.size	_ZN7rocprim17ROCPRIM_400000_NS6detail17trampoline_kernelINS0_14default_configENS1_29binary_search_config_selectorIfiEEZNS1_14transform_implILb0ES3_S5_N6thrust23THRUST_200600_302600_NS6detail15normal_iteratorINS8_7pointerIfNS8_11hip_rocprim3tagENS8_11use_defaultESE_EEEENSA_INSB_IiSD_SE_SE_EEEEZNS1_13binary_searchIS3_S5_NSA_INS8_10device_ptrIfEEEESG_SI_NS1_16binary_search_opENS9_16wrapped_functionINS8_7greaterIfEEbEEEE10hipError_tPvRmT1_T2_T3_mmT4_T5_P12ihipStream_tbEUlRKfE_EESS_SW_SX_mSY_S11_bEUlT_E_NS1_11comp_targetILNS1_3genE3ELNS1_11target_archE908ELNS1_3gpuE7ELNS1_3repE0EEENS1_30default_config_static_selectorELNS0_4arch9wavefront6targetE0EEEvSV_, .Lfunc_end170-_ZN7rocprim17ROCPRIM_400000_NS6detail17trampoline_kernelINS0_14default_configENS1_29binary_search_config_selectorIfiEEZNS1_14transform_implILb0ES3_S5_N6thrust23THRUST_200600_302600_NS6detail15normal_iteratorINS8_7pointerIfNS8_11hip_rocprim3tagENS8_11use_defaultESE_EEEENSA_INSB_IiSD_SE_SE_EEEEZNS1_13binary_searchIS3_S5_NSA_INS8_10device_ptrIfEEEESG_SI_NS1_16binary_search_opENS9_16wrapped_functionINS8_7greaterIfEEbEEEE10hipError_tPvRmT1_T2_T3_mmT4_T5_P12ihipStream_tbEUlRKfE_EESS_SW_SX_mSY_S11_bEUlT_E_NS1_11comp_targetILNS1_3genE3ELNS1_11target_archE908ELNS1_3gpuE7ELNS1_3repE0EEENS1_30default_config_static_selectorELNS0_4arch9wavefront6targetE0EEEvSV_
                                        ; -- End function
	.set _ZN7rocprim17ROCPRIM_400000_NS6detail17trampoline_kernelINS0_14default_configENS1_29binary_search_config_selectorIfiEEZNS1_14transform_implILb0ES3_S5_N6thrust23THRUST_200600_302600_NS6detail15normal_iteratorINS8_7pointerIfNS8_11hip_rocprim3tagENS8_11use_defaultESE_EEEENSA_INSB_IiSD_SE_SE_EEEEZNS1_13binary_searchIS3_S5_NSA_INS8_10device_ptrIfEEEESG_SI_NS1_16binary_search_opENS9_16wrapped_functionINS8_7greaterIfEEbEEEE10hipError_tPvRmT1_T2_T3_mmT4_T5_P12ihipStream_tbEUlRKfE_EESS_SW_SX_mSY_S11_bEUlT_E_NS1_11comp_targetILNS1_3genE3ELNS1_11target_archE908ELNS1_3gpuE7ELNS1_3repE0EEENS1_30default_config_static_selectorELNS0_4arch9wavefront6targetE0EEEvSV_.num_vgpr, 0
	.set _ZN7rocprim17ROCPRIM_400000_NS6detail17trampoline_kernelINS0_14default_configENS1_29binary_search_config_selectorIfiEEZNS1_14transform_implILb0ES3_S5_N6thrust23THRUST_200600_302600_NS6detail15normal_iteratorINS8_7pointerIfNS8_11hip_rocprim3tagENS8_11use_defaultESE_EEEENSA_INSB_IiSD_SE_SE_EEEEZNS1_13binary_searchIS3_S5_NSA_INS8_10device_ptrIfEEEESG_SI_NS1_16binary_search_opENS9_16wrapped_functionINS8_7greaterIfEEbEEEE10hipError_tPvRmT1_T2_T3_mmT4_T5_P12ihipStream_tbEUlRKfE_EESS_SW_SX_mSY_S11_bEUlT_E_NS1_11comp_targetILNS1_3genE3ELNS1_11target_archE908ELNS1_3gpuE7ELNS1_3repE0EEENS1_30default_config_static_selectorELNS0_4arch9wavefront6targetE0EEEvSV_.num_agpr, 0
	.set _ZN7rocprim17ROCPRIM_400000_NS6detail17trampoline_kernelINS0_14default_configENS1_29binary_search_config_selectorIfiEEZNS1_14transform_implILb0ES3_S5_N6thrust23THRUST_200600_302600_NS6detail15normal_iteratorINS8_7pointerIfNS8_11hip_rocprim3tagENS8_11use_defaultESE_EEEENSA_INSB_IiSD_SE_SE_EEEEZNS1_13binary_searchIS3_S5_NSA_INS8_10device_ptrIfEEEESG_SI_NS1_16binary_search_opENS9_16wrapped_functionINS8_7greaterIfEEbEEEE10hipError_tPvRmT1_T2_T3_mmT4_T5_P12ihipStream_tbEUlRKfE_EESS_SW_SX_mSY_S11_bEUlT_E_NS1_11comp_targetILNS1_3genE3ELNS1_11target_archE908ELNS1_3gpuE7ELNS1_3repE0EEENS1_30default_config_static_selectorELNS0_4arch9wavefront6targetE0EEEvSV_.numbered_sgpr, 0
	.set _ZN7rocprim17ROCPRIM_400000_NS6detail17trampoline_kernelINS0_14default_configENS1_29binary_search_config_selectorIfiEEZNS1_14transform_implILb0ES3_S5_N6thrust23THRUST_200600_302600_NS6detail15normal_iteratorINS8_7pointerIfNS8_11hip_rocprim3tagENS8_11use_defaultESE_EEEENSA_INSB_IiSD_SE_SE_EEEEZNS1_13binary_searchIS3_S5_NSA_INS8_10device_ptrIfEEEESG_SI_NS1_16binary_search_opENS9_16wrapped_functionINS8_7greaterIfEEbEEEE10hipError_tPvRmT1_T2_T3_mmT4_T5_P12ihipStream_tbEUlRKfE_EESS_SW_SX_mSY_S11_bEUlT_E_NS1_11comp_targetILNS1_3genE3ELNS1_11target_archE908ELNS1_3gpuE7ELNS1_3repE0EEENS1_30default_config_static_selectorELNS0_4arch9wavefront6targetE0EEEvSV_.num_named_barrier, 0
	.set _ZN7rocprim17ROCPRIM_400000_NS6detail17trampoline_kernelINS0_14default_configENS1_29binary_search_config_selectorIfiEEZNS1_14transform_implILb0ES3_S5_N6thrust23THRUST_200600_302600_NS6detail15normal_iteratorINS8_7pointerIfNS8_11hip_rocprim3tagENS8_11use_defaultESE_EEEENSA_INSB_IiSD_SE_SE_EEEEZNS1_13binary_searchIS3_S5_NSA_INS8_10device_ptrIfEEEESG_SI_NS1_16binary_search_opENS9_16wrapped_functionINS8_7greaterIfEEbEEEE10hipError_tPvRmT1_T2_T3_mmT4_T5_P12ihipStream_tbEUlRKfE_EESS_SW_SX_mSY_S11_bEUlT_E_NS1_11comp_targetILNS1_3genE3ELNS1_11target_archE908ELNS1_3gpuE7ELNS1_3repE0EEENS1_30default_config_static_selectorELNS0_4arch9wavefront6targetE0EEEvSV_.private_seg_size, 0
	.set _ZN7rocprim17ROCPRIM_400000_NS6detail17trampoline_kernelINS0_14default_configENS1_29binary_search_config_selectorIfiEEZNS1_14transform_implILb0ES3_S5_N6thrust23THRUST_200600_302600_NS6detail15normal_iteratorINS8_7pointerIfNS8_11hip_rocprim3tagENS8_11use_defaultESE_EEEENSA_INSB_IiSD_SE_SE_EEEEZNS1_13binary_searchIS3_S5_NSA_INS8_10device_ptrIfEEEESG_SI_NS1_16binary_search_opENS9_16wrapped_functionINS8_7greaterIfEEbEEEE10hipError_tPvRmT1_T2_T3_mmT4_T5_P12ihipStream_tbEUlRKfE_EESS_SW_SX_mSY_S11_bEUlT_E_NS1_11comp_targetILNS1_3genE3ELNS1_11target_archE908ELNS1_3gpuE7ELNS1_3repE0EEENS1_30default_config_static_selectorELNS0_4arch9wavefront6targetE0EEEvSV_.uses_vcc, 0
	.set _ZN7rocprim17ROCPRIM_400000_NS6detail17trampoline_kernelINS0_14default_configENS1_29binary_search_config_selectorIfiEEZNS1_14transform_implILb0ES3_S5_N6thrust23THRUST_200600_302600_NS6detail15normal_iteratorINS8_7pointerIfNS8_11hip_rocprim3tagENS8_11use_defaultESE_EEEENSA_INSB_IiSD_SE_SE_EEEEZNS1_13binary_searchIS3_S5_NSA_INS8_10device_ptrIfEEEESG_SI_NS1_16binary_search_opENS9_16wrapped_functionINS8_7greaterIfEEbEEEE10hipError_tPvRmT1_T2_T3_mmT4_T5_P12ihipStream_tbEUlRKfE_EESS_SW_SX_mSY_S11_bEUlT_E_NS1_11comp_targetILNS1_3genE3ELNS1_11target_archE908ELNS1_3gpuE7ELNS1_3repE0EEENS1_30default_config_static_selectorELNS0_4arch9wavefront6targetE0EEEvSV_.uses_flat_scratch, 0
	.set _ZN7rocprim17ROCPRIM_400000_NS6detail17trampoline_kernelINS0_14default_configENS1_29binary_search_config_selectorIfiEEZNS1_14transform_implILb0ES3_S5_N6thrust23THRUST_200600_302600_NS6detail15normal_iteratorINS8_7pointerIfNS8_11hip_rocprim3tagENS8_11use_defaultESE_EEEENSA_INSB_IiSD_SE_SE_EEEEZNS1_13binary_searchIS3_S5_NSA_INS8_10device_ptrIfEEEESG_SI_NS1_16binary_search_opENS9_16wrapped_functionINS8_7greaterIfEEbEEEE10hipError_tPvRmT1_T2_T3_mmT4_T5_P12ihipStream_tbEUlRKfE_EESS_SW_SX_mSY_S11_bEUlT_E_NS1_11comp_targetILNS1_3genE3ELNS1_11target_archE908ELNS1_3gpuE7ELNS1_3repE0EEENS1_30default_config_static_selectorELNS0_4arch9wavefront6targetE0EEEvSV_.has_dyn_sized_stack, 0
	.set _ZN7rocprim17ROCPRIM_400000_NS6detail17trampoline_kernelINS0_14default_configENS1_29binary_search_config_selectorIfiEEZNS1_14transform_implILb0ES3_S5_N6thrust23THRUST_200600_302600_NS6detail15normal_iteratorINS8_7pointerIfNS8_11hip_rocprim3tagENS8_11use_defaultESE_EEEENSA_INSB_IiSD_SE_SE_EEEEZNS1_13binary_searchIS3_S5_NSA_INS8_10device_ptrIfEEEESG_SI_NS1_16binary_search_opENS9_16wrapped_functionINS8_7greaterIfEEbEEEE10hipError_tPvRmT1_T2_T3_mmT4_T5_P12ihipStream_tbEUlRKfE_EESS_SW_SX_mSY_S11_bEUlT_E_NS1_11comp_targetILNS1_3genE3ELNS1_11target_archE908ELNS1_3gpuE7ELNS1_3repE0EEENS1_30default_config_static_selectorELNS0_4arch9wavefront6targetE0EEEvSV_.has_recursion, 0
	.set _ZN7rocprim17ROCPRIM_400000_NS6detail17trampoline_kernelINS0_14default_configENS1_29binary_search_config_selectorIfiEEZNS1_14transform_implILb0ES3_S5_N6thrust23THRUST_200600_302600_NS6detail15normal_iteratorINS8_7pointerIfNS8_11hip_rocprim3tagENS8_11use_defaultESE_EEEENSA_INSB_IiSD_SE_SE_EEEEZNS1_13binary_searchIS3_S5_NSA_INS8_10device_ptrIfEEEESG_SI_NS1_16binary_search_opENS9_16wrapped_functionINS8_7greaterIfEEbEEEE10hipError_tPvRmT1_T2_T3_mmT4_T5_P12ihipStream_tbEUlRKfE_EESS_SW_SX_mSY_S11_bEUlT_E_NS1_11comp_targetILNS1_3genE3ELNS1_11target_archE908ELNS1_3gpuE7ELNS1_3repE0EEENS1_30default_config_static_selectorELNS0_4arch9wavefront6targetE0EEEvSV_.has_indirect_call, 0
	.section	.AMDGPU.csdata,"",@progbits
; Kernel info:
; codeLenInByte = 0
; TotalNumSgprs: 0
; NumVgprs: 0
; ScratchSize: 0
; MemoryBound: 0
; FloatMode: 240
; IeeeMode: 1
; LDSByteSize: 0 bytes/workgroup (compile time only)
; SGPRBlocks: 0
; VGPRBlocks: 0
; NumSGPRsForWavesPerEU: 1
; NumVGPRsForWavesPerEU: 1
; NamedBarCnt: 0
; Occupancy: 16
; WaveLimiterHint : 0
; COMPUTE_PGM_RSRC2:SCRATCH_EN: 0
; COMPUTE_PGM_RSRC2:USER_SGPR: 2
; COMPUTE_PGM_RSRC2:TRAP_HANDLER: 0
; COMPUTE_PGM_RSRC2:TGID_X_EN: 1
; COMPUTE_PGM_RSRC2:TGID_Y_EN: 0
; COMPUTE_PGM_RSRC2:TGID_Z_EN: 0
; COMPUTE_PGM_RSRC2:TIDIG_COMP_CNT: 0
	.section	.text._ZN7rocprim17ROCPRIM_400000_NS6detail17trampoline_kernelINS0_14default_configENS1_29binary_search_config_selectorIfiEEZNS1_14transform_implILb0ES3_S5_N6thrust23THRUST_200600_302600_NS6detail15normal_iteratorINS8_7pointerIfNS8_11hip_rocprim3tagENS8_11use_defaultESE_EEEENSA_INSB_IiSD_SE_SE_EEEEZNS1_13binary_searchIS3_S5_NSA_INS8_10device_ptrIfEEEESG_SI_NS1_16binary_search_opENS9_16wrapped_functionINS8_7greaterIfEEbEEEE10hipError_tPvRmT1_T2_T3_mmT4_T5_P12ihipStream_tbEUlRKfE_EESS_SW_SX_mSY_S11_bEUlT_E_NS1_11comp_targetILNS1_3genE2ELNS1_11target_archE906ELNS1_3gpuE6ELNS1_3repE0EEENS1_30default_config_static_selectorELNS0_4arch9wavefront6targetE0EEEvSV_,"axG",@progbits,_ZN7rocprim17ROCPRIM_400000_NS6detail17trampoline_kernelINS0_14default_configENS1_29binary_search_config_selectorIfiEEZNS1_14transform_implILb0ES3_S5_N6thrust23THRUST_200600_302600_NS6detail15normal_iteratorINS8_7pointerIfNS8_11hip_rocprim3tagENS8_11use_defaultESE_EEEENSA_INSB_IiSD_SE_SE_EEEEZNS1_13binary_searchIS3_S5_NSA_INS8_10device_ptrIfEEEESG_SI_NS1_16binary_search_opENS9_16wrapped_functionINS8_7greaterIfEEbEEEE10hipError_tPvRmT1_T2_T3_mmT4_T5_P12ihipStream_tbEUlRKfE_EESS_SW_SX_mSY_S11_bEUlT_E_NS1_11comp_targetILNS1_3genE2ELNS1_11target_archE906ELNS1_3gpuE6ELNS1_3repE0EEENS1_30default_config_static_selectorELNS0_4arch9wavefront6targetE0EEEvSV_,comdat
	.protected	_ZN7rocprim17ROCPRIM_400000_NS6detail17trampoline_kernelINS0_14default_configENS1_29binary_search_config_selectorIfiEEZNS1_14transform_implILb0ES3_S5_N6thrust23THRUST_200600_302600_NS6detail15normal_iteratorINS8_7pointerIfNS8_11hip_rocprim3tagENS8_11use_defaultESE_EEEENSA_INSB_IiSD_SE_SE_EEEEZNS1_13binary_searchIS3_S5_NSA_INS8_10device_ptrIfEEEESG_SI_NS1_16binary_search_opENS9_16wrapped_functionINS8_7greaterIfEEbEEEE10hipError_tPvRmT1_T2_T3_mmT4_T5_P12ihipStream_tbEUlRKfE_EESS_SW_SX_mSY_S11_bEUlT_E_NS1_11comp_targetILNS1_3genE2ELNS1_11target_archE906ELNS1_3gpuE6ELNS1_3repE0EEENS1_30default_config_static_selectorELNS0_4arch9wavefront6targetE0EEEvSV_ ; -- Begin function _ZN7rocprim17ROCPRIM_400000_NS6detail17trampoline_kernelINS0_14default_configENS1_29binary_search_config_selectorIfiEEZNS1_14transform_implILb0ES3_S5_N6thrust23THRUST_200600_302600_NS6detail15normal_iteratorINS8_7pointerIfNS8_11hip_rocprim3tagENS8_11use_defaultESE_EEEENSA_INSB_IiSD_SE_SE_EEEEZNS1_13binary_searchIS3_S5_NSA_INS8_10device_ptrIfEEEESG_SI_NS1_16binary_search_opENS9_16wrapped_functionINS8_7greaterIfEEbEEEE10hipError_tPvRmT1_T2_T3_mmT4_T5_P12ihipStream_tbEUlRKfE_EESS_SW_SX_mSY_S11_bEUlT_E_NS1_11comp_targetILNS1_3genE2ELNS1_11target_archE906ELNS1_3gpuE6ELNS1_3repE0EEENS1_30default_config_static_selectorELNS0_4arch9wavefront6targetE0EEEvSV_
	.globl	_ZN7rocprim17ROCPRIM_400000_NS6detail17trampoline_kernelINS0_14default_configENS1_29binary_search_config_selectorIfiEEZNS1_14transform_implILb0ES3_S5_N6thrust23THRUST_200600_302600_NS6detail15normal_iteratorINS8_7pointerIfNS8_11hip_rocprim3tagENS8_11use_defaultESE_EEEENSA_INSB_IiSD_SE_SE_EEEEZNS1_13binary_searchIS3_S5_NSA_INS8_10device_ptrIfEEEESG_SI_NS1_16binary_search_opENS9_16wrapped_functionINS8_7greaterIfEEbEEEE10hipError_tPvRmT1_T2_T3_mmT4_T5_P12ihipStream_tbEUlRKfE_EESS_SW_SX_mSY_S11_bEUlT_E_NS1_11comp_targetILNS1_3genE2ELNS1_11target_archE906ELNS1_3gpuE6ELNS1_3repE0EEENS1_30default_config_static_selectorELNS0_4arch9wavefront6targetE0EEEvSV_
	.p2align	8
	.type	_ZN7rocprim17ROCPRIM_400000_NS6detail17trampoline_kernelINS0_14default_configENS1_29binary_search_config_selectorIfiEEZNS1_14transform_implILb0ES3_S5_N6thrust23THRUST_200600_302600_NS6detail15normal_iteratorINS8_7pointerIfNS8_11hip_rocprim3tagENS8_11use_defaultESE_EEEENSA_INSB_IiSD_SE_SE_EEEEZNS1_13binary_searchIS3_S5_NSA_INS8_10device_ptrIfEEEESG_SI_NS1_16binary_search_opENS9_16wrapped_functionINS8_7greaterIfEEbEEEE10hipError_tPvRmT1_T2_T3_mmT4_T5_P12ihipStream_tbEUlRKfE_EESS_SW_SX_mSY_S11_bEUlT_E_NS1_11comp_targetILNS1_3genE2ELNS1_11target_archE906ELNS1_3gpuE6ELNS1_3repE0EEENS1_30default_config_static_selectorELNS0_4arch9wavefront6targetE0EEEvSV_,@function
_ZN7rocprim17ROCPRIM_400000_NS6detail17trampoline_kernelINS0_14default_configENS1_29binary_search_config_selectorIfiEEZNS1_14transform_implILb0ES3_S5_N6thrust23THRUST_200600_302600_NS6detail15normal_iteratorINS8_7pointerIfNS8_11hip_rocprim3tagENS8_11use_defaultESE_EEEENSA_INSB_IiSD_SE_SE_EEEEZNS1_13binary_searchIS3_S5_NSA_INS8_10device_ptrIfEEEESG_SI_NS1_16binary_search_opENS9_16wrapped_functionINS8_7greaterIfEEbEEEE10hipError_tPvRmT1_T2_T3_mmT4_T5_P12ihipStream_tbEUlRKfE_EESS_SW_SX_mSY_S11_bEUlT_E_NS1_11comp_targetILNS1_3genE2ELNS1_11target_archE906ELNS1_3gpuE6ELNS1_3repE0EEENS1_30default_config_static_selectorELNS0_4arch9wavefront6targetE0EEEvSV_: ; @_ZN7rocprim17ROCPRIM_400000_NS6detail17trampoline_kernelINS0_14default_configENS1_29binary_search_config_selectorIfiEEZNS1_14transform_implILb0ES3_S5_N6thrust23THRUST_200600_302600_NS6detail15normal_iteratorINS8_7pointerIfNS8_11hip_rocprim3tagENS8_11use_defaultESE_EEEENSA_INSB_IiSD_SE_SE_EEEEZNS1_13binary_searchIS3_S5_NSA_INS8_10device_ptrIfEEEESG_SI_NS1_16binary_search_opENS9_16wrapped_functionINS8_7greaterIfEEbEEEE10hipError_tPvRmT1_T2_T3_mmT4_T5_P12ihipStream_tbEUlRKfE_EESS_SW_SX_mSY_S11_bEUlT_E_NS1_11comp_targetILNS1_3genE2ELNS1_11target_archE906ELNS1_3gpuE6ELNS1_3repE0EEENS1_30default_config_static_selectorELNS0_4arch9wavefront6targetE0EEEvSV_
; %bb.0:
	.section	.rodata,"a",@progbits
	.p2align	6, 0x0
	.amdhsa_kernel _ZN7rocprim17ROCPRIM_400000_NS6detail17trampoline_kernelINS0_14default_configENS1_29binary_search_config_selectorIfiEEZNS1_14transform_implILb0ES3_S5_N6thrust23THRUST_200600_302600_NS6detail15normal_iteratorINS8_7pointerIfNS8_11hip_rocprim3tagENS8_11use_defaultESE_EEEENSA_INSB_IiSD_SE_SE_EEEEZNS1_13binary_searchIS3_S5_NSA_INS8_10device_ptrIfEEEESG_SI_NS1_16binary_search_opENS9_16wrapped_functionINS8_7greaterIfEEbEEEE10hipError_tPvRmT1_T2_T3_mmT4_T5_P12ihipStream_tbEUlRKfE_EESS_SW_SX_mSY_S11_bEUlT_E_NS1_11comp_targetILNS1_3genE2ELNS1_11target_archE906ELNS1_3gpuE6ELNS1_3repE0EEENS1_30default_config_static_selectorELNS0_4arch9wavefront6targetE0EEEvSV_
		.amdhsa_group_segment_fixed_size 0
		.amdhsa_private_segment_fixed_size 0
		.amdhsa_kernarg_size 56
		.amdhsa_user_sgpr_count 2
		.amdhsa_user_sgpr_dispatch_ptr 0
		.amdhsa_user_sgpr_queue_ptr 0
		.amdhsa_user_sgpr_kernarg_segment_ptr 1
		.amdhsa_user_sgpr_dispatch_id 0
		.amdhsa_user_sgpr_kernarg_preload_length 0
		.amdhsa_user_sgpr_kernarg_preload_offset 0
		.amdhsa_user_sgpr_private_segment_size 0
		.amdhsa_wavefront_size32 1
		.amdhsa_uses_dynamic_stack 0
		.amdhsa_enable_private_segment 0
		.amdhsa_system_sgpr_workgroup_id_x 1
		.amdhsa_system_sgpr_workgroup_id_y 0
		.amdhsa_system_sgpr_workgroup_id_z 0
		.amdhsa_system_sgpr_workgroup_info 0
		.amdhsa_system_vgpr_workitem_id 0
		.amdhsa_next_free_vgpr 1
		.amdhsa_next_free_sgpr 1
		.amdhsa_named_barrier_count 0
		.amdhsa_reserve_vcc 0
		.amdhsa_float_round_mode_32 0
		.amdhsa_float_round_mode_16_64 0
		.amdhsa_float_denorm_mode_32 3
		.amdhsa_float_denorm_mode_16_64 3
		.amdhsa_fp16_overflow 0
		.amdhsa_memory_ordered 1
		.amdhsa_forward_progress 1
		.amdhsa_inst_pref_size 0
		.amdhsa_round_robin_scheduling 0
		.amdhsa_exception_fp_ieee_invalid_op 0
		.amdhsa_exception_fp_denorm_src 0
		.amdhsa_exception_fp_ieee_div_zero 0
		.amdhsa_exception_fp_ieee_overflow 0
		.amdhsa_exception_fp_ieee_underflow 0
		.amdhsa_exception_fp_ieee_inexact 0
		.amdhsa_exception_int_div_zero 0
	.end_amdhsa_kernel
	.section	.text._ZN7rocprim17ROCPRIM_400000_NS6detail17trampoline_kernelINS0_14default_configENS1_29binary_search_config_selectorIfiEEZNS1_14transform_implILb0ES3_S5_N6thrust23THRUST_200600_302600_NS6detail15normal_iteratorINS8_7pointerIfNS8_11hip_rocprim3tagENS8_11use_defaultESE_EEEENSA_INSB_IiSD_SE_SE_EEEEZNS1_13binary_searchIS3_S5_NSA_INS8_10device_ptrIfEEEESG_SI_NS1_16binary_search_opENS9_16wrapped_functionINS8_7greaterIfEEbEEEE10hipError_tPvRmT1_T2_T3_mmT4_T5_P12ihipStream_tbEUlRKfE_EESS_SW_SX_mSY_S11_bEUlT_E_NS1_11comp_targetILNS1_3genE2ELNS1_11target_archE906ELNS1_3gpuE6ELNS1_3repE0EEENS1_30default_config_static_selectorELNS0_4arch9wavefront6targetE0EEEvSV_,"axG",@progbits,_ZN7rocprim17ROCPRIM_400000_NS6detail17trampoline_kernelINS0_14default_configENS1_29binary_search_config_selectorIfiEEZNS1_14transform_implILb0ES3_S5_N6thrust23THRUST_200600_302600_NS6detail15normal_iteratorINS8_7pointerIfNS8_11hip_rocprim3tagENS8_11use_defaultESE_EEEENSA_INSB_IiSD_SE_SE_EEEEZNS1_13binary_searchIS3_S5_NSA_INS8_10device_ptrIfEEEESG_SI_NS1_16binary_search_opENS9_16wrapped_functionINS8_7greaterIfEEbEEEE10hipError_tPvRmT1_T2_T3_mmT4_T5_P12ihipStream_tbEUlRKfE_EESS_SW_SX_mSY_S11_bEUlT_E_NS1_11comp_targetILNS1_3genE2ELNS1_11target_archE906ELNS1_3gpuE6ELNS1_3repE0EEENS1_30default_config_static_selectorELNS0_4arch9wavefront6targetE0EEEvSV_,comdat
.Lfunc_end171:
	.size	_ZN7rocprim17ROCPRIM_400000_NS6detail17trampoline_kernelINS0_14default_configENS1_29binary_search_config_selectorIfiEEZNS1_14transform_implILb0ES3_S5_N6thrust23THRUST_200600_302600_NS6detail15normal_iteratorINS8_7pointerIfNS8_11hip_rocprim3tagENS8_11use_defaultESE_EEEENSA_INSB_IiSD_SE_SE_EEEEZNS1_13binary_searchIS3_S5_NSA_INS8_10device_ptrIfEEEESG_SI_NS1_16binary_search_opENS9_16wrapped_functionINS8_7greaterIfEEbEEEE10hipError_tPvRmT1_T2_T3_mmT4_T5_P12ihipStream_tbEUlRKfE_EESS_SW_SX_mSY_S11_bEUlT_E_NS1_11comp_targetILNS1_3genE2ELNS1_11target_archE906ELNS1_3gpuE6ELNS1_3repE0EEENS1_30default_config_static_selectorELNS0_4arch9wavefront6targetE0EEEvSV_, .Lfunc_end171-_ZN7rocprim17ROCPRIM_400000_NS6detail17trampoline_kernelINS0_14default_configENS1_29binary_search_config_selectorIfiEEZNS1_14transform_implILb0ES3_S5_N6thrust23THRUST_200600_302600_NS6detail15normal_iteratorINS8_7pointerIfNS8_11hip_rocprim3tagENS8_11use_defaultESE_EEEENSA_INSB_IiSD_SE_SE_EEEEZNS1_13binary_searchIS3_S5_NSA_INS8_10device_ptrIfEEEESG_SI_NS1_16binary_search_opENS9_16wrapped_functionINS8_7greaterIfEEbEEEE10hipError_tPvRmT1_T2_T3_mmT4_T5_P12ihipStream_tbEUlRKfE_EESS_SW_SX_mSY_S11_bEUlT_E_NS1_11comp_targetILNS1_3genE2ELNS1_11target_archE906ELNS1_3gpuE6ELNS1_3repE0EEENS1_30default_config_static_selectorELNS0_4arch9wavefront6targetE0EEEvSV_
                                        ; -- End function
	.set _ZN7rocprim17ROCPRIM_400000_NS6detail17trampoline_kernelINS0_14default_configENS1_29binary_search_config_selectorIfiEEZNS1_14transform_implILb0ES3_S5_N6thrust23THRUST_200600_302600_NS6detail15normal_iteratorINS8_7pointerIfNS8_11hip_rocprim3tagENS8_11use_defaultESE_EEEENSA_INSB_IiSD_SE_SE_EEEEZNS1_13binary_searchIS3_S5_NSA_INS8_10device_ptrIfEEEESG_SI_NS1_16binary_search_opENS9_16wrapped_functionINS8_7greaterIfEEbEEEE10hipError_tPvRmT1_T2_T3_mmT4_T5_P12ihipStream_tbEUlRKfE_EESS_SW_SX_mSY_S11_bEUlT_E_NS1_11comp_targetILNS1_3genE2ELNS1_11target_archE906ELNS1_3gpuE6ELNS1_3repE0EEENS1_30default_config_static_selectorELNS0_4arch9wavefront6targetE0EEEvSV_.num_vgpr, 0
	.set _ZN7rocprim17ROCPRIM_400000_NS6detail17trampoline_kernelINS0_14default_configENS1_29binary_search_config_selectorIfiEEZNS1_14transform_implILb0ES3_S5_N6thrust23THRUST_200600_302600_NS6detail15normal_iteratorINS8_7pointerIfNS8_11hip_rocprim3tagENS8_11use_defaultESE_EEEENSA_INSB_IiSD_SE_SE_EEEEZNS1_13binary_searchIS3_S5_NSA_INS8_10device_ptrIfEEEESG_SI_NS1_16binary_search_opENS9_16wrapped_functionINS8_7greaterIfEEbEEEE10hipError_tPvRmT1_T2_T3_mmT4_T5_P12ihipStream_tbEUlRKfE_EESS_SW_SX_mSY_S11_bEUlT_E_NS1_11comp_targetILNS1_3genE2ELNS1_11target_archE906ELNS1_3gpuE6ELNS1_3repE0EEENS1_30default_config_static_selectorELNS0_4arch9wavefront6targetE0EEEvSV_.num_agpr, 0
	.set _ZN7rocprim17ROCPRIM_400000_NS6detail17trampoline_kernelINS0_14default_configENS1_29binary_search_config_selectorIfiEEZNS1_14transform_implILb0ES3_S5_N6thrust23THRUST_200600_302600_NS6detail15normal_iteratorINS8_7pointerIfNS8_11hip_rocprim3tagENS8_11use_defaultESE_EEEENSA_INSB_IiSD_SE_SE_EEEEZNS1_13binary_searchIS3_S5_NSA_INS8_10device_ptrIfEEEESG_SI_NS1_16binary_search_opENS9_16wrapped_functionINS8_7greaterIfEEbEEEE10hipError_tPvRmT1_T2_T3_mmT4_T5_P12ihipStream_tbEUlRKfE_EESS_SW_SX_mSY_S11_bEUlT_E_NS1_11comp_targetILNS1_3genE2ELNS1_11target_archE906ELNS1_3gpuE6ELNS1_3repE0EEENS1_30default_config_static_selectorELNS0_4arch9wavefront6targetE0EEEvSV_.numbered_sgpr, 0
	.set _ZN7rocprim17ROCPRIM_400000_NS6detail17trampoline_kernelINS0_14default_configENS1_29binary_search_config_selectorIfiEEZNS1_14transform_implILb0ES3_S5_N6thrust23THRUST_200600_302600_NS6detail15normal_iteratorINS8_7pointerIfNS8_11hip_rocprim3tagENS8_11use_defaultESE_EEEENSA_INSB_IiSD_SE_SE_EEEEZNS1_13binary_searchIS3_S5_NSA_INS8_10device_ptrIfEEEESG_SI_NS1_16binary_search_opENS9_16wrapped_functionINS8_7greaterIfEEbEEEE10hipError_tPvRmT1_T2_T3_mmT4_T5_P12ihipStream_tbEUlRKfE_EESS_SW_SX_mSY_S11_bEUlT_E_NS1_11comp_targetILNS1_3genE2ELNS1_11target_archE906ELNS1_3gpuE6ELNS1_3repE0EEENS1_30default_config_static_selectorELNS0_4arch9wavefront6targetE0EEEvSV_.num_named_barrier, 0
	.set _ZN7rocprim17ROCPRIM_400000_NS6detail17trampoline_kernelINS0_14default_configENS1_29binary_search_config_selectorIfiEEZNS1_14transform_implILb0ES3_S5_N6thrust23THRUST_200600_302600_NS6detail15normal_iteratorINS8_7pointerIfNS8_11hip_rocprim3tagENS8_11use_defaultESE_EEEENSA_INSB_IiSD_SE_SE_EEEEZNS1_13binary_searchIS3_S5_NSA_INS8_10device_ptrIfEEEESG_SI_NS1_16binary_search_opENS9_16wrapped_functionINS8_7greaterIfEEbEEEE10hipError_tPvRmT1_T2_T3_mmT4_T5_P12ihipStream_tbEUlRKfE_EESS_SW_SX_mSY_S11_bEUlT_E_NS1_11comp_targetILNS1_3genE2ELNS1_11target_archE906ELNS1_3gpuE6ELNS1_3repE0EEENS1_30default_config_static_selectorELNS0_4arch9wavefront6targetE0EEEvSV_.private_seg_size, 0
	.set _ZN7rocprim17ROCPRIM_400000_NS6detail17trampoline_kernelINS0_14default_configENS1_29binary_search_config_selectorIfiEEZNS1_14transform_implILb0ES3_S5_N6thrust23THRUST_200600_302600_NS6detail15normal_iteratorINS8_7pointerIfNS8_11hip_rocprim3tagENS8_11use_defaultESE_EEEENSA_INSB_IiSD_SE_SE_EEEEZNS1_13binary_searchIS3_S5_NSA_INS8_10device_ptrIfEEEESG_SI_NS1_16binary_search_opENS9_16wrapped_functionINS8_7greaterIfEEbEEEE10hipError_tPvRmT1_T2_T3_mmT4_T5_P12ihipStream_tbEUlRKfE_EESS_SW_SX_mSY_S11_bEUlT_E_NS1_11comp_targetILNS1_3genE2ELNS1_11target_archE906ELNS1_3gpuE6ELNS1_3repE0EEENS1_30default_config_static_selectorELNS0_4arch9wavefront6targetE0EEEvSV_.uses_vcc, 0
	.set _ZN7rocprim17ROCPRIM_400000_NS6detail17trampoline_kernelINS0_14default_configENS1_29binary_search_config_selectorIfiEEZNS1_14transform_implILb0ES3_S5_N6thrust23THRUST_200600_302600_NS6detail15normal_iteratorINS8_7pointerIfNS8_11hip_rocprim3tagENS8_11use_defaultESE_EEEENSA_INSB_IiSD_SE_SE_EEEEZNS1_13binary_searchIS3_S5_NSA_INS8_10device_ptrIfEEEESG_SI_NS1_16binary_search_opENS9_16wrapped_functionINS8_7greaterIfEEbEEEE10hipError_tPvRmT1_T2_T3_mmT4_T5_P12ihipStream_tbEUlRKfE_EESS_SW_SX_mSY_S11_bEUlT_E_NS1_11comp_targetILNS1_3genE2ELNS1_11target_archE906ELNS1_3gpuE6ELNS1_3repE0EEENS1_30default_config_static_selectorELNS0_4arch9wavefront6targetE0EEEvSV_.uses_flat_scratch, 0
	.set _ZN7rocprim17ROCPRIM_400000_NS6detail17trampoline_kernelINS0_14default_configENS1_29binary_search_config_selectorIfiEEZNS1_14transform_implILb0ES3_S5_N6thrust23THRUST_200600_302600_NS6detail15normal_iteratorINS8_7pointerIfNS8_11hip_rocprim3tagENS8_11use_defaultESE_EEEENSA_INSB_IiSD_SE_SE_EEEEZNS1_13binary_searchIS3_S5_NSA_INS8_10device_ptrIfEEEESG_SI_NS1_16binary_search_opENS9_16wrapped_functionINS8_7greaterIfEEbEEEE10hipError_tPvRmT1_T2_T3_mmT4_T5_P12ihipStream_tbEUlRKfE_EESS_SW_SX_mSY_S11_bEUlT_E_NS1_11comp_targetILNS1_3genE2ELNS1_11target_archE906ELNS1_3gpuE6ELNS1_3repE0EEENS1_30default_config_static_selectorELNS0_4arch9wavefront6targetE0EEEvSV_.has_dyn_sized_stack, 0
	.set _ZN7rocprim17ROCPRIM_400000_NS6detail17trampoline_kernelINS0_14default_configENS1_29binary_search_config_selectorIfiEEZNS1_14transform_implILb0ES3_S5_N6thrust23THRUST_200600_302600_NS6detail15normal_iteratorINS8_7pointerIfNS8_11hip_rocprim3tagENS8_11use_defaultESE_EEEENSA_INSB_IiSD_SE_SE_EEEEZNS1_13binary_searchIS3_S5_NSA_INS8_10device_ptrIfEEEESG_SI_NS1_16binary_search_opENS9_16wrapped_functionINS8_7greaterIfEEbEEEE10hipError_tPvRmT1_T2_T3_mmT4_T5_P12ihipStream_tbEUlRKfE_EESS_SW_SX_mSY_S11_bEUlT_E_NS1_11comp_targetILNS1_3genE2ELNS1_11target_archE906ELNS1_3gpuE6ELNS1_3repE0EEENS1_30default_config_static_selectorELNS0_4arch9wavefront6targetE0EEEvSV_.has_recursion, 0
	.set _ZN7rocprim17ROCPRIM_400000_NS6detail17trampoline_kernelINS0_14default_configENS1_29binary_search_config_selectorIfiEEZNS1_14transform_implILb0ES3_S5_N6thrust23THRUST_200600_302600_NS6detail15normal_iteratorINS8_7pointerIfNS8_11hip_rocprim3tagENS8_11use_defaultESE_EEEENSA_INSB_IiSD_SE_SE_EEEEZNS1_13binary_searchIS3_S5_NSA_INS8_10device_ptrIfEEEESG_SI_NS1_16binary_search_opENS9_16wrapped_functionINS8_7greaterIfEEbEEEE10hipError_tPvRmT1_T2_T3_mmT4_T5_P12ihipStream_tbEUlRKfE_EESS_SW_SX_mSY_S11_bEUlT_E_NS1_11comp_targetILNS1_3genE2ELNS1_11target_archE906ELNS1_3gpuE6ELNS1_3repE0EEENS1_30default_config_static_selectorELNS0_4arch9wavefront6targetE0EEEvSV_.has_indirect_call, 0
	.section	.AMDGPU.csdata,"",@progbits
; Kernel info:
; codeLenInByte = 0
; TotalNumSgprs: 0
; NumVgprs: 0
; ScratchSize: 0
; MemoryBound: 0
; FloatMode: 240
; IeeeMode: 1
; LDSByteSize: 0 bytes/workgroup (compile time only)
; SGPRBlocks: 0
; VGPRBlocks: 0
; NumSGPRsForWavesPerEU: 1
; NumVGPRsForWavesPerEU: 1
; NamedBarCnt: 0
; Occupancy: 16
; WaveLimiterHint : 0
; COMPUTE_PGM_RSRC2:SCRATCH_EN: 0
; COMPUTE_PGM_RSRC2:USER_SGPR: 2
; COMPUTE_PGM_RSRC2:TRAP_HANDLER: 0
; COMPUTE_PGM_RSRC2:TGID_X_EN: 1
; COMPUTE_PGM_RSRC2:TGID_Y_EN: 0
; COMPUTE_PGM_RSRC2:TGID_Z_EN: 0
; COMPUTE_PGM_RSRC2:TIDIG_COMP_CNT: 0
	.section	.text._ZN7rocprim17ROCPRIM_400000_NS6detail17trampoline_kernelINS0_14default_configENS1_29binary_search_config_selectorIfiEEZNS1_14transform_implILb0ES3_S5_N6thrust23THRUST_200600_302600_NS6detail15normal_iteratorINS8_7pointerIfNS8_11hip_rocprim3tagENS8_11use_defaultESE_EEEENSA_INSB_IiSD_SE_SE_EEEEZNS1_13binary_searchIS3_S5_NSA_INS8_10device_ptrIfEEEESG_SI_NS1_16binary_search_opENS9_16wrapped_functionINS8_7greaterIfEEbEEEE10hipError_tPvRmT1_T2_T3_mmT4_T5_P12ihipStream_tbEUlRKfE_EESS_SW_SX_mSY_S11_bEUlT_E_NS1_11comp_targetILNS1_3genE10ELNS1_11target_archE1201ELNS1_3gpuE5ELNS1_3repE0EEENS1_30default_config_static_selectorELNS0_4arch9wavefront6targetE0EEEvSV_,"axG",@progbits,_ZN7rocprim17ROCPRIM_400000_NS6detail17trampoline_kernelINS0_14default_configENS1_29binary_search_config_selectorIfiEEZNS1_14transform_implILb0ES3_S5_N6thrust23THRUST_200600_302600_NS6detail15normal_iteratorINS8_7pointerIfNS8_11hip_rocprim3tagENS8_11use_defaultESE_EEEENSA_INSB_IiSD_SE_SE_EEEEZNS1_13binary_searchIS3_S5_NSA_INS8_10device_ptrIfEEEESG_SI_NS1_16binary_search_opENS9_16wrapped_functionINS8_7greaterIfEEbEEEE10hipError_tPvRmT1_T2_T3_mmT4_T5_P12ihipStream_tbEUlRKfE_EESS_SW_SX_mSY_S11_bEUlT_E_NS1_11comp_targetILNS1_3genE10ELNS1_11target_archE1201ELNS1_3gpuE5ELNS1_3repE0EEENS1_30default_config_static_selectorELNS0_4arch9wavefront6targetE0EEEvSV_,comdat
	.protected	_ZN7rocprim17ROCPRIM_400000_NS6detail17trampoline_kernelINS0_14default_configENS1_29binary_search_config_selectorIfiEEZNS1_14transform_implILb0ES3_S5_N6thrust23THRUST_200600_302600_NS6detail15normal_iteratorINS8_7pointerIfNS8_11hip_rocprim3tagENS8_11use_defaultESE_EEEENSA_INSB_IiSD_SE_SE_EEEEZNS1_13binary_searchIS3_S5_NSA_INS8_10device_ptrIfEEEESG_SI_NS1_16binary_search_opENS9_16wrapped_functionINS8_7greaterIfEEbEEEE10hipError_tPvRmT1_T2_T3_mmT4_T5_P12ihipStream_tbEUlRKfE_EESS_SW_SX_mSY_S11_bEUlT_E_NS1_11comp_targetILNS1_3genE10ELNS1_11target_archE1201ELNS1_3gpuE5ELNS1_3repE0EEENS1_30default_config_static_selectorELNS0_4arch9wavefront6targetE0EEEvSV_ ; -- Begin function _ZN7rocprim17ROCPRIM_400000_NS6detail17trampoline_kernelINS0_14default_configENS1_29binary_search_config_selectorIfiEEZNS1_14transform_implILb0ES3_S5_N6thrust23THRUST_200600_302600_NS6detail15normal_iteratorINS8_7pointerIfNS8_11hip_rocprim3tagENS8_11use_defaultESE_EEEENSA_INSB_IiSD_SE_SE_EEEEZNS1_13binary_searchIS3_S5_NSA_INS8_10device_ptrIfEEEESG_SI_NS1_16binary_search_opENS9_16wrapped_functionINS8_7greaterIfEEbEEEE10hipError_tPvRmT1_T2_T3_mmT4_T5_P12ihipStream_tbEUlRKfE_EESS_SW_SX_mSY_S11_bEUlT_E_NS1_11comp_targetILNS1_3genE10ELNS1_11target_archE1201ELNS1_3gpuE5ELNS1_3repE0EEENS1_30default_config_static_selectorELNS0_4arch9wavefront6targetE0EEEvSV_
	.globl	_ZN7rocprim17ROCPRIM_400000_NS6detail17trampoline_kernelINS0_14default_configENS1_29binary_search_config_selectorIfiEEZNS1_14transform_implILb0ES3_S5_N6thrust23THRUST_200600_302600_NS6detail15normal_iteratorINS8_7pointerIfNS8_11hip_rocprim3tagENS8_11use_defaultESE_EEEENSA_INSB_IiSD_SE_SE_EEEEZNS1_13binary_searchIS3_S5_NSA_INS8_10device_ptrIfEEEESG_SI_NS1_16binary_search_opENS9_16wrapped_functionINS8_7greaterIfEEbEEEE10hipError_tPvRmT1_T2_T3_mmT4_T5_P12ihipStream_tbEUlRKfE_EESS_SW_SX_mSY_S11_bEUlT_E_NS1_11comp_targetILNS1_3genE10ELNS1_11target_archE1201ELNS1_3gpuE5ELNS1_3repE0EEENS1_30default_config_static_selectorELNS0_4arch9wavefront6targetE0EEEvSV_
	.p2align	8
	.type	_ZN7rocprim17ROCPRIM_400000_NS6detail17trampoline_kernelINS0_14default_configENS1_29binary_search_config_selectorIfiEEZNS1_14transform_implILb0ES3_S5_N6thrust23THRUST_200600_302600_NS6detail15normal_iteratorINS8_7pointerIfNS8_11hip_rocprim3tagENS8_11use_defaultESE_EEEENSA_INSB_IiSD_SE_SE_EEEEZNS1_13binary_searchIS3_S5_NSA_INS8_10device_ptrIfEEEESG_SI_NS1_16binary_search_opENS9_16wrapped_functionINS8_7greaterIfEEbEEEE10hipError_tPvRmT1_T2_T3_mmT4_T5_P12ihipStream_tbEUlRKfE_EESS_SW_SX_mSY_S11_bEUlT_E_NS1_11comp_targetILNS1_3genE10ELNS1_11target_archE1201ELNS1_3gpuE5ELNS1_3repE0EEENS1_30default_config_static_selectorELNS0_4arch9wavefront6targetE0EEEvSV_,@function
_ZN7rocprim17ROCPRIM_400000_NS6detail17trampoline_kernelINS0_14default_configENS1_29binary_search_config_selectorIfiEEZNS1_14transform_implILb0ES3_S5_N6thrust23THRUST_200600_302600_NS6detail15normal_iteratorINS8_7pointerIfNS8_11hip_rocprim3tagENS8_11use_defaultESE_EEEENSA_INSB_IiSD_SE_SE_EEEEZNS1_13binary_searchIS3_S5_NSA_INS8_10device_ptrIfEEEESG_SI_NS1_16binary_search_opENS9_16wrapped_functionINS8_7greaterIfEEbEEEE10hipError_tPvRmT1_T2_T3_mmT4_T5_P12ihipStream_tbEUlRKfE_EESS_SW_SX_mSY_S11_bEUlT_E_NS1_11comp_targetILNS1_3genE10ELNS1_11target_archE1201ELNS1_3gpuE5ELNS1_3repE0EEENS1_30default_config_static_selectorELNS0_4arch9wavefront6targetE0EEEvSV_: ; @_ZN7rocprim17ROCPRIM_400000_NS6detail17trampoline_kernelINS0_14default_configENS1_29binary_search_config_selectorIfiEEZNS1_14transform_implILb0ES3_S5_N6thrust23THRUST_200600_302600_NS6detail15normal_iteratorINS8_7pointerIfNS8_11hip_rocprim3tagENS8_11use_defaultESE_EEEENSA_INSB_IiSD_SE_SE_EEEEZNS1_13binary_searchIS3_S5_NSA_INS8_10device_ptrIfEEEESG_SI_NS1_16binary_search_opENS9_16wrapped_functionINS8_7greaterIfEEbEEEE10hipError_tPvRmT1_T2_T3_mmT4_T5_P12ihipStream_tbEUlRKfE_EESS_SW_SX_mSY_S11_bEUlT_E_NS1_11comp_targetILNS1_3genE10ELNS1_11target_archE1201ELNS1_3gpuE5ELNS1_3repE0EEENS1_30default_config_static_selectorELNS0_4arch9wavefront6targetE0EEEvSV_
; %bb.0:
	.section	.rodata,"a",@progbits
	.p2align	6, 0x0
	.amdhsa_kernel _ZN7rocprim17ROCPRIM_400000_NS6detail17trampoline_kernelINS0_14default_configENS1_29binary_search_config_selectorIfiEEZNS1_14transform_implILb0ES3_S5_N6thrust23THRUST_200600_302600_NS6detail15normal_iteratorINS8_7pointerIfNS8_11hip_rocprim3tagENS8_11use_defaultESE_EEEENSA_INSB_IiSD_SE_SE_EEEEZNS1_13binary_searchIS3_S5_NSA_INS8_10device_ptrIfEEEESG_SI_NS1_16binary_search_opENS9_16wrapped_functionINS8_7greaterIfEEbEEEE10hipError_tPvRmT1_T2_T3_mmT4_T5_P12ihipStream_tbEUlRKfE_EESS_SW_SX_mSY_S11_bEUlT_E_NS1_11comp_targetILNS1_3genE10ELNS1_11target_archE1201ELNS1_3gpuE5ELNS1_3repE0EEENS1_30default_config_static_selectorELNS0_4arch9wavefront6targetE0EEEvSV_
		.amdhsa_group_segment_fixed_size 0
		.amdhsa_private_segment_fixed_size 0
		.amdhsa_kernarg_size 56
		.amdhsa_user_sgpr_count 2
		.amdhsa_user_sgpr_dispatch_ptr 0
		.amdhsa_user_sgpr_queue_ptr 0
		.amdhsa_user_sgpr_kernarg_segment_ptr 1
		.amdhsa_user_sgpr_dispatch_id 0
		.amdhsa_user_sgpr_kernarg_preload_length 0
		.amdhsa_user_sgpr_kernarg_preload_offset 0
		.amdhsa_user_sgpr_private_segment_size 0
		.amdhsa_wavefront_size32 1
		.amdhsa_uses_dynamic_stack 0
		.amdhsa_enable_private_segment 0
		.amdhsa_system_sgpr_workgroup_id_x 1
		.amdhsa_system_sgpr_workgroup_id_y 0
		.amdhsa_system_sgpr_workgroup_id_z 0
		.amdhsa_system_sgpr_workgroup_info 0
		.amdhsa_system_vgpr_workitem_id 0
		.amdhsa_next_free_vgpr 1
		.amdhsa_next_free_sgpr 1
		.amdhsa_named_barrier_count 0
		.amdhsa_reserve_vcc 0
		.amdhsa_float_round_mode_32 0
		.amdhsa_float_round_mode_16_64 0
		.amdhsa_float_denorm_mode_32 3
		.amdhsa_float_denorm_mode_16_64 3
		.amdhsa_fp16_overflow 0
		.amdhsa_memory_ordered 1
		.amdhsa_forward_progress 1
		.amdhsa_inst_pref_size 0
		.amdhsa_round_robin_scheduling 0
		.amdhsa_exception_fp_ieee_invalid_op 0
		.amdhsa_exception_fp_denorm_src 0
		.amdhsa_exception_fp_ieee_div_zero 0
		.amdhsa_exception_fp_ieee_overflow 0
		.amdhsa_exception_fp_ieee_underflow 0
		.amdhsa_exception_fp_ieee_inexact 0
		.amdhsa_exception_int_div_zero 0
	.end_amdhsa_kernel
	.section	.text._ZN7rocprim17ROCPRIM_400000_NS6detail17trampoline_kernelINS0_14default_configENS1_29binary_search_config_selectorIfiEEZNS1_14transform_implILb0ES3_S5_N6thrust23THRUST_200600_302600_NS6detail15normal_iteratorINS8_7pointerIfNS8_11hip_rocprim3tagENS8_11use_defaultESE_EEEENSA_INSB_IiSD_SE_SE_EEEEZNS1_13binary_searchIS3_S5_NSA_INS8_10device_ptrIfEEEESG_SI_NS1_16binary_search_opENS9_16wrapped_functionINS8_7greaterIfEEbEEEE10hipError_tPvRmT1_T2_T3_mmT4_T5_P12ihipStream_tbEUlRKfE_EESS_SW_SX_mSY_S11_bEUlT_E_NS1_11comp_targetILNS1_3genE10ELNS1_11target_archE1201ELNS1_3gpuE5ELNS1_3repE0EEENS1_30default_config_static_selectorELNS0_4arch9wavefront6targetE0EEEvSV_,"axG",@progbits,_ZN7rocprim17ROCPRIM_400000_NS6detail17trampoline_kernelINS0_14default_configENS1_29binary_search_config_selectorIfiEEZNS1_14transform_implILb0ES3_S5_N6thrust23THRUST_200600_302600_NS6detail15normal_iteratorINS8_7pointerIfNS8_11hip_rocprim3tagENS8_11use_defaultESE_EEEENSA_INSB_IiSD_SE_SE_EEEEZNS1_13binary_searchIS3_S5_NSA_INS8_10device_ptrIfEEEESG_SI_NS1_16binary_search_opENS9_16wrapped_functionINS8_7greaterIfEEbEEEE10hipError_tPvRmT1_T2_T3_mmT4_T5_P12ihipStream_tbEUlRKfE_EESS_SW_SX_mSY_S11_bEUlT_E_NS1_11comp_targetILNS1_3genE10ELNS1_11target_archE1201ELNS1_3gpuE5ELNS1_3repE0EEENS1_30default_config_static_selectorELNS0_4arch9wavefront6targetE0EEEvSV_,comdat
.Lfunc_end172:
	.size	_ZN7rocprim17ROCPRIM_400000_NS6detail17trampoline_kernelINS0_14default_configENS1_29binary_search_config_selectorIfiEEZNS1_14transform_implILb0ES3_S5_N6thrust23THRUST_200600_302600_NS6detail15normal_iteratorINS8_7pointerIfNS8_11hip_rocprim3tagENS8_11use_defaultESE_EEEENSA_INSB_IiSD_SE_SE_EEEEZNS1_13binary_searchIS3_S5_NSA_INS8_10device_ptrIfEEEESG_SI_NS1_16binary_search_opENS9_16wrapped_functionINS8_7greaterIfEEbEEEE10hipError_tPvRmT1_T2_T3_mmT4_T5_P12ihipStream_tbEUlRKfE_EESS_SW_SX_mSY_S11_bEUlT_E_NS1_11comp_targetILNS1_3genE10ELNS1_11target_archE1201ELNS1_3gpuE5ELNS1_3repE0EEENS1_30default_config_static_selectorELNS0_4arch9wavefront6targetE0EEEvSV_, .Lfunc_end172-_ZN7rocprim17ROCPRIM_400000_NS6detail17trampoline_kernelINS0_14default_configENS1_29binary_search_config_selectorIfiEEZNS1_14transform_implILb0ES3_S5_N6thrust23THRUST_200600_302600_NS6detail15normal_iteratorINS8_7pointerIfNS8_11hip_rocprim3tagENS8_11use_defaultESE_EEEENSA_INSB_IiSD_SE_SE_EEEEZNS1_13binary_searchIS3_S5_NSA_INS8_10device_ptrIfEEEESG_SI_NS1_16binary_search_opENS9_16wrapped_functionINS8_7greaterIfEEbEEEE10hipError_tPvRmT1_T2_T3_mmT4_T5_P12ihipStream_tbEUlRKfE_EESS_SW_SX_mSY_S11_bEUlT_E_NS1_11comp_targetILNS1_3genE10ELNS1_11target_archE1201ELNS1_3gpuE5ELNS1_3repE0EEENS1_30default_config_static_selectorELNS0_4arch9wavefront6targetE0EEEvSV_
                                        ; -- End function
	.set _ZN7rocprim17ROCPRIM_400000_NS6detail17trampoline_kernelINS0_14default_configENS1_29binary_search_config_selectorIfiEEZNS1_14transform_implILb0ES3_S5_N6thrust23THRUST_200600_302600_NS6detail15normal_iteratorINS8_7pointerIfNS8_11hip_rocprim3tagENS8_11use_defaultESE_EEEENSA_INSB_IiSD_SE_SE_EEEEZNS1_13binary_searchIS3_S5_NSA_INS8_10device_ptrIfEEEESG_SI_NS1_16binary_search_opENS9_16wrapped_functionINS8_7greaterIfEEbEEEE10hipError_tPvRmT1_T2_T3_mmT4_T5_P12ihipStream_tbEUlRKfE_EESS_SW_SX_mSY_S11_bEUlT_E_NS1_11comp_targetILNS1_3genE10ELNS1_11target_archE1201ELNS1_3gpuE5ELNS1_3repE0EEENS1_30default_config_static_selectorELNS0_4arch9wavefront6targetE0EEEvSV_.num_vgpr, 0
	.set _ZN7rocprim17ROCPRIM_400000_NS6detail17trampoline_kernelINS0_14default_configENS1_29binary_search_config_selectorIfiEEZNS1_14transform_implILb0ES3_S5_N6thrust23THRUST_200600_302600_NS6detail15normal_iteratorINS8_7pointerIfNS8_11hip_rocprim3tagENS8_11use_defaultESE_EEEENSA_INSB_IiSD_SE_SE_EEEEZNS1_13binary_searchIS3_S5_NSA_INS8_10device_ptrIfEEEESG_SI_NS1_16binary_search_opENS9_16wrapped_functionINS8_7greaterIfEEbEEEE10hipError_tPvRmT1_T2_T3_mmT4_T5_P12ihipStream_tbEUlRKfE_EESS_SW_SX_mSY_S11_bEUlT_E_NS1_11comp_targetILNS1_3genE10ELNS1_11target_archE1201ELNS1_3gpuE5ELNS1_3repE0EEENS1_30default_config_static_selectorELNS0_4arch9wavefront6targetE0EEEvSV_.num_agpr, 0
	.set _ZN7rocprim17ROCPRIM_400000_NS6detail17trampoline_kernelINS0_14default_configENS1_29binary_search_config_selectorIfiEEZNS1_14transform_implILb0ES3_S5_N6thrust23THRUST_200600_302600_NS6detail15normal_iteratorINS8_7pointerIfNS8_11hip_rocprim3tagENS8_11use_defaultESE_EEEENSA_INSB_IiSD_SE_SE_EEEEZNS1_13binary_searchIS3_S5_NSA_INS8_10device_ptrIfEEEESG_SI_NS1_16binary_search_opENS9_16wrapped_functionINS8_7greaterIfEEbEEEE10hipError_tPvRmT1_T2_T3_mmT4_T5_P12ihipStream_tbEUlRKfE_EESS_SW_SX_mSY_S11_bEUlT_E_NS1_11comp_targetILNS1_3genE10ELNS1_11target_archE1201ELNS1_3gpuE5ELNS1_3repE0EEENS1_30default_config_static_selectorELNS0_4arch9wavefront6targetE0EEEvSV_.numbered_sgpr, 0
	.set _ZN7rocprim17ROCPRIM_400000_NS6detail17trampoline_kernelINS0_14default_configENS1_29binary_search_config_selectorIfiEEZNS1_14transform_implILb0ES3_S5_N6thrust23THRUST_200600_302600_NS6detail15normal_iteratorINS8_7pointerIfNS8_11hip_rocprim3tagENS8_11use_defaultESE_EEEENSA_INSB_IiSD_SE_SE_EEEEZNS1_13binary_searchIS3_S5_NSA_INS8_10device_ptrIfEEEESG_SI_NS1_16binary_search_opENS9_16wrapped_functionINS8_7greaterIfEEbEEEE10hipError_tPvRmT1_T2_T3_mmT4_T5_P12ihipStream_tbEUlRKfE_EESS_SW_SX_mSY_S11_bEUlT_E_NS1_11comp_targetILNS1_3genE10ELNS1_11target_archE1201ELNS1_3gpuE5ELNS1_3repE0EEENS1_30default_config_static_selectorELNS0_4arch9wavefront6targetE0EEEvSV_.num_named_barrier, 0
	.set _ZN7rocprim17ROCPRIM_400000_NS6detail17trampoline_kernelINS0_14default_configENS1_29binary_search_config_selectorIfiEEZNS1_14transform_implILb0ES3_S5_N6thrust23THRUST_200600_302600_NS6detail15normal_iteratorINS8_7pointerIfNS8_11hip_rocprim3tagENS8_11use_defaultESE_EEEENSA_INSB_IiSD_SE_SE_EEEEZNS1_13binary_searchIS3_S5_NSA_INS8_10device_ptrIfEEEESG_SI_NS1_16binary_search_opENS9_16wrapped_functionINS8_7greaterIfEEbEEEE10hipError_tPvRmT1_T2_T3_mmT4_T5_P12ihipStream_tbEUlRKfE_EESS_SW_SX_mSY_S11_bEUlT_E_NS1_11comp_targetILNS1_3genE10ELNS1_11target_archE1201ELNS1_3gpuE5ELNS1_3repE0EEENS1_30default_config_static_selectorELNS0_4arch9wavefront6targetE0EEEvSV_.private_seg_size, 0
	.set _ZN7rocprim17ROCPRIM_400000_NS6detail17trampoline_kernelINS0_14default_configENS1_29binary_search_config_selectorIfiEEZNS1_14transform_implILb0ES3_S5_N6thrust23THRUST_200600_302600_NS6detail15normal_iteratorINS8_7pointerIfNS8_11hip_rocprim3tagENS8_11use_defaultESE_EEEENSA_INSB_IiSD_SE_SE_EEEEZNS1_13binary_searchIS3_S5_NSA_INS8_10device_ptrIfEEEESG_SI_NS1_16binary_search_opENS9_16wrapped_functionINS8_7greaterIfEEbEEEE10hipError_tPvRmT1_T2_T3_mmT4_T5_P12ihipStream_tbEUlRKfE_EESS_SW_SX_mSY_S11_bEUlT_E_NS1_11comp_targetILNS1_3genE10ELNS1_11target_archE1201ELNS1_3gpuE5ELNS1_3repE0EEENS1_30default_config_static_selectorELNS0_4arch9wavefront6targetE0EEEvSV_.uses_vcc, 0
	.set _ZN7rocprim17ROCPRIM_400000_NS6detail17trampoline_kernelINS0_14default_configENS1_29binary_search_config_selectorIfiEEZNS1_14transform_implILb0ES3_S5_N6thrust23THRUST_200600_302600_NS6detail15normal_iteratorINS8_7pointerIfNS8_11hip_rocprim3tagENS8_11use_defaultESE_EEEENSA_INSB_IiSD_SE_SE_EEEEZNS1_13binary_searchIS3_S5_NSA_INS8_10device_ptrIfEEEESG_SI_NS1_16binary_search_opENS9_16wrapped_functionINS8_7greaterIfEEbEEEE10hipError_tPvRmT1_T2_T3_mmT4_T5_P12ihipStream_tbEUlRKfE_EESS_SW_SX_mSY_S11_bEUlT_E_NS1_11comp_targetILNS1_3genE10ELNS1_11target_archE1201ELNS1_3gpuE5ELNS1_3repE0EEENS1_30default_config_static_selectorELNS0_4arch9wavefront6targetE0EEEvSV_.uses_flat_scratch, 0
	.set _ZN7rocprim17ROCPRIM_400000_NS6detail17trampoline_kernelINS0_14default_configENS1_29binary_search_config_selectorIfiEEZNS1_14transform_implILb0ES3_S5_N6thrust23THRUST_200600_302600_NS6detail15normal_iteratorINS8_7pointerIfNS8_11hip_rocprim3tagENS8_11use_defaultESE_EEEENSA_INSB_IiSD_SE_SE_EEEEZNS1_13binary_searchIS3_S5_NSA_INS8_10device_ptrIfEEEESG_SI_NS1_16binary_search_opENS9_16wrapped_functionINS8_7greaterIfEEbEEEE10hipError_tPvRmT1_T2_T3_mmT4_T5_P12ihipStream_tbEUlRKfE_EESS_SW_SX_mSY_S11_bEUlT_E_NS1_11comp_targetILNS1_3genE10ELNS1_11target_archE1201ELNS1_3gpuE5ELNS1_3repE0EEENS1_30default_config_static_selectorELNS0_4arch9wavefront6targetE0EEEvSV_.has_dyn_sized_stack, 0
	.set _ZN7rocprim17ROCPRIM_400000_NS6detail17trampoline_kernelINS0_14default_configENS1_29binary_search_config_selectorIfiEEZNS1_14transform_implILb0ES3_S5_N6thrust23THRUST_200600_302600_NS6detail15normal_iteratorINS8_7pointerIfNS8_11hip_rocprim3tagENS8_11use_defaultESE_EEEENSA_INSB_IiSD_SE_SE_EEEEZNS1_13binary_searchIS3_S5_NSA_INS8_10device_ptrIfEEEESG_SI_NS1_16binary_search_opENS9_16wrapped_functionINS8_7greaterIfEEbEEEE10hipError_tPvRmT1_T2_T3_mmT4_T5_P12ihipStream_tbEUlRKfE_EESS_SW_SX_mSY_S11_bEUlT_E_NS1_11comp_targetILNS1_3genE10ELNS1_11target_archE1201ELNS1_3gpuE5ELNS1_3repE0EEENS1_30default_config_static_selectorELNS0_4arch9wavefront6targetE0EEEvSV_.has_recursion, 0
	.set _ZN7rocprim17ROCPRIM_400000_NS6detail17trampoline_kernelINS0_14default_configENS1_29binary_search_config_selectorIfiEEZNS1_14transform_implILb0ES3_S5_N6thrust23THRUST_200600_302600_NS6detail15normal_iteratorINS8_7pointerIfNS8_11hip_rocprim3tagENS8_11use_defaultESE_EEEENSA_INSB_IiSD_SE_SE_EEEEZNS1_13binary_searchIS3_S5_NSA_INS8_10device_ptrIfEEEESG_SI_NS1_16binary_search_opENS9_16wrapped_functionINS8_7greaterIfEEbEEEE10hipError_tPvRmT1_T2_T3_mmT4_T5_P12ihipStream_tbEUlRKfE_EESS_SW_SX_mSY_S11_bEUlT_E_NS1_11comp_targetILNS1_3genE10ELNS1_11target_archE1201ELNS1_3gpuE5ELNS1_3repE0EEENS1_30default_config_static_selectorELNS0_4arch9wavefront6targetE0EEEvSV_.has_indirect_call, 0
	.section	.AMDGPU.csdata,"",@progbits
; Kernel info:
; codeLenInByte = 0
; TotalNumSgprs: 0
; NumVgprs: 0
; ScratchSize: 0
; MemoryBound: 0
; FloatMode: 240
; IeeeMode: 1
; LDSByteSize: 0 bytes/workgroup (compile time only)
; SGPRBlocks: 0
; VGPRBlocks: 0
; NumSGPRsForWavesPerEU: 1
; NumVGPRsForWavesPerEU: 1
; NamedBarCnt: 0
; Occupancy: 16
; WaveLimiterHint : 0
; COMPUTE_PGM_RSRC2:SCRATCH_EN: 0
; COMPUTE_PGM_RSRC2:USER_SGPR: 2
; COMPUTE_PGM_RSRC2:TRAP_HANDLER: 0
; COMPUTE_PGM_RSRC2:TGID_X_EN: 1
; COMPUTE_PGM_RSRC2:TGID_Y_EN: 0
; COMPUTE_PGM_RSRC2:TGID_Z_EN: 0
; COMPUTE_PGM_RSRC2:TIDIG_COMP_CNT: 0
	.section	.text._ZN7rocprim17ROCPRIM_400000_NS6detail17trampoline_kernelINS0_14default_configENS1_29binary_search_config_selectorIfiEEZNS1_14transform_implILb0ES3_S5_N6thrust23THRUST_200600_302600_NS6detail15normal_iteratorINS8_7pointerIfNS8_11hip_rocprim3tagENS8_11use_defaultESE_EEEENSA_INSB_IiSD_SE_SE_EEEEZNS1_13binary_searchIS3_S5_NSA_INS8_10device_ptrIfEEEESG_SI_NS1_16binary_search_opENS9_16wrapped_functionINS8_7greaterIfEEbEEEE10hipError_tPvRmT1_T2_T3_mmT4_T5_P12ihipStream_tbEUlRKfE_EESS_SW_SX_mSY_S11_bEUlT_E_NS1_11comp_targetILNS1_3genE10ELNS1_11target_archE1200ELNS1_3gpuE4ELNS1_3repE0EEENS1_30default_config_static_selectorELNS0_4arch9wavefront6targetE0EEEvSV_,"axG",@progbits,_ZN7rocprim17ROCPRIM_400000_NS6detail17trampoline_kernelINS0_14default_configENS1_29binary_search_config_selectorIfiEEZNS1_14transform_implILb0ES3_S5_N6thrust23THRUST_200600_302600_NS6detail15normal_iteratorINS8_7pointerIfNS8_11hip_rocprim3tagENS8_11use_defaultESE_EEEENSA_INSB_IiSD_SE_SE_EEEEZNS1_13binary_searchIS3_S5_NSA_INS8_10device_ptrIfEEEESG_SI_NS1_16binary_search_opENS9_16wrapped_functionINS8_7greaterIfEEbEEEE10hipError_tPvRmT1_T2_T3_mmT4_T5_P12ihipStream_tbEUlRKfE_EESS_SW_SX_mSY_S11_bEUlT_E_NS1_11comp_targetILNS1_3genE10ELNS1_11target_archE1200ELNS1_3gpuE4ELNS1_3repE0EEENS1_30default_config_static_selectorELNS0_4arch9wavefront6targetE0EEEvSV_,comdat
	.protected	_ZN7rocprim17ROCPRIM_400000_NS6detail17trampoline_kernelINS0_14default_configENS1_29binary_search_config_selectorIfiEEZNS1_14transform_implILb0ES3_S5_N6thrust23THRUST_200600_302600_NS6detail15normal_iteratorINS8_7pointerIfNS8_11hip_rocprim3tagENS8_11use_defaultESE_EEEENSA_INSB_IiSD_SE_SE_EEEEZNS1_13binary_searchIS3_S5_NSA_INS8_10device_ptrIfEEEESG_SI_NS1_16binary_search_opENS9_16wrapped_functionINS8_7greaterIfEEbEEEE10hipError_tPvRmT1_T2_T3_mmT4_T5_P12ihipStream_tbEUlRKfE_EESS_SW_SX_mSY_S11_bEUlT_E_NS1_11comp_targetILNS1_3genE10ELNS1_11target_archE1200ELNS1_3gpuE4ELNS1_3repE0EEENS1_30default_config_static_selectorELNS0_4arch9wavefront6targetE0EEEvSV_ ; -- Begin function _ZN7rocprim17ROCPRIM_400000_NS6detail17trampoline_kernelINS0_14default_configENS1_29binary_search_config_selectorIfiEEZNS1_14transform_implILb0ES3_S5_N6thrust23THRUST_200600_302600_NS6detail15normal_iteratorINS8_7pointerIfNS8_11hip_rocprim3tagENS8_11use_defaultESE_EEEENSA_INSB_IiSD_SE_SE_EEEEZNS1_13binary_searchIS3_S5_NSA_INS8_10device_ptrIfEEEESG_SI_NS1_16binary_search_opENS9_16wrapped_functionINS8_7greaterIfEEbEEEE10hipError_tPvRmT1_T2_T3_mmT4_T5_P12ihipStream_tbEUlRKfE_EESS_SW_SX_mSY_S11_bEUlT_E_NS1_11comp_targetILNS1_3genE10ELNS1_11target_archE1200ELNS1_3gpuE4ELNS1_3repE0EEENS1_30default_config_static_selectorELNS0_4arch9wavefront6targetE0EEEvSV_
	.globl	_ZN7rocprim17ROCPRIM_400000_NS6detail17trampoline_kernelINS0_14default_configENS1_29binary_search_config_selectorIfiEEZNS1_14transform_implILb0ES3_S5_N6thrust23THRUST_200600_302600_NS6detail15normal_iteratorINS8_7pointerIfNS8_11hip_rocprim3tagENS8_11use_defaultESE_EEEENSA_INSB_IiSD_SE_SE_EEEEZNS1_13binary_searchIS3_S5_NSA_INS8_10device_ptrIfEEEESG_SI_NS1_16binary_search_opENS9_16wrapped_functionINS8_7greaterIfEEbEEEE10hipError_tPvRmT1_T2_T3_mmT4_T5_P12ihipStream_tbEUlRKfE_EESS_SW_SX_mSY_S11_bEUlT_E_NS1_11comp_targetILNS1_3genE10ELNS1_11target_archE1200ELNS1_3gpuE4ELNS1_3repE0EEENS1_30default_config_static_selectorELNS0_4arch9wavefront6targetE0EEEvSV_
	.p2align	8
	.type	_ZN7rocprim17ROCPRIM_400000_NS6detail17trampoline_kernelINS0_14default_configENS1_29binary_search_config_selectorIfiEEZNS1_14transform_implILb0ES3_S5_N6thrust23THRUST_200600_302600_NS6detail15normal_iteratorINS8_7pointerIfNS8_11hip_rocprim3tagENS8_11use_defaultESE_EEEENSA_INSB_IiSD_SE_SE_EEEEZNS1_13binary_searchIS3_S5_NSA_INS8_10device_ptrIfEEEESG_SI_NS1_16binary_search_opENS9_16wrapped_functionINS8_7greaterIfEEbEEEE10hipError_tPvRmT1_T2_T3_mmT4_T5_P12ihipStream_tbEUlRKfE_EESS_SW_SX_mSY_S11_bEUlT_E_NS1_11comp_targetILNS1_3genE10ELNS1_11target_archE1200ELNS1_3gpuE4ELNS1_3repE0EEENS1_30default_config_static_selectorELNS0_4arch9wavefront6targetE0EEEvSV_,@function
_ZN7rocprim17ROCPRIM_400000_NS6detail17trampoline_kernelINS0_14default_configENS1_29binary_search_config_selectorIfiEEZNS1_14transform_implILb0ES3_S5_N6thrust23THRUST_200600_302600_NS6detail15normal_iteratorINS8_7pointerIfNS8_11hip_rocprim3tagENS8_11use_defaultESE_EEEENSA_INSB_IiSD_SE_SE_EEEEZNS1_13binary_searchIS3_S5_NSA_INS8_10device_ptrIfEEEESG_SI_NS1_16binary_search_opENS9_16wrapped_functionINS8_7greaterIfEEbEEEE10hipError_tPvRmT1_T2_T3_mmT4_T5_P12ihipStream_tbEUlRKfE_EESS_SW_SX_mSY_S11_bEUlT_E_NS1_11comp_targetILNS1_3genE10ELNS1_11target_archE1200ELNS1_3gpuE4ELNS1_3repE0EEENS1_30default_config_static_selectorELNS0_4arch9wavefront6targetE0EEEvSV_: ; @_ZN7rocprim17ROCPRIM_400000_NS6detail17trampoline_kernelINS0_14default_configENS1_29binary_search_config_selectorIfiEEZNS1_14transform_implILb0ES3_S5_N6thrust23THRUST_200600_302600_NS6detail15normal_iteratorINS8_7pointerIfNS8_11hip_rocprim3tagENS8_11use_defaultESE_EEEENSA_INSB_IiSD_SE_SE_EEEEZNS1_13binary_searchIS3_S5_NSA_INS8_10device_ptrIfEEEESG_SI_NS1_16binary_search_opENS9_16wrapped_functionINS8_7greaterIfEEbEEEE10hipError_tPvRmT1_T2_T3_mmT4_T5_P12ihipStream_tbEUlRKfE_EESS_SW_SX_mSY_S11_bEUlT_E_NS1_11comp_targetILNS1_3genE10ELNS1_11target_archE1200ELNS1_3gpuE4ELNS1_3repE0EEENS1_30default_config_static_selectorELNS0_4arch9wavefront6targetE0EEEvSV_
; %bb.0:
	.section	.rodata,"a",@progbits
	.p2align	6, 0x0
	.amdhsa_kernel _ZN7rocprim17ROCPRIM_400000_NS6detail17trampoline_kernelINS0_14default_configENS1_29binary_search_config_selectorIfiEEZNS1_14transform_implILb0ES3_S5_N6thrust23THRUST_200600_302600_NS6detail15normal_iteratorINS8_7pointerIfNS8_11hip_rocprim3tagENS8_11use_defaultESE_EEEENSA_INSB_IiSD_SE_SE_EEEEZNS1_13binary_searchIS3_S5_NSA_INS8_10device_ptrIfEEEESG_SI_NS1_16binary_search_opENS9_16wrapped_functionINS8_7greaterIfEEbEEEE10hipError_tPvRmT1_T2_T3_mmT4_T5_P12ihipStream_tbEUlRKfE_EESS_SW_SX_mSY_S11_bEUlT_E_NS1_11comp_targetILNS1_3genE10ELNS1_11target_archE1200ELNS1_3gpuE4ELNS1_3repE0EEENS1_30default_config_static_selectorELNS0_4arch9wavefront6targetE0EEEvSV_
		.amdhsa_group_segment_fixed_size 0
		.amdhsa_private_segment_fixed_size 0
		.amdhsa_kernarg_size 56
		.amdhsa_user_sgpr_count 2
		.amdhsa_user_sgpr_dispatch_ptr 0
		.amdhsa_user_sgpr_queue_ptr 0
		.amdhsa_user_sgpr_kernarg_segment_ptr 1
		.amdhsa_user_sgpr_dispatch_id 0
		.amdhsa_user_sgpr_kernarg_preload_length 0
		.amdhsa_user_sgpr_kernarg_preload_offset 0
		.amdhsa_user_sgpr_private_segment_size 0
		.amdhsa_wavefront_size32 1
		.amdhsa_uses_dynamic_stack 0
		.amdhsa_enable_private_segment 0
		.amdhsa_system_sgpr_workgroup_id_x 1
		.amdhsa_system_sgpr_workgroup_id_y 0
		.amdhsa_system_sgpr_workgroup_id_z 0
		.amdhsa_system_sgpr_workgroup_info 0
		.amdhsa_system_vgpr_workitem_id 0
		.amdhsa_next_free_vgpr 1
		.amdhsa_next_free_sgpr 1
		.amdhsa_named_barrier_count 0
		.amdhsa_reserve_vcc 0
		.amdhsa_float_round_mode_32 0
		.amdhsa_float_round_mode_16_64 0
		.amdhsa_float_denorm_mode_32 3
		.amdhsa_float_denorm_mode_16_64 3
		.amdhsa_fp16_overflow 0
		.amdhsa_memory_ordered 1
		.amdhsa_forward_progress 1
		.amdhsa_inst_pref_size 0
		.amdhsa_round_robin_scheduling 0
		.amdhsa_exception_fp_ieee_invalid_op 0
		.amdhsa_exception_fp_denorm_src 0
		.amdhsa_exception_fp_ieee_div_zero 0
		.amdhsa_exception_fp_ieee_overflow 0
		.amdhsa_exception_fp_ieee_underflow 0
		.amdhsa_exception_fp_ieee_inexact 0
		.amdhsa_exception_int_div_zero 0
	.end_amdhsa_kernel
	.section	.text._ZN7rocprim17ROCPRIM_400000_NS6detail17trampoline_kernelINS0_14default_configENS1_29binary_search_config_selectorIfiEEZNS1_14transform_implILb0ES3_S5_N6thrust23THRUST_200600_302600_NS6detail15normal_iteratorINS8_7pointerIfNS8_11hip_rocprim3tagENS8_11use_defaultESE_EEEENSA_INSB_IiSD_SE_SE_EEEEZNS1_13binary_searchIS3_S5_NSA_INS8_10device_ptrIfEEEESG_SI_NS1_16binary_search_opENS9_16wrapped_functionINS8_7greaterIfEEbEEEE10hipError_tPvRmT1_T2_T3_mmT4_T5_P12ihipStream_tbEUlRKfE_EESS_SW_SX_mSY_S11_bEUlT_E_NS1_11comp_targetILNS1_3genE10ELNS1_11target_archE1200ELNS1_3gpuE4ELNS1_3repE0EEENS1_30default_config_static_selectorELNS0_4arch9wavefront6targetE0EEEvSV_,"axG",@progbits,_ZN7rocprim17ROCPRIM_400000_NS6detail17trampoline_kernelINS0_14default_configENS1_29binary_search_config_selectorIfiEEZNS1_14transform_implILb0ES3_S5_N6thrust23THRUST_200600_302600_NS6detail15normal_iteratorINS8_7pointerIfNS8_11hip_rocprim3tagENS8_11use_defaultESE_EEEENSA_INSB_IiSD_SE_SE_EEEEZNS1_13binary_searchIS3_S5_NSA_INS8_10device_ptrIfEEEESG_SI_NS1_16binary_search_opENS9_16wrapped_functionINS8_7greaterIfEEbEEEE10hipError_tPvRmT1_T2_T3_mmT4_T5_P12ihipStream_tbEUlRKfE_EESS_SW_SX_mSY_S11_bEUlT_E_NS1_11comp_targetILNS1_3genE10ELNS1_11target_archE1200ELNS1_3gpuE4ELNS1_3repE0EEENS1_30default_config_static_selectorELNS0_4arch9wavefront6targetE0EEEvSV_,comdat
.Lfunc_end173:
	.size	_ZN7rocprim17ROCPRIM_400000_NS6detail17trampoline_kernelINS0_14default_configENS1_29binary_search_config_selectorIfiEEZNS1_14transform_implILb0ES3_S5_N6thrust23THRUST_200600_302600_NS6detail15normal_iteratorINS8_7pointerIfNS8_11hip_rocprim3tagENS8_11use_defaultESE_EEEENSA_INSB_IiSD_SE_SE_EEEEZNS1_13binary_searchIS3_S5_NSA_INS8_10device_ptrIfEEEESG_SI_NS1_16binary_search_opENS9_16wrapped_functionINS8_7greaterIfEEbEEEE10hipError_tPvRmT1_T2_T3_mmT4_T5_P12ihipStream_tbEUlRKfE_EESS_SW_SX_mSY_S11_bEUlT_E_NS1_11comp_targetILNS1_3genE10ELNS1_11target_archE1200ELNS1_3gpuE4ELNS1_3repE0EEENS1_30default_config_static_selectorELNS0_4arch9wavefront6targetE0EEEvSV_, .Lfunc_end173-_ZN7rocprim17ROCPRIM_400000_NS6detail17trampoline_kernelINS0_14default_configENS1_29binary_search_config_selectorIfiEEZNS1_14transform_implILb0ES3_S5_N6thrust23THRUST_200600_302600_NS6detail15normal_iteratorINS8_7pointerIfNS8_11hip_rocprim3tagENS8_11use_defaultESE_EEEENSA_INSB_IiSD_SE_SE_EEEEZNS1_13binary_searchIS3_S5_NSA_INS8_10device_ptrIfEEEESG_SI_NS1_16binary_search_opENS9_16wrapped_functionINS8_7greaterIfEEbEEEE10hipError_tPvRmT1_T2_T3_mmT4_T5_P12ihipStream_tbEUlRKfE_EESS_SW_SX_mSY_S11_bEUlT_E_NS1_11comp_targetILNS1_3genE10ELNS1_11target_archE1200ELNS1_3gpuE4ELNS1_3repE0EEENS1_30default_config_static_selectorELNS0_4arch9wavefront6targetE0EEEvSV_
                                        ; -- End function
	.set _ZN7rocprim17ROCPRIM_400000_NS6detail17trampoline_kernelINS0_14default_configENS1_29binary_search_config_selectorIfiEEZNS1_14transform_implILb0ES3_S5_N6thrust23THRUST_200600_302600_NS6detail15normal_iteratorINS8_7pointerIfNS8_11hip_rocprim3tagENS8_11use_defaultESE_EEEENSA_INSB_IiSD_SE_SE_EEEEZNS1_13binary_searchIS3_S5_NSA_INS8_10device_ptrIfEEEESG_SI_NS1_16binary_search_opENS9_16wrapped_functionINS8_7greaterIfEEbEEEE10hipError_tPvRmT1_T2_T3_mmT4_T5_P12ihipStream_tbEUlRKfE_EESS_SW_SX_mSY_S11_bEUlT_E_NS1_11comp_targetILNS1_3genE10ELNS1_11target_archE1200ELNS1_3gpuE4ELNS1_3repE0EEENS1_30default_config_static_selectorELNS0_4arch9wavefront6targetE0EEEvSV_.num_vgpr, 0
	.set _ZN7rocprim17ROCPRIM_400000_NS6detail17trampoline_kernelINS0_14default_configENS1_29binary_search_config_selectorIfiEEZNS1_14transform_implILb0ES3_S5_N6thrust23THRUST_200600_302600_NS6detail15normal_iteratorINS8_7pointerIfNS8_11hip_rocprim3tagENS8_11use_defaultESE_EEEENSA_INSB_IiSD_SE_SE_EEEEZNS1_13binary_searchIS3_S5_NSA_INS8_10device_ptrIfEEEESG_SI_NS1_16binary_search_opENS9_16wrapped_functionINS8_7greaterIfEEbEEEE10hipError_tPvRmT1_T2_T3_mmT4_T5_P12ihipStream_tbEUlRKfE_EESS_SW_SX_mSY_S11_bEUlT_E_NS1_11comp_targetILNS1_3genE10ELNS1_11target_archE1200ELNS1_3gpuE4ELNS1_3repE0EEENS1_30default_config_static_selectorELNS0_4arch9wavefront6targetE0EEEvSV_.num_agpr, 0
	.set _ZN7rocprim17ROCPRIM_400000_NS6detail17trampoline_kernelINS0_14default_configENS1_29binary_search_config_selectorIfiEEZNS1_14transform_implILb0ES3_S5_N6thrust23THRUST_200600_302600_NS6detail15normal_iteratorINS8_7pointerIfNS8_11hip_rocprim3tagENS8_11use_defaultESE_EEEENSA_INSB_IiSD_SE_SE_EEEEZNS1_13binary_searchIS3_S5_NSA_INS8_10device_ptrIfEEEESG_SI_NS1_16binary_search_opENS9_16wrapped_functionINS8_7greaterIfEEbEEEE10hipError_tPvRmT1_T2_T3_mmT4_T5_P12ihipStream_tbEUlRKfE_EESS_SW_SX_mSY_S11_bEUlT_E_NS1_11comp_targetILNS1_3genE10ELNS1_11target_archE1200ELNS1_3gpuE4ELNS1_3repE0EEENS1_30default_config_static_selectorELNS0_4arch9wavefront6targetE0EEEvSV_.numbered_sgpr, 0
	.set _ZN7rocprim17ROCPRIM_400000_NS6detail17trampoline_kernelINS0_14default_configENS1_29binary_search_config_selectorIfiEEZNS1_14transform_implILb0ES3_S5_N6thrust23THRUST_200600_302600_NS6detail15normal_iteratorINS8_7pointerIfNS8_11hip_rocprim3tagENS8_11use_defaultESE_EEEENSA_INSB_IiSD_SE_SE_EEEEZNS1_13binary_searchIS3_S5_NSA_INS8_10device_ptrIfEEEESG_SI_NS1_16binary_search_opENS9_16wrapped_functionINS8_7greaterIfEEbEEEE10hipError_tPvRmT1_T2_T3_mmT4_T5_P12ihipStream_tbEUlRKfE_EESS_SW_SX_mSY_S11_bEUlT_E_NS1_11comp_targetILNS1_3genE10ELNS1_11target_archE1200ELNS1_3gpuE4ELNS1_3repE0EEENS1_30default_config_static_selectorELNS0_4arch9wavefront6targetE0EEEvSV_.num_named_barrier, 0
	.set _ZN7rocprim17ROCPRIM_400000_NS6detail17trampoline_kernelINS0_14default_configENS1_29binary_search_config_selectorIfiEEZNS1_14transform_implILb0ES3_S5_N6thrust23THRUST_200600_302600_NS6detail15normal_iteratorINS8_7pointerIfNS8_11hip_rocprim3tagENS8_11use_defaultESE_EEEENSA_INSB_IiSD_SE_SE_EEEEZNS1_13binary_searchIS3_S5_NSA_INS8_10device_ptrIfEEEESG_SI_NS1_16binary_search_opENS9_16wrapped_functionINS8_7greaterIfEEbEEEE10hipError_tPvRmT1_T2_T3_mmT4_T5_P12ihipStream_tbEUlRKfE_EESS_SW_SX_mSY_S11_bEUlT_E_NS1_11comp_targetILNS1_3genE10ELNS1_11target_archE1200ELNS1_3gpuE4ELNS1_3repE0EEENS1_30default_config_static_selectorELNS0_4arch9wavefront6targetE0EEEvSV_.private_seg_size, 0
	.set _ZN7rocprim17ROCPRIM_400000_NS6detail17trampoline_kernelINS0_14default_configENS1_29binary_search_config_selectorIfiEEZNS1_14transform_implILb0ES3_S5_N6thrust23THRUST_200600_302600_NS6detail15normal_iteratorINS8_7pointerIfNS8_11hip_rocprim3tagENS8_11use_defaultESE_EEEENSA_INSB_IiSD_SE_SE_EEEEZNS1_13binary_searchIS3_S5_NSA_INS8_10device_ptrIfEEEESG_SI_NS1_16binary_search_opENS9_16wrapped_functionINS8_7greaterIfEEbEEEE10hipError_tPvRmT1_T2_T3_mmT4_T5_P12ihipStream_tbEUlRKfE_EESS_SW_SX_mSY_S11_bEUlT_E_NS1_11comp_targetILNS1_3genE10ELNS1_11target_archE1200ELNS1_3gpuE4ELNS1_3repE0EEENS1_30default_config_static_selectorELNS0_4arch9wavefront6targetE0EEEvSV_.uses_vcc, 0
	.set _ZN7rocprim17ROCPRIM_400000_NS6detail17trampoline_kernelINS0_14default_configENS1_29binary_search_config_selectorIfiEEZNS1_14transform_implILb0ES3_S5_N6thrust23THRUST_200600_302600_NS6detail15normal_iteratorINS8_7pointerIfNS8_11hip_rocprim3tagENS8_11use_defaultESE_EEEENSA_INSB_IiSD_SE_SE_EEEEZNS1_13binary_searchIS3_S5_NSA_INS8_10device_ptrIfEEEESG_SI_NS1_16binary_search_opENS9_16wrapped_functionINS8_7greaterIfEEbEEEE10hipError_tPvRmT1_T2_T3_mmT4_T5_P12ihipStream_tbEUlRKfE_EESS_SW_SX_mSY_S11_bEUlT_E_NS1_11comp_targetILNS1_3genE10ELNS1_11target_archE1200ELNS1_3gpuE4ELNS1_3repE0EEENS1_30default_config_static_selectorELNS0_4arch9wavefront6targetE0EEEvSV_.uses_flat_scratch, 0
	.set _ZN7rocprim17ROCPRIM_400000_NS6detail17trampoline_kernelINS0_14default_configENS1_29binary_search_config_selectorIfiEEZNS1_14transform_implILb0ES3_S5_N6thrust23THRUST_200600_302600_NS6detail15normal_iteratorINS8_7pointerIfNS8_11hip_rocprim3tagENS8_11use_defaultESE_EEEENSA_INSB_IiSD_SE_SE_EEEEZNS1_13binary_searchIS3_S5_NSA_INS8_10device_ptrIfEEEESG_SI_NS1_16binary_search_opENS9_16wrapped_functionINS8_7greaterIfEEbEEEE10hipError_tPvRmT1_T2_T3_mmT4_T5_P12ihipStream_tbEUlRKfE_EESS_SW_SX_mSY_S11_bEUlT_E_NS1_11comp_targetILNS1_3genE10ELNS1_11target_archE1200ELNS1_3gpuE4ELNS1_3repE0EEENS1_30default_config_static_selectorELNS0_4arch9wavefront6targetE0EEEvSV_.has_dyn_sized_stack, 0
	.set _ZN7rocprim17ROCPRIM_400000_NS6detail17trampoline_kernelINS0_14default_configENS1_29binary_search_config_selectorIfiEEZNS1_14transform_implILb0ES3_S5_N6thrust23THRUST_200600_302600_NS6detail15normal_iteratorINS8_7pointerIfNS8_11hip_rocprim3tagENS8_11use_defaultESE_EEEENSA_INSB_IiSD_SE_SE_EEEEZNS1_13binary_searchIS3_S5_NSA_INS8_10device_ptrIfEEEESG_SI_NS1_16binary_search_opENS9_16wrapped_functionINS8_7greaterIfEEbEEEE10hipError_tPvRmT1_T2_T3_mmT4_T5_P12ihipStream_tbEUlRKfE_EESS_SW_SX_mSY_S11_bEUlT_E_NS1_11comp_targetILNS1_3genE10ELNS1_11target_archE1200ELNS1_3gpuE4ELNS1_3repE0EEENS1_30default_config_static_selectorELNS0_4arch9wavefront6targetE0EEEvSV_.has_recursion, 0
	.set _ZN7rocprim17ROCPRIM_400000_NS6detail17trampoline_kernelINS0_14default_configENS1_29binary_search_config_selectorIfiEEZNS1_14transform_implILb0ES3_S5_N6thrust23THRUST_200600_302600_NS6detail15normal_iteratorINS8_7pointerIfNS8_11hip_rocprim3tagENS8_11use_defaultESE_EEEENSA_INSB_IiSD_SE_SE_EEEEZNS1_13binary_searchIS3_S5_NSA_INS8_10device_ptrIfEEEESG_SI_NS1_16binary_search_opENS9_16wrapped_functionINS8_7greaterIfEEbEEEE10hipError_tPvRmT1_T2_T3_mmT4_T5_P12ihipStream_tbEUlRKfE_EESS_SW_SX_mSY_S11_bEUlT_E_NS1_11comp_targetILNS1_3genE10ELNS1_11target_archE1200ELNS1_3gpuE4ELNS1_3repE0EEENS1_30default_config_static_selectorELNS0_4arch9wavefront6targetE0EEEvSV_.has_indirect_call, 0
	.section	.AMDGPU.csdata,"",@progbits
; Kernel info:
; codeLenInByte = 0
; TotalNumSgprs: 0
; NumVgprs: 0
; ScratchSize: 0
; MemoryBound: 0
; FloatMode: 240
; IeeeMode: 1
; LDSByteSize: 0 bytes/workgroup (compile time only)
; SGPRBlocks: 0
; VGPRBlocks: 0
; NumSGPRsForWavesPerEU: 1
; NumVGPRsForWavesPerEU: 1
; NamedBarCnt: 0
; Occupancy: 16
; WaveLimiterHint : 0
; COMPUTE_PGM_RSRC2:SCRATCH_EN: 0
; COMPUTE_PGM_RSRC2:USER_SGPR: 2
; COMPUTE_PGM_RSRC2:TRAP_HANDLER: 0
; COMPUTE_PGM_RSRC2:TGID_X_EN: 1
; COMPUTE_PGM_RSRC2:TGID_Y_EN: 0
; COMPUTE_PGM_RSRC2:TGID_Z_EN: 0
; COMPUTE_PGM_RSRC2:TIDIG_COMP_CNT: 0
	.section	.text._ZN7rocprim17ROCPRIM_400000_NS6detail17trampoline_kernelINS0_14default_configENS1_29binary_search_config_selectorIfiEEZNS1_14transform_implILb0ES3_S5_N6thrust23THRUST_200600_302600_NS6detail15normal_iteratorINS8_7pointerIfNS8_11hip_rocprim3tagENS8_11use_defaultESE_EEEENSA_INSB_IiSD_SE_SE_EEEEZNS1_13binary_searchIS3_S5_NSA_INS8_10device_ptrIfEEEESG_SI_NS1_16binary_search_opENS9_16wrapped_functionINS8_7greaterIfEEbEEEE10hipError_tPvRmT1_T2_T3_mmT4_T5_P12ihipStream_tbEUlRKfE_EESS_SW_SX_mSY_S11_bEUlT_E_NS1_11comp_targetILNS1_3genE9ELNS1_11target_archE1100ELNS1_3gpuE3ELNS1_3repE0EEENS1_30default_config_static_selectorELNS0_4arch9wavefront6targetE0EEEvSV_,"axG",@progbits,_ZN7rocprim17ROCPRIM_400000_NS6detail17trampoline_kernelINS0_14default_configENS1_29binary_search_config_selectorIfiEEZNS1_14transform_implILb0ES3_S5_N6thrust23THRUST_200600_302600_NS6detail15normal_iteratorINS8_7pointerIfNS8_11hip_rocprim3tagENS8_11use_defaultESE_EEEENSA_INSB_IiSD_SE_SE_EEEEZNS1_13binary_searchIS3_S5_NSA_INS8_10device_ptrIfEEEESG_SI_NS1_16binary_search_opENS9_16wrapped_functionINS8_7greaterIfEEbEEEE10hipError_tPvRmT1_T2_T3_mmT4_T5_P12ihipStream_tbEUlRKfE_EESS_SW_SX_mSY_S11_bEUlT_E_NS1_11comp_targetILNS1_3genE9ELNS1_11target_archE1100ELNS1_3gpuE3ELNS1_3repE0EEENS1_30default_config_static_selectorELNS0_4arch9wavefront6targetE0EEEvSV_,comdat
	.protected	_ZN7rocprim17ROCPRIM_400000_NS6detail17trampoline_kernelINS0_14default_configENS1_29binary_search_config_selectorIfiEEZNS1_14transform_implILb0ES3_S5_N6thrust23THRUST_200600_302600_NS6detail15normal_iteratorINS8_7pointerIfNS8_11hip_rocprim3tagENS8_11use_defaultESE_EEEENSA_INSB_IiSD_SE_SE_EEEEZNS1_13binary_searchIS3_S5_NSA_INS8_10device_ptrIfEEEESG_SI_NS1_16binary_search_opENS9_16wrapped_functionINS8_7greaterIfEEbEEEE10hipError_tPvRmT1_T2_T3_mmT4_T5_P12ihipStream_tbEUlRKfE_EESS_SW_SX_mSY_S11_bEUlT_E_NS1_11comp_targetILNS1_3genE9ELNS1_11target_archE1100ELNS1_3gpuE3ELNS1_3repE0EEENS1_30default_config_static_selectorELNS0_4arch9wavefront6targetE0EEEvSV_ ; -- Begin function _ZN7rocprim17ROCPRIM_400000_NS6detail17trampoline_kernelINS0_14default_configENS1_29binary_search_config_selectorIfiEEZNS1_14transform_implILb0ES3_S5_N6thrust23THRUST_200600_302600_NS6detail15normal_iteratorINS8_7pointerIfNS8_11hip_rocprim3tagENS8_11use_defaultESE_EEEENSA_INSB_IiSD_SE_SE_EEEEZNS1_13binary_searchIS3_S5_NSA_INS8_10device_ptrIfEEEESG_SI_NS1_16binary_search_opENS9_16wrapped_functionINS8_7greaterIfEEbEEEE10hipError_tPvRmT1_T2_T3_mmT4_T5_P12ihipStream_tbEUlRKfE_EESS_SW_SX_mSY_S11_bEUlT_E_NS1_11comp_targetILNS1_3genE9ELNS1_11target_archE1100ELNS1_3gpuE3ELNS1_3repE0EEENS1_30default_config_static_selectorELNS0_4arch9wavefront6targetE0EEEvSV_
	.globl	_ZN7rocprim17ROCPRIM_400000_NS6detail17trampoline_kernelINS0_14default_configENS1_29binary_search_config_selectorIfiEEZNS1_14transform_implILb0ES3_S5_N6thrust23THRUST_200600_302600_NS6detail15normal_iteratorINS8_7pointerIfNS8_11hip_rocprim3tagENS8_11use_defaultESE_EEEENSA_INSB_IiSD_SE_SE_EEEEZNS1_13binary_searchIS3_S5_NSA_INS8_10device_ptrIfEEEESG_SI_NS1_16binary_search_opENS9_16wrapped_functionINS8_7greaterIfEEbEEEE10hipError_tPvRmT1_T2_T3_mmT4_T5_P12ihipStream_tbEUlRKfE_EESS_SW_SX_mSY_S11_bEUlT_E_NS1_11comp_targetILNS1_3genE9ELNS1_11target_archE1100ELNS1_3gpuE3ELNS1_3repE0EEENS1_30default_config_static_selectorELNS0_4arch9wavefront6targetE0EEEvSV_
	.p2align	8
	.type	_ZN7rocprim17ROCPRIM_400000_NS6detail17trampoline_kernelINS0_14default_configENS1_29binary_search_config_selectorIfiEEZNS1_14transform_implILb0ES3_S5_N6thrust23THRUST_200600_302600_NS6detail15normal_iteratorINS8_7pointerIfNS8_11hip_rocprim3tagENS8_11use_defaultESE_EEEENSA_INSB_IiSD_SE_SE_EEEEZNS1_13binary_searchIS3_S5_NSA_INS8_10device_ptrIfEEEESG_SI_NS1_16binary_search_opENS9_16wrapped_functionINS8_7greaterIfEEbEEEE10hipError_tPvRmT1_T2_T3_mmT4_T5_P12ihipStream_tbEUlRKfE_EESS_SW_SX_mSY_S11_bEUlT_E_NS1_11comp_targetILNS1_3genE9ELNS1_11target_archE1100ELNS1_3gpuE3ELNS1_3repE0EEENS1_30default_config_static_selectorELNS0_4arch9wavefront6targetE0EEEvSV_,@function
_ZN7rocprim17ROCPRIM_400000_NS6detail17trampoline_kernelINS0_14default_configENS1_29binary_search_config_selectorIfiEEZNS1_14transform_implILb0ES3_S5_N6thrust23THRUST_200600_302600_NS6detail15normal_iteratorINS8_7pointerIfNS8_11hip_rocprim3tagENS8_11use_defaultESE_EEEENSA_INSB_IiSD_SE_SE_EEEEZNS1_13binary_searchIS3_S5_NSA_INS8_10device_ptrIfEEEESG_SI_NS1_16binary_search_opENS9_16wrapped_functionINS8_7greaterIfEEbEEEE10hipError_tPvRmT1_T2_T3_mmT4_T5_P12ihipStream_tbEUlRKfE_EESS_SW_SX_mSY_S11_bEUlT_E_NS1_11comp_targetILNS1_3genE9ELNS1_11target_archE1100ELNS1_3gpuE3ELNS1_3repE0EEENS1_30default_config_static_selectorELNS0_4arch9wavefront6targetE0EEEvSV_: ; @_ZN7rocprim17ROCPRIM_400000_NS6detail17trampoline_kernelINS0_14default_configENS1_29binary_search_config_selectorIfiEEZNS1_14transform_implILb0ES3_S5_N6thrust23THRUST_200600_302600_NS6detail15normal_iteratorINS8_7pointerIfNS8_11hip_rocprim3tagENS8_11use_defaultESE_EEEENSA_INSB_IiSD_SE_SE_EEEEZNS1_13binary_searchIS3_S5_NSA_INS8_10device_ptrIfEEEESG_SI_NS1_16binary_search_opENS9_16wrapped_functionINS8_7greaterIfEEbEEEE10hipError_tPvRmT1_T2_T3_mmT4_T5_P12ihipStream_tbEUlRKfE_EESS_SW_SX_mSY_S11_bEUlT_E_NS1_11comp_targetILNS1_3genE9ELNS1_11target_archE1100ELNS1_3gpuE3ELNS1_3repE0EEENS1_30default_config_static_selectorELNS0_4arch9wavefront6targetE0EEEvSV_
; %bb.0:
	.section	.rodata,"a",@progbits
	.p2align	6, 0x0
	.amdhsa_kernel _ZN7rocprim17ROCPRIM_400000_NS6detail17trampoline_kernelINS0_14default_configENS1_29binary_search_config_selectorIfiEEZNS1_14transform_implILb0ES3_S5_N6thrust23THRUST_200600_302600_NS6detail15normal_iteratorINS8_7pointerIfNS8_11hip_rocprim3tagENS8_11use_defaultESE_EEEENSA_INSB_IiSD_SE_SE_EEEEZNS1_13binary_searchIS3_S5_NSA_INS8_10device_ptrIfEEEESG_SI_NS1_16binary_search_opENS9_16wrapped_functionINS8_7greaterIfEEbEEEE10hipError_tPvRmT1_T2_T3_mmT4_T5_P12ihipStream_tbEUlRKfE_EESS_SW_SX_mSY_S11_bEUlT_E_NS1_11comp_targetILNS1_3genE9ELNS1_11target_archE1100ELNS1_3gpuE3ELNS1_3repE0EEENS1_30default_config_static_selectorELNS0_4arch9wavefront6targetE0EEEvSV_
		.amdhsa_group_segment_fixed_size 0
		.amdhsa_private_segment_fixed_size 0
		.amdhsa_kernarg_size 56
		.amdhsa_user_sgpr_count 2
		.amdhsa_user_sgpr_dispatch_ptr 0
		.amdhsa_user_sgpr_queue_ptr 0
		.amdhsa_user_sgpr_kernarg_segment_ptr 1
		.amdhsa_user_sgpr_dispatch_id 0
		.amdhsa_user_sgpr_kernarg_preload_length 0
		.amdhsa_user_sgpr_kernarg_preload_offset 0
		.amdhsa_user_sgpr_private_segment_size 0
		.amdhsa_wavefront_size32 1
		.amdhsa_uses_dynamic_stack 0
		.amdhsa_enable_private_segment 0
		.amdhsa_system_sgpr_workgroup_id_x 1
		.amdhsa_system_sgpr_workgroup_id_y 0
		.amdhsa_system_sgpr_workgroup_id_z 0
		.amdhsa_system_sgpr_workgroup_info 0
		.amdhsa_system_vgpr_workitem_id 0
		.amdhsa_next_free_vgpr 1
		.amdhsa_next_free_sgpr 1
		.amdhsa_named_barrier_count 0
		.amdhsa_reserve_vcc 0
		.amdhsa_float_round_mode_32 0
		.amdhsa_float_round_mode_16_64 0
		.amdhsa_float_denorm_mode_32 3
		.amdhsa_float_denorm_mode_16_64 3
		.amdhsa_fp16_overflow 0
		.amdhsa_memory_ordered 1
		.amdhsa_forward_progress 1
		.amdhsa_inst_pref_size 0
		.amdhsa_round_robin_scheduling 0
		.amdhsa_exception_fp_ieee_invalid_op 0
		.amdhsa_exception_fp_denorm_src 0
		.amdhsa_exception_fp_ieee_div_zero 0
		.amdhsa_exception_fp_ieee_overflow 0
		.amdhsa_exception_fp_ieee_underflow 0
		.amdhsa_exception_fp_ieee_inexact 0
		.amdhsa_exception_int_div_zero 0
	.end_amdhsa_kernel
	.section	.text._ZN7rocprim17ROCPRIM_400000_NS6detail17trampoline_kernelINS0_14default_configENS1_29binary_search_config_selectorIfiEEZNS1_14transform_implILb0ES3_S5_N6thrust23THRUST_200600_302600_NS6detail15normal_iteratorINS8_7pointerIfNS8_11hip_rocprim3tagENS8_11use_defaultESE_EEEENSA_INSB_IiSD_SE_SE_EEEEZNS1_13binary_searchIS3_S5_NSA_INS8_10device_ptrIfEEEESG_SI_NS1_16binary_search_opENS9_16wrapped_functionINS8_7greaterIfEEbEEEE10hipError_tPvRmT1_T2_T3_mmT4_T5_P12ihipStream_tbEUlRKfE_EESS_SW_SX_mSY_S11_bEUlT_E_NS1_11comp_targetILNS1_3genE9ELNS1_11target_archE1100ELNS1_3gpuE3ELNS1_3repE0EEENS1_30default_config_static_selectorELNS0_4arch9wavefront6targetE0EEEvSV_,"axG",@progbits,_ZN7rocprim17ROCPRIM_400000_NS6detail17trampoline_kernelINS0_14default_configENS1_29binary_search_config_selectorIfiEEZNS1_14transform_implILb0ES3_S5_N6thrust23THRUST_200600_302600_NS6detail15normal_iteratorINS8_7pointerIfNS8_11hip_rocprim3tagENS8_11use_defaultESE_EEEENSA_INSB_IiSD_SE_SE_EEEEZNS1_13binary_searchIS3_S5_NSA_INS8_10device_ptrIfEEEESG_SI_NS1_16binary_search_opENS9_16wrapped_functionINS8_7greaterIfEEbEEEE10hipError_tPvRmT1_T2_T3_mmT4_T5_P12ihipStream_tbEUlRKfE_EESS_SW_SX_mSY_S11_bEUlT_E_NS1_11comp_targetILNS1_3genE9ELNS1_11target_archE1100ELNS1_3gpuE3ELNS1_3repE0EEENS1_30default_config_static_selectorELNS0_4arch9wavefront6targetE0EEEvSV_,comdat
.Lfunc_end174:
	.size	_ZN7rocprim17ROCPRIM_400000_NS6detail17trampoline_kernelINS0_14default_configENS1_29binary_search_config_selectorIfiEEZNS1_14transform_implILb0ES3_S5_N6thrust23THRUST_200600_302600_NS6detail15normal_iteratorINS8_7pointerIfNS8_11hip_rocprim3tagENS8_11use_defaultESE_EEEENSA_INSB_IiSD_SE_SE_EEEEZNS1_13binary_searchIS3_S5_NSA_INS8_10device_ptrIfEEEESG_SI_NS1_16binary_search_opENS9_16wrapped_functionINS8_7greaterIfEEbEEEE10hipError_tPvRmT1_T2_T3_mmT4_T5_P12ihipStream_tbEUlRKfE_EESS_SW_SX_mSY_S11_bEUlT_E_NS1_11comp_targetILNS1_3genE9ELNS1_11target_archE1100ELNS1_3gpuE3ELNS1_3repE0EEENS1_30default_config_static_selectorELNS0_4arch9wavefront6targetE0EEEvSV_, .Lfunc_end174-_ZN7rocprim17ROCPRIM_400000_NS6detail17trampoline_kernelINS0_14default_configENS1_29binary_search_config_selectorIfiEEZNS1_14transform_implILb0ES3_S5_N6thrust23THRUST_200600_302600_NS6detail15normal_iteratorINS8_7pointerIfNS8_11hip_rocprim3tagENS8_11use_defaultESE_EEEENSA_INSB_IiSD_SE_SE_EEEEZNS1_13binary_searchIS3_S5_NSA_INS8_10device_ptrIfEEEESG_SI_NS1_16binary_search_opENS9_16wrapped_functionINS8_7greaterIfEEbEEEE10hipError_tPvRmT1_T2_T3_mmT4_T5_P12ihipStream_tbEUlRKfE_EESS_SW_SX_mSY_S11_bEUlT_E_NS1_11comp_targetILNS1_3genE9ELNS1_11target_archE1100ELNS1_3gpuE3ELNS1_3repE0EEENS1_30default_config_static_selectorELNS0_4arch9wavefront6targetE0EEEvSV_
                                        ; -- End function
	.set _ZN7rocprim17ROCPRIM_400000_NS6detail17trampoline_kernelINS0_14default_configENS1_29binary_search_config_selectorIfiEEZNS1_14transform_implILb0ES3_S5_N6thrust23THRUST_200600_302600_NS6detail15normal_iteratorINS8_7pointerIfNS8_11hip_rocprim3tagENS8_11use_defaultESE_EEEENSA_INSB_IiSD_SE_SE_EEEEZNS1_13binary_searchIS3_S5_NSA_INS8_10device_ptrIfEEEESG_SI_NS1_16binary_search_opENS9_16wrapped_functionINS8_7greaterIfEEbEEEE10hipError_tPvRmT1_T2_T3_mmT4_T5_P12ihipStream_tbEUlRKfE_EESS_SW_SX_mSY_S11_bEUlT_E_NS1_11comp_targetILNS1_3genE9ELNS1_11target_archE1100ELNS1_3gpuE3ELNS1_3repE0EEENS1_30default_config_static_selectorELNS0_4arch9wavefront6targetE0EEEvSV_.num_vgpr, 0
	.set _ZN7rocprim17ROCPRIM_400000_NS6detail17trampoline_kernelINS0_14default_configENS1_29binary_search_config_selectorIfiEEZNS1_14transform_implILb0ES3_S5_N6thrust23THRUST_200600_302600_NS6detail15normal_iteratorINS8_7pointerIfNS8_11hip_rocprim3tagENS8_11use_defaultESE_EEEENSA_INSB_IiSD_SE_SE_EEEEZNS1_13binary_searchIS3_S5_NSA_INS8_10device_ptrIfEEEESG_SI_NS1_16binary_search_opENS9_16wrapped_functionINS8_7greaterIfEEbEEEE10hipError_tPvRmT1_T2_T3_mmT4_T5_P12ihipStream_tbEUlRKfE_EESS_SW_SX_mSY_S11_bEUlT_E_NS1_11comp_targetILNS1_3genE9ELNS1_11target_archE1100ELNS1_3gpuE3ELNS1_3repE0EEENS1_30default_config_static_selectorELNS0_4arch9wavefront6targetE0EEEvSV_.num_agpr, 0
	.set _ZN7rocprim17ROCPRIM_400000_NS6detail17trampoline_kernelINS0_14default_configENS1_29binary_search_config_selectorIfiEEZNS1_14transform_implILb0ES3_S5_N6thrust23THRUST_200600_302600_NS6detail15normal_iteratorINS8_7pointerIfNS8_11hip_rocprim3tagENS8_11use_defaultESE_EEEENSA_INSB_IiSD_SE_SE_EEEEZNS1_13binary_searchIS3_S5_NSA_INS8_10device_ptrIfEEEESG_SI_NS1_16binary_search_opENS9_16wrapped_functionINS8_7greaterIfEEbEEEE10hipError_tPvRmT1_T2_T3_mmT4_T5_P12ihipStream_tbEUlRKfE_EESS_SW_SX_mSY_S11_bEUlT_E_NS1_11comp_targetILNS1_3genE9ELNS1_11target_archE1100ELNS1_3gpuE3ELNS1_3repE0EEENS1_30default_config_static_selectorELNS0_4arch9wavefront6targetE0EEEvSV_.numbered_sgpr, 0
	.set _ZN7rocprim17ROCPRIM_400000_NS6detail17trampoline_kernelINS0_14default_configENS1_29binary_search_config_selectorIfiEEZNS1_14transform_implILb0ES3_S5_N6thrust23THRUST_200600_302600_NS6detail15normal_iteratorINS8_7pointerIfNS8_11hip_rocprim3tagENS8_11use_defaultESE_EEEENSA_INSB_IiSD_SE_SE_EEEEZNS1_13binary_searchIS3_S5_NSA_INS8_10device_ptrIfEEEESG_SI_NS1_16binary_search_opENS9_16wrapped_functionINS8_7greaterIfEEbEEEE10hipError_tPvRmT1_T2_T3_mmT4_T5_P12ihipStream_tbEUlRKfE_EESS_SW_SX_mSY_S11_bEUlT_E_NS1_11comp_targetILNS1_3genE9ELNS1_11target_archE1100ELNS1_3gpuE3ELNS1_3repE0EEENS1_30default_config_static_selectorELNS0_4arch9wavefront6targetE0EEEvSV_.num_named_barrier, 0
	.set _ZN7rocprim17ROCPRIM_400000_NS6detail17trampoline_kernelINS0_14default_configENS1_29binary_search_config_selectorIfiEEZNS1_14transform_implILb0ES3_S5_N6thrust23THRUST_200600_302600_NS6detail15normal_iteratorINS8_7pointerIfNS8_11hip_rocprim3tagENS8_11use_defaultESE_EEEENSA_INSB_IiSD_SE_SE_EEEEZNS1_13binary_searchIS3_S5_NSA_INS8_10device_ptrIfEEEESG_SI_NS1_16binary_search_opENS9_16wrapped_functionINS8_7greaterIfEEbEEEE10hipError_tPvRmT1_T2_T3_mmT4_T5_P12ihipStream_tbEUlRKfE_EESS_SW_SX_mSY_S11_bEUlT_E_NS1_11comp_targetILNS1_3genE9ELNS1_11target_archE1100ELNS1_3gpuE3ELNS1_3repE0EEENS1_30default_config_static_selectorELNS0_4arch9wavefront6targetE0EEEvSV_.private_seg_size, 0
	.set _ZN7rocprim17ROCPRIM_400000_NS6detail17trampoline_kernelINS0_14default_configENS1_29binary_search_config_selectorIfiEEZNS1_14transform_implILb0ES3_S5_N6thrust23THRUST_200600_302600_NS6detail15normal_iteratorINS8_7pointerIfNS8_11hip_rocprim3tagENS8_11use_defaultESE_EEEENSA_INSB_IiSD_SE_SE_EEEEZNS1_13binary_searchIS3_S5_NSA_INS8_10device_ptrIfEEEESG_SI_NS1_16binary_search_opENS9_16wrapped_functionINS8_7greaterIfEEbEEEE10hipError_tPvRmT1_T2_T3_mmT4_T5_P12ihipStream_tbEUlRKfE_EESS_SW_SX_mSY_S11_bEUlT_E_NS1_11comp_targetILNS1_3genE9ELNS1_11target_archE1100ELNS1_3gpuE3ELNS1_3repE0EEENS1_30default_config_static_selectorELNS0_4arch9wavefront6targetE0EEEvSV_.uses_vcc, 0
	.set _ZN7rocprim17ROCPRIM_400000_NS6detail17trampoline_kernelINS0_14default_configENS1_29binary_search_config_selectorIfiEEZNS1_14transform_implILb0ES3_S5_N6thrust23THRUST_200600_302600_NS6detail15normal_iteratorINS8_7pointerIfNS8_11hip_rocprim3tagENS8_11use_defaultESE_EEEENSA_INSB_IiSD_SE_SE_EEEEZNS1_13binary_searchIS3_S5_NSA_INS8_10device_ptrIfEEEESG_SI_NS1_16binary_search_opENS9_16wrapped_functionINS8_7greaterIfEEbEEEE10hipError_tPvRmT1_T2_T3_mmT4_T5_P12ihipStream_tbEUlRKfE_EESS_SW_SX_mSY_S11_bEUlT_E_NS1_11comp_targetILNS1_3genE9ELNS1_11target_archE1100ELNS1_3gpuE3ELNS1_3repE0EEENS1_30default_config_static_selectorELNS0_4arch9wavefront6targetE0EEEvSV_.uses_flat_scratch, 0
	.set _ZN7rocprim17ROCPRIM_400000_NS6detail17trampoline_kernelINS0_14default_configENS1_29binary_search_config_selectorIfiEEZNS1_14transform_implILb0ES3_S5_N6thrust23THRUST_200600_302600_NS6detail15normal_iteratorINS8_7pointerIfNS8_11hip_rocprim3tagENS8_11use_defaultESE_EEEENSA_INSB_IiSD_SE_SE_EEEEZNS1_13binary_searchIS3_S5_NSA_INS8_10device_ptrIfEEEESG_SI_NS1_16binary_search_opENS9_16wrapped_functionINS8_7greaterIfEEbEEEE10hipError_tPvRmT1_T2_T3_mmT4_T5_P12ihipStream_tbEUlRKfE_EESS_SW_SX_mSY_S11_bEUlT_E_NS1_11comp_targetILNS1_3genE9ELNS1_11target_archE1100ELNS1_3gpuE3ELNS1_3repE0EEENS1_30default_config_static_selectorELNS0_4arch9wavefront6targetE0EEEvSV_.has_dyn_sized_stack, 0
	.set _ZN7rocprim17ROCPRIM_400000_NS6detail17trampoline_kernelINS0_14default_configENS1_29binary_search_config_selectorIfiEEZNS1_14transform_implILb0ES3_S5_N6thrust23THRUST_200600_302600_NS6detail15normal_iteratorINS8_7pointerIfNS8_11hip_rocprim3tagENS8_11use_defaultESE_EEEENSA_INSB_IiSD_SE_SE_EEEEZNS1_13binary_searchIS3_S5_NSA_INS8_10device_ptrIfEEEESG_SI_NS1_16binary_search_opENS9_16wrapped_functionINS8_7greaterIfEEbEEEE10hipError_tPvRmT1_T2_T3_mmT4_T5_P12ihipStream_tbEUlRKfE_EESS_SW_SX_mSY_S11_bEUlT_E_NS1_11comp_targetILNS1_3genE9ELNS1_11target_archE1100ELNS1_3gpuE3ELNS1_3repE0EEENS1_30default_config_static_selectorELNS0_4arch9wavefront6targetE0EEEvSV_.has_recursion, 0
	.set _ZN7rocprim17ROCPRIM_400000_NS6detail17trampoline_kernelINS0_14default_configENS1_29binary_search_config_selectorIfiEEZNS1_14transform_implILb0ES3_S5_N6thrust23THRUST_200600_302600_NS6detail15normal_iteratorINS8_7pointerIfNS8_11hip_rocprim3tagENS8_11use_defaultESE_EEEENSA_INSB_IiSD_SE_SE_EEEEZNS1_13binary_searchIS3_S5_NSA_INS8_10device_ptrIfEEEESG_SI_NS1_16binary_search_opENS9_16wrapped_functionINS8_7greaterIfEEbEEEE10hipError_tPvRmT1_T2_T3_mmT4_T5_P12ihipStream_tbEUlRKfE_EESS_SW_SX_mSY_S11_bEUlT_E_NS1_11comp_targetILNS1_3genE9ELNS1_11target_archE1100ELNS1_3gpuE3ELNS1_3repE0EEENS1_30default_config_static_selectorELNS0_4arch9wavefront6targetE0EEEvSV_.has_indirect_call, 0
	.section	.AMDGPU.csdata,"",@progbits
; Kernel info:
; codeLenInByte = 0
; TotalNumSgprs: 0
; NumVgprs: 0
; ScratchSize: 0
; MemoryBound: 0
; FloatMode: 240
; IeeeMode: 1
; LDSByteSize: 0 bytes/workgroup (compile time only)
; SGPRBlocks: 0
; VGPRBlocks: 0
; NumSGPRsForWavesPerEU: 1
; NumVGPRsForWavesPerEU: 1
; NamedBarCnt: 0
; Occupancy: 16
; WaveLimiterHint : 0
; COMPUTE_PGM_RSRC2:SCRATCH_EN: 0
; COMPUTE_PGM_RSRC2:USER_SGPR: 2
; COMPUTE_PGM_RSRC2:TRAP_HANDLER: 0
; COMPUTE_PGM_RSRC2:TGID_X_EN: 1
; COMPUTE_PGM_RSRC2:TGID_Y_EN: 0
; COMPUTE_PGM_RSRC2:TGID_Z_EN: 0
; COMPUTE_PGM_RSRC2:TIDIG_COMP_CNT: 0
	.section	.text._ZN7rocprim17ROCPRIM_400000_NS6detail17trampoline_kernelINS0_14default_configENS1_29binary_search_config_selectorIfiEEZNS1_14transform_implILb0ES3_S5_N6thrust23THRUST_200600_302600_NS6detail15normal_iteratorINS8_7pointerIfNS8_11hip_rocprim3tagENS8_11use_defaultESE_EEEENSA_INSB_IiSD_SE_SE_EEEEZNS1_13binary_searchIS3_S5_NSA_INS8_10device_ptrIfEEEESG_SI_NS1_16binary_search_opENS9_16wrapped_functionINS8_7greaterIfEEbEEEE10hipError_tPvRmT1_T2_T3_mmT4_T5_P12ihipStream_tbEUlRKfE_EESS_SW_SX_mSY_S11_bEUlT_E_NS1_11comp_targetILNS1_3genE8ELNS1_11target_archE1030ELNS1_3gpuE2ELNS1_3repE0EEENS1_30default_config_static_selectorELNS0_4arch9wavefront6targetE0EEEvSV_,"axG",@progbits,_ZN7rocprim17ROCPRIM_400000_NS6detail17trampoline_kernelINS0_14default_configENS1_29binary_search_config_selectorIfiEEZNS1_14transform_implILb0ES3_S5_N6thrust23THRUST_200600_302600_NS6detail15normal_iteratorINS8_7pointerIfNS8_11hip_rocprim3tagENS8_11use_defaultESE_EEEENSA_INSB_IiSD_SE_SE_EEEEZNS1_13binary_searchIS3_S5_NSA_INS8_10device_ptrIfEEEESG_SI_NS1_16binary_search_opENS9_16wrapped_functionINS8_7greaterIfEEbEEEE10hipError_tPvRmT1_T2_T3_mmT4_T5_P12ihipStream_tbEUlRKfE_EESS_SW_SX_mSY_S11_bEUlT_E_NS1_11comp_targetILNS1_3genE8ELNS1_11target_archE1030ELNS1_3gpuE2ELNS1_3repE0EEENS1_30default_config_static_selectorELNS0_4arch9wavefront6targetE0EEEvSV_,comdat
	.protected	_ZN7rocprim17ROCPRIM_400000_NS6detail17trampoline_kernelINS0_14default_configENS1_29binary_search_config_selectorIfiEEZNS1_14transform_implILb0ES3_S5_N6thrust23THRUST_200600_302600_NS6detail15normal_iteratorINS8_7pointerIfNS8_11hip_rocprim3tagENS8_11use_defaultESE_EEEENSA_INSB_IiSD_SE_SE_EEEEZNS1_13binary_searchIS3_S5_NSA_INS8_10device_ptrIfEEEESG_SI_NS1_16binary_search_opENS9_16wrapped_functionINS8_7greaterIfEEbEEEE10hipError_tPvRmT1_T2_T3_mmT4_T5_P12ihipStream_tbEUlRKfE_EESS_SW_SX_mSY_S11_bEUlT_E_NS1_11comp_targetILNS1_3genE8ELNS1_11target_archE1030ELNS1_3gpuE2ELNS1_3repE0EEENS1_30default_config_static_selectorELNS0_4arch9wavefront6targetE0EEEvSV_ ; -- Begin function _ZN7rocprim17ROCPRIM_400000_NS6detail17trampoline_kernelINS0_14default_configENS1_29binary_search_config_selectorIfiEEZNS1_14transform_implILb0ES3_S5_N6thrust23THRUST_200600_302600_NS6detail15normal_iteratorINS8_7pointerIfNS8_11hip_rocprim3tagENS8_11use_defaultESE_EEEENSA_INSB_IiSD_SE_SE_EEEEZNS1_13binary_searchIS3_S5_NSA_INS8_10device_ptrIfEEEESG_SI_NS1_16binary_search_opENS9_16wrapped_functionINS8_7greaterIfEEbEEEE10hipError_tPvRmT1_T2_T3_mmT4_T5_P12ihipStream_tbEUlRKfE_EESS_SW_SX_mSY_S11_bEUlT_E_NS1_11comp_targetILNS1_3genE8ELNS1_11target_archE1030ELNS1_3gpuE2ELNS1_3repE0EEENS1_30default_config_static_selectorELNS0_4arch9wavefront6targetE0EEEvSV_
	.globl	_ZN7rocprim17ROCPRIM_400000_NS6detail17trampoline_kernelINS0_14default_configENS1_29binary_search_config_selectorIfiEEZNS1_14transform_implILb0ES3_S5_N6thrust23THRUST_200600_302600_NS6detail15normal_iteratorINS8_7pointerIfNS8_11hip_rocprim3tagENS8_11use_defaultESE_EEEENSA_INSB_IiSD_SE_SE_EEEEZNS1_13binary_searchIS3_S5_NSA_INS8_10device_ptrIfEEEESG_SI_NS1_16binary_search_opENS9_16wrapped_functionINS8_7greaterIfEEbEEEE10hipError_tPvRmT1_T2_T3_mmT4_T5_P12ihipStream_tbEUlRKfE_EESS_SW_SX_mSY_S11_bEUlT_E_NS1_11comp_targetILNS1_3genE8ELNS1_11target_archE1030ELNS1_3gpuE2ELNS1_3repE0EEENS1_30default_config_static_selectorELNS0_4arch9wavefront6targetE0EEEvSV_
	.p2align	8
	.type	_ZN7rocprim17ROCPRIM_400000_NS6detail17trampoline_kernelINS0_14default_configENS1_29binary_search_config_selectorIfiEEZNS1_14transform_implILb0ES3_S5_N6thrust23THRUST_200600_302600_NS6detail15normal_iteratorINS8_7pointerIfNS8_11hip_rocprim3tagENS8_11use_defaultESE_EEEENSA_INSB_IiSD_SE_SE_EEEEZNS1_13binary_searchIS3_S5_NSA_INS8_10device_ptrIfEEEESG_SI_NS1_16binary_search_opENS9_16wrapped_functionINS8_7greaterIfEEbEEEE10hipError_tPvRmT1_T2_T3_mmT4_T5_P12ihipStream_tbEUlRKfE_EESS_SW_SX_mSY_S11_bEUlT_E_NS1_11comp_targetILNS1_3genE8ELNS1_11target_archE1030ELNS1_3gpuE2ELNS1_3repE0EEENS1_30default_config_static_selectorELNS0_4arch9wavefront6targetE0EEEvSV_,@function
_ZN7rocprim17ROCPRIM_400000_NS6detail17trampoline_kernelINS0_14default_configENS1_29binary_search_config_selectorIfiEEZNS1_14transform_implILb0ES3_S5_N6thrust23THRUST_200600_302600_NS6detail15normal_iteratorINS8_7pointerIfNS8_11hip_rocprim3tagENS8_11use_defaultESE_EEEENSA_INSB_IiSD_SE_SE_EEEEZNS1_13binary_searchIS3_S5_NSA_INS8_10device_ptrIfEEEESG_SI_NS1_16binary_search_opENS9_16wrapped_functionINS8_7greaterIfEEbEEEE10hipError_tPvRmT1_T2_T3_mmT4_T5_P12ihipStream_tbEUlRKfE_EESS_SW_SX_mSY_S11_bEUlT_E_NS1_11comp_targetILNS1_3genE8ELNS1_11target_archE1030ELNS1_3gpuE2ELNS1_3repE0EEENS1_30default_config_static_selectorELNS0_4arch9wavefront6targetE0EEEvSV_: ; @_ZN7rocprim17ROCPRIM_400000_NS6detail17trampoline_kernelINS0_14default_configENS1_29binary_search_config_selectorIfiEEZNS1_14transform_implILb0ES3_S5_N6thrust23THRUST_200600_302600_NS6detail15normal_iteratorINS8_7pointerIfNS8_11hip_rocprim3tagENS8_11use_defaultESE_EEEENSA_INSB_IiSD_SE_SE_EEEEZNS1_13binary_searchIS3_S5_NSA_INS8_10device_ptrIfEEEESG_SI_NS1_16binary_search_opENS9_16wrapped_functionINS8_7greaterIfEEbEEEE10hipError_tPvRmT1_T2_T3_mmT4_T5_P12ihipStream_tbEUlRKfE_EESS_SW_SX_mSY_S11_bEUlT_E_NS1_11comp_targetILNS1_3genE8ELNS1_11target_archE1030ELNS1_3gpuE2ELNS1_3repE0EEENS1_30default_config_static_selectorELNS0_4arch9wavefront6targetE0EEEvSV_
; %bb.0:
	.section	.rodata,"a",@progbits
	.p2align	6, 0x0
	.amdhsa_kernel _ZN7rocprim17ROCPRIM_400000_NS6detail17trampoline_kernelINS0_14default_configENS1_29binary_search_config_selectorIfiEEZNS1_14transform_implILb0ES3_S5_N6thrust23THRUST_200600_302600_NS6detail15normal_iteratorINS8_7pointerIfNS8_11hip_rocprim3tagENS8_11use_defaultESE_EEEENSA_INSB_IiSD_SE_SE_EEEEZNS1_13binary_searchIS3_S5_NSA_INS8_10device_ptrIfEEEESG_SI_NS1_16binary_search_opENS9_16wrapped_functionINS8_7greaterIfEEbEEEE10hipError_tPvRmT1_T2_T3_mmT4_T5_P12ihipStream_tbEUlRKfE_EESS_SW_SX_mSY_S11_bEUlT_E_NS1_11comp_targetILNS1_3genE8ELNS1_11target_archE1030ELNS1_3gpuE2ELNS1_3repE0EEENS1_30default_config_static_selectorELNS0_4arch9wavefront6targetE0EEEvSV_
		.amdhsa_group_segment_fixed_size 0
		.amdhsa_private_segment_fixed_size 0
		.amdhsa_kernarg_size 56
		.amdhsa_user_sgpr_count 2
		.amdhsa_user_sgpr_dispatch_ptr 0
		.amdhsa_user_sgpr_queue_ptr 0
		.amdhsa_user_sgpr_kernarg_segment_ptr 1
		.amdhsa_user_sgpr_dispatch_id 0
		.amdhsa_user_sgpr_kernarg_preload_length 0
		.amdhsa_user_sgpr_kernarg_preload_offset 0
		.amdhsa_user_sgpr_private_segment_size 0
		.amdhsa_wavefront_size32 1
		.amdhsa_uses_dynamic_stack 0
		.amdhsa_enable_private_segment 0
		.amdhsa_system_sgpr_workgroup_id_x 1
		.amdhsa_system_sgpr_workgroup_id_y 0
		.amdhsa_system_sgpr_workgroup_id_z 0
		.amdhsa_system_sgpr_workgroup_info 0
		.amdhsa_system_vgpr_workitem_id 0
		.amdhsa_next_free_vgpr 1
		.amdhsa_next_free_sgpr 1
		.amdhsa_named_barrier_count 0
		.amdhsa_reserve_vcc 0
		.amdhsa_float_round_mode_32 0
		.amdhsa_float_round_mode_16_64 0
		.amdhsa_float_denorm_mode_32 3
		.amdhsa_float_denorm_mode_16_64 3
		.amdhsa_fp16_overflow 0
		.amdhsa_memory_ordered 1
		.amdhsa_forward_progress 1
		.amdhsa_inst_pref_size 0
		.amdhsa_round_robin_scheduling 0
		.amdhsa_exception_fp_ieee_invalid_op 0
		.amdhsa_exception_fp_denorm_src 0
		.amdhsa_exception_fp_ieee_div_zero 0
		.amdhsa_exception_fp_ieee_overflow 0
		.amdhsa_exception_fp_ieee_underflow 0
		.amdhsa_exception_fp_ieee_inexact 0
		.amdhsa_exception_int_div_zero 0
	.end_amdhsa_kernel
	.section	.text._ZN7rocprim17ROCPRIM_400000_NS6detail17trampoline_kernelINS0_14default_configENS1_29binary_search_config_selectorIfiEEZNS1_14transform_implILb0ES3_S5_N6thrust23THRUST_200600_302600_NS6detail15normal_iteratorINS8_7pointerIfNS8_11hip_rocprim3tagENS8_11use_defaultESE_EEEENSA_INSB_IiSD_SE_SE_EEEEZNS1_13binary_searchIS3_S5_NSA_INS8_10device_ptrIfEEEESG_SI_NS1_16binary_search_opENS9_16wrapped_functionINS8_7greaterIfEEbEEEE10hipError_tPvRmT1_T2_T3_mmT4_T5_P12ihipStream_tbEUlRKfE_EESS_SW_SX_mSY_S11_bEUlT_E_NS1_11comp_targetILNS1_3genE8ELNS1_11target_archE1030ELNS1_3gpuE2ELNS1_3repE0EEENS1_30default_config_static_selectorELNS0_4arch9wavefront6targetE0EEEvSV_,"axG",@progbits,_ZN7rocprim17ROCPRIM_400000_NS6detail17trampoline_kernelINS0_14default_configENS1_29binary_search_config_selectorIfiEEZNS1_14transform_implILb0ES3_S5_N6thrust23THRUST_200600_302600_NS6detail15normal_iteratorINS8_7pointerIfNS8_11hip_rocprim3tagENS8_11use_defaultESE_EEEENSA_INSB_IiSD_SE_SE_EEEEZNS1_13binary_searchIS3_S5_NSA_INS8_10device_ptrIfEEEESG_SI_NS1_16binary_search_opENS9_16wrapped_functionINS8_7greaterIfEEbEEEE10hipError_tPvRmT1_T2_T3_mmT4_T5_P12ihipStream_tbEUlRKfE_EESS_SW_SX_mSY_S11_bEUlT_E_NS1_11comp_targetILNS1_3genE8ELNS1_11target_archE1030ELNS1_3gpuE2ELNS1_3repE0EEENS1_30default_config_static_selectorELNS0_4arch9wavefront6targetE0EEEvSV_,comdat
.Lfunc_end175:
	.size	_ZN7rocprim17ROCPRIM_400000_NS6detail17trampoline_kernelINS0_14default_configENS1_29binary_search_config_selectorIfiEEZNS1_14transform_implILb0ES3_S5_N6thrust23THRUST_200600_302600_NS6detail15normal_iteratorINS8_7pointerIfNS8_11hip_rocprim3tagENS8_11use_defaultESE_EEEENSA_INSB_IiSD_SE_SE_EEEEZNS1_13binary_searchIS3_S5_NSA_INS8_10device_ptrIfEEEESG_SI_NS1_16binary_search_opENS9_16wrapped_functionINS8_7greaterIfEEbEEEE10hipError_tPvRmT1_T2_T3_mmT4_T5_P12ihipStream_tbEUlRKfE_EESS_SW_SX_mSY_S11_bEUlT_E_NS1_11comp_targetILNS1_3genE8ELNS1_11target_archE1030ELNS1_3gpuE2ELNS1_3repE0EEENS1_30default_config_static_selectorELNS0_4arch9wavefront6targetE0EEEvSV_, .Lfunc_end175-_ZN7rocprim17ROCPRIM_400000_NS6detail17trampoline_kernelINS0_14default_configENS1_29binary_search_config_selectorIfiEEZNS1_14transform_implILb0ES3_S5_N6thrust23THRUST_200600_302600_NS6detail15normal_iteratorINS8_7pointerIfNS8_11hip_rocprim3tagENS8_11use_defaultESE_EEEENSA_INSB_IiSD_SE_SE_EEEEZNS1_13binary_searchIS3_S5_NSA_INS8_10device_ptrIfEEEESG_SI_NS1_16binary_search_opENS9_16wrapped_functionINS8_7greaterIfEEbEEEE10hipError_tPvRmT1_T2_T3_mmT4_T5_P12ihipStream_tbEUlRKfE_EESS_SW_SX_mSY_S11_bEUlT_E_NS1_11comp_targetILNS1_3genE8ELNS1_11target_archE1030ELNS1_3gpuE2ELNS1_3repE0EEENS1_30default_config_static_selectorELNS0_4arch9wavefront6targetE0EEEvSV_
                                        ; -- End function
	.set _ZN7rocprim17ROCPRIM_400000_NS6detail17trampoline_kernelINS0_14default_configENS1_29binary_search_config_selectorIfiEEZNS1_14transform_implILb0ES3_S5_N6thrust23THRUST_200600_302600_NS6detail15normal_iteratorINS8_7pointerIfNS8_11hip_rocprim3tagENS8_11use_defaultESE_EEEENSA_INSB_IiSD_SE_SE_EEEEZNS1_13binary_searchIS3_S5_NSA_INS8_10device_ptrIfEEEESG_SI_NS1_16binary_search_opENS9_16wrapped_functionINS8_7greaterIfEEbEEEE10hipError_tPvRmT1_T2_T3_mmT4_T5_P12ihipStream_tbEUlRKfE_EESS_SW_SX_mSY_S11_bEUlT_E_NS1_11comp_targetILNS1_3genE8ELNS1_11target_archE1030ELNS1_3gpuE2ELNS1_3repE0EEENS1_30default_config_static_selectorELNS0_4arch9wavefront6targetE0EEEvSV_.num_vgpr, 0
	.set _ZN7rocprim17ROCPRIM_400000_NS6detail17trampoline_kernelINS0_14default_configENS1_29binary_search_config_selectorIfiEEZNS1_14transform_implILb0ES3_S5_N6thrust23THRUST_200600_302600_NS6detail15normal_iteratorINS8_7pointerIfNS8_11hip_rocprim3tagENS8_11use_defaultESE_EEEENSA_INSB_IiSD_SE_SE_EEEEZNS1_13binary_searchIS3_S5_NSA_INS8_10device_ptrIfEEEESG_SI_NS1_16binary_search_opENS9_16wrapped_functionINS8_7greaterIfEEbEEEE10hipError_tPvRmT1_T2_T3_mmT4_T5_P12ihipStream_tbEUlRKfE_EESS_SW_SX_mSY_S11_bEUlT_E_NS1_11comp_targetILNS1_3genE8ELNS1_11target_archE1030ELNS1_3gpuE2ELNS1_3repE0EEENS1_30default_config_static_selectorELNS0_4arch9wavefront6targetE0EEEvSV_.num_agpr, 0
	.set _ZN7rocprim17ROCPRIM_400000_NS6detail17trampoline_kernelINS0_14default_configENS1_29binary_search_config_selectorIfiEEZNS1_14transform_implILb0ES3_S5_N6thrust23THRUST_200600_302600_NS6detail15normal_iteratorINS8_7pointerIfNS8_11hip_rocprim3tagENS8_11use_defaultESE_EEEENSA_INSB_IiSD_SE_SE_EEEEZNS1_13binary_searchIS3_S5_NSA_INS8_10device_ptrIfEEEESG_SI_NS1_16binary_search_opENS9_16wrapped_functionINS8_7greaterIfEEbEEEE10hipError_tPvRmT1_T2_T3_mmT4_T5_P12ihipStream_tbEUlRKfE_EESS_SW_SX_mSY_S11_bEUlT_E_NS1_11comp_targetILNS1_3genE8ELNS1_11target_archE1030ELNS1_3gpuE2ELNS1_3repE0EEENS1_30default_config_static_selectorELNS0_4arch9wavefront6targetE0EEEvSV_.numbered_sgpr, 0
	.set _ZN7rocprim17ROCPRIM_400000_NS6detail17trampoline_kernelINS0_14default_configENS1_29binary_search_config_selectorIfiEEZNS1_14transform_implILb0ES3_S5_N6thrust23THRUST_200600_302600_NS6detail15normal_iteratorINS8_7pointerIfNS8_11hip_rocprim3tagENS8_11use_defaultESE_EEEENSA_INSB_IiSD_SE_SE_EEEEZNS1_13binary_searchIS3_S5_NSA_INS8_10device_ptrIfEEEESG_SI_NS1_16binary_search_opENS9_16wrapped_functionINS8_7greaterIfEEbEEEE10hipError_tPvRmT1_T2_T3_mmT4_T5_P12ihipStream_tbEUlRKfE_EESS_SW_SX_mSY_S11_bEUlT_E_NS1_11comp_targetILNS1_3genE8ELNS1_11target_archE1030ELNS1_3gpuE2ELNS1_3repE0EEENS1_30default_config_static_selectorELNS0_4arch9wavefront6targetE0EEEvSV_.num_named_barrier, 0
	.set _ZN7rocprim17ROCPRIM_400000_NS6detail17trampoline_kernelINS0_14default_configENS1_29binary_search_config_selectorIfiEEZNS1_14transform_implILb0ES3_S5_N6thrust23THRUST_200600_302600_NS6detail15normal_iteratorINS8_7pointerIfNS8_11hip_rocprim3tagENS8_11use_defaultESE_EEEENSA_INSB_IiSD_SE_SE_EEEEZNS1_13binary_searchIS3_S5_NSA_INS8_10device_ptrIfEEEESG_SI_NS1_16binary_search_opENS9_16wrapped_functionINS8_7greaterIfEEbEEEE10hipError_tPvRmT1_T2_T3_mmT4_T5_P12ihipStream_tbEUlRKfE_EESS_SW_SX_mSY_S11_bEUlT_E_NS1_11comp_targetILNS1_3genE8ELNS1_11target_archE1030ELNS1_3gpuE2ELNS1_3repE0EEENS1_30default_config_static_selectorELNS0_4arch9wavefront6targetE0EEEvSV_.private_seg_size, 0
	.set _ZN7rocprim17ROCPRIM_400000_NS6detail17trampoline_kernelINS0_14default_configENS1_29binary_search_config_selectorIfiEEZNS1_14transform_implILb0ES3_S5_N6thrust23THRUST_200600_302600_NS6detail15normal_iteratorINS8_7pointerIfNS8_11hip_rocprim3tagENS8_11use_defaultESE_EEEENSA_INSB_IiSD_SE_SE_EEEEZNS1_13binary_searchIS3_S5_NSA_INS8_10device_ptrIfEEEESG_SI_NS1_16binary_search_opENS9_16wrapped_functionINS8_7greaterIfEEbEEEE10hipError_tPvRmT1_T2_T3_mmT4_T5_P12ihipStream_tbEUlRKfE_EESS_SW_SX_mSY_S11_bEUlT_E_NS1_11comp_targetILNS1_3genE8ELNS1_11target_archE1030ELNS1_3gpuE2ELNS1_3repE0EEENS1_30default_config_static_selectorELNS0_4arch9wavefront6targetE0EEEvSV_.uses_vcc, 0
	.set _ZN7rocprim17ROCPRIM_400000_NS6detail17trampoline_kernelINS0_14default_configENS1_29binary_search_config_selectorIfiEEZNS1_14transform_implILb0ES3_S5_N6thrust23THRUST_200600_302600_NS6detail15normal_iteratorINS8_7pointerIfNS8_11hip_rocprim3tagENS8_11use_defaultESE_EEEENSA_INSB_IiSD_SE_SE_EEEEZNS1_13binary_searchIS3_S5_NSA_INS8_10device_ptrIfEEEESG_SI_NS1_16binary_search_opENS9_16wrapped_functionINS8_7greaterIfEEbEEEE10hipError_tPvRmT1_T2_T3_mmT4_T5_P12ihipStream_tbEUlRKfE_EESS_SW_SX_mSY_S11_bEUlT_E_NS1_11comp_targetILNS1_3genE8ELNS1_11target_archE1030ELNS1_3gpuE2ELNS1_3repE0EEENS1_30default_config_static_selectorELNS0_4arch9wavefront6targetE0EEEvSV_.uses_flat_scratch, 0
	.set _ZN7rocprim17ROCPRIM_400000_NS6detail17trampoline_kernelINS0_14default_configENS1_29binary_search_config_selectorIfiEEZNS1_14transform_implILb0ES3_S5_N6thrust23THRUST_200600_302600_NS6detail15normal_iteratorINS8_7pointerIfNS8_11hip_rocprim3tagENS8_11use_defaultESE_EEEENSA_INSB_IiSD_SE_SE_EEEEZNS1_13binary_searchIS3_S5_NSA_INS8_10device_ptrIfEEEESG_SI_NS1_16binary_search_opENS9_16wrapped_functionINS8_7greaterIfEEbEEEE10hipError_tPvRmT1_T2_T3_mmT4_T5_P12ihipStream_tbEUlRKfE_EESS_SW_SX_mSY_S11_bEUlT_E_NS1_11comp_targetILNS1_3genE8ELNS1_11target_archE1030ELNS1_3gpuE2ELNS1_3repE0EEENS1_30default_config_static_selectorELNS0_4arch9wavefront6targetE0EEEvSV_.has_dyn_sized_stack, 0
	.set _ZN7rocprim17ROCPRIM_400000_NS6detail17trampoline_kernelINS0_14default_configENS1_29binary_search_config_selectorIfiEEZNS1_14transform_implILb0ES3_S5_N6thrust23THRUST_200600_302600_NS6detail15normal_iteratorINS8_7pointerIfNS8_11hip_rocprim3tagENS8_11use_defaultESE_EEEENSA_INSB_IiSD_SE_SE_EEEEZNS1_13binary_searchIS3_S5_NSA_INS8_10device_ptrIfEEEESG_SI_NS1_16binary_search_opENS9_16wrapped_functionINS8_7greaterIfEEbEEEE10hipError_tPvRmT1_T2_T3_mmT4_T5_P12ihipStream_tbEUlRKfE_EESS_SW_SX_mSY_S11_bEUlT_E_NS1_11comp_targetILNS1_3genE8ELNS1_11target_archE1030ELNS1_3gpuE2ELNS1_3repE0EEENS1_30default_config_static_selectorELNS0_4arch9wavefront6targetE0EEEvSV_.has_recursion, 0
	.set _ZN7rocprim17ROCPRIM_400000_NS6detail17trampoline_kernelINS0_14default_configENS1_29binary_search_config_selectorIfiEEZNS1_14transform_implILb0ES3_S5_N6thrust23THRUST_200600_302600_NS6detail15normal_iteratorINS8_7pointerIfNS8_11hip_rocprim3tagENS8_11use_defaultESE_EEEENSA_INSB_IiSD_SE_SE_EEEEZNS1_13binary_searchIS3_S5_NSA_INS8_10device_ptrIfEEEESG_SI_NS1_16binary_search_opENS9_16wrapped_functionINS8_7greaterIfEEbEEEE10hipError_tPvRmT1_T2_T3_mmT4_T5_P12ihipStream_tbEUlRKfE_EESS_SW_SX_mSY_S11_bEUlT_E_NS1_11comp_targetILNS1_3genE8ELNS1_11target_archE1030ELNS1_3gpuE2ELNS1_3repE0EEENS1_30default_config_static_selectorELNS0_4arch9wavefront6targetE0EEEvSV_.has_indirect_call, 0
	.section	.AMDGPU.csdata,"",@progbits
; Kernel info:
; codeLenInByte = 0
; TotalNumSgprs: 0
; NumVgprs: 0
; ScratchSize: 0
; MemoryBound: 0
; FloatMode: 240
; IeeeMode: 1
; LDSByteSize: 0 bytes/workgroup (compile time only)
; SGPRBlocks: 0
; VGPRBlocks: 0
; NumSGPRsForWavesPerEU: 1
; NumVGPRsForWavesPerEU: 1
; NamedBarCnt: 0
; Occupancy: 16
; WaveLimiterHint : 0
; COMPUTE_PGM_RSRC2:SCRATCH_EN: 0
; COMPUTE_PGM_RSRC2:USER_SGPR: 2
; COMPUTE_PGM_RSRC2:TRAP_HANDLER: 0
; COMPUTE_PGM_RSRC2:TGID_X_EN: 1
; COMPUTE_PGM_RSRC2:TGID_Y_EN: 0
; COMPUTE_PGM_RSRC2:TGID_Z_EN: 0
; COMPUTE_PGM_RSRC2:TIDIG_COMP_CNT: 0
	.section	.text._ZN7rocprim17ROCPRIM_400000_NS6detail17trampoline_kernelINS0_14default_configENS1_29binary_search_config_selectorI14custom_numericiEEZNS1_14transform_implILb0ES3_S6_N6thrust23THRUST_200600_302600_NS6detail15normal_iteratorINS9_7pointerIS5_NS9_11hip_rocprim3tagENS9_11use_defaultESF_EEEENSB_INSC_IiSE_SF_SF_EEEEZNS1_13binary_searchIS3_S6_NSB_INS9_10device_ptrIS5_EEEESH_SJ_NS1_16binary_search_opENSA_16wrapped_functionINS9_7greaterIS5_EEbEEEE10hipError_tPvRmT1_T2_T3_mmT4_T5_P12ihipStream_tbEUlRKS5_E_EEST_SX_SY_mSZ_S12_bEUlT_E_NS1_11comp_targetILNS1_3genE0ELNS1_11target_archE4294967295ELNS1_3gpuE0ELNS1_3repE0EEENS1_30default_config_static_selectorELNS0_4arch9wavefront6targetE0EEEvSW_,"axG",@progbits,_ZN7rocprim17ROCPRIM_400000_NS6detail17trampoline_kernelINS0_14default_configENS1_29binary_search_config_selectorI14custom_numericiEEZNS1_14transform_implILb0ES3_S6_N6thrust23THRUST_200600_302600_NS6detail15normal_iteratorINS9_7pointerIS5_NS9_11hip_rocprim3tagENS9_11use_defaultESF_EEEENSB_INSC_IiSE_SF_SF_EEEEZNS1_13binary_searchIS3_S6_NSB_INS9_10device_ptrIS5_EEEESH_SJ_NS1_16binary_search_opENSA_16wrapped_functionINS9_7greaterIS5_EEbEEEE10hipError_tPvRmT1_T2_T3_mmT4_T5_P12ihipStream_tbEUlRKS5_E_EEST_SX_SY_mSZ_S12_bEUlT_E_NS1_11comp_targetILNS1_3genE0ELNS1_11target_archE4294967295ELNS1_3gpuE0ELNS1_3repE0EEENS1_30default_config_static_selectorELNS0_4arch9wavefront6targetE0EEEvSW_,comdat
	.protected	_ZN7rocprim17ROCPRIM_400000_NS6detail17trampoline_kernelINS0_14default_configENS1_29binary_search_config_selectorI14custom_numericiEEZNS1_14transform_implILb0ES3_S6_N6thrust23THRUST_200600_302600_NS6detail15normal_iteratorINS9_7pointerIS5_NS9_11hip_rocprim3tagENS9_11use_defaultESF_EEEENSB_INSC_IiSE_SF_SF_EEEEZNS1_13binary_searchIS3_S6_NSB_INS9_10device_ptrIS5_EEEESH_SJ_NS1_16binary_search_opENSA_16wrapped_functionINS9_7greaterIS5_EEbEEEE10hipError_tPvRmT1_T2_T3_mmT4_T5_P12ihipStream_tbEUlRKS5_E_EEST_SX_SY_mSZ_S12_bEUlT_E_NS1_11comp_targetILNS1_3genE0ELNS1_11target_archE4294967295ELNS1_3gpuE0ELNS1_3repE0EEENS1_30default_config_static_selectorELNS0_4arch9wavefront6targetE0EEEvSW_ ; -- Begin function _ZN7rocprim17ROCPRIM_400000_NS6detail17trampoline_kernelINS0_14default_configENS1_29binary_search_config_selectorI14custom_numericiEEZNS1_14transform_implILb0ES3_S6_N6thrust23THRUST_200600_302600_NS6detail15normal_iteratorINS9_7pointerIS5_NS9_11hip_rocprim3tagENS9_11use_defaultESF_EEEENSB_INSC_IiSE_SF_SF_EEEEZNS1_13binary_searchIS3_S6_NSB_INS9_10device_ptrIS5_EEEESH_SJ_NS1_16binary_search_opENSA_16wrapped_functionINS9_7greaterIS5_EEbEEEE10hipError_tPvRmT1_T2_T3_mmT4_T5_P12ihipStream_tbEUlRKS5_E_EEST_SX_SY_mSZ_S12_bEUlT_E_NS1_11comp_targetILNS1_3genE0ELNS1_11target_archE4294967295ELNS1_3gpuE0ELNS1_3repE0EEENS1_30default_config_static_selectorELNS0_4arch9wavefront6targetE0EEEvSW_
	.globl	_ZN7rocprim17ROCPRIM_400000_NS6detail17trampoline_kernelINS0_14default_configENS1_29binary_search_config_selectorI14custom_numericiEEZNS1_14transform_implILb0ES3_S6_N6thrust23THRUST_200600_302600_NS6detail15normal_iteratorINS9_7pointerIS5_NS9_11hip_rocprim3tagENS9_11use_defaultESF_EEEENSB_INSC_IiSE_SF_SF_EEEEZNS1_13binary_searchIS3_S6_NSB_INS9_10device_ptrIS5_EEEESH_SJ_NS1_16binary_search_opENSA_16wrapped_functionINS9_7greaterIS5_EEbEEEE10hipError_tPvRmT1_T2_T3_mmT4_T5_P12ihipStream_tbEUlRKS5_E_EEST_SX_SY_mSZ_S12_bEUlT_E_NS1_11comp_targetILNS1_3genE0ELNS1_11target_archE4294967295ELNS1_3gpuE0ELNS1_3repE0EEENS1_30default_config_static_selectorELNS0_4arch9wavefront6targetE0EEEvSW_
	.p2align	8
	.type	_ZN7rocprim17ROCPRIM_400000_NS6detail17trampoline_kernelINS0_14default_configENS1_29binary_search_config_selectorI14custom_numericiEEZNS1_14transform_implILb0ES3_S6_N6thrust23THRUST_200600_302600_NS6detail15normal_iteratorINS9_7pointerIS5_NS9_11hip_rocprim3tagENS9_11use_defaultESF_EEEENSB_INSC_IiSE_SF_SF_EEEEZNS1_13binary_searchIS3_S6_NSB_INS9_10device_ptrIS5_EEEESH_SJ_NS1_16binary_search_opENSA_16wrapped_functionINS9_7greaterIS5_EEbEEEE10hipError_tPvRmT1_T2_T3_mmT4_T5_P12ihipStream_tbEUlRKS5_E_EEST_SX_SY_mSZ_S12_bEUlT_E_NS1_11comp_targetILNS1_3genE0ELNS1_11target_archE4294967295ELNS1_3gpuE0ELNS1_3repE0EEENS1_30default_config_static_selectorELNS0_4arch9wavefront6targetE0EEEvSW_,@function
_ZN7rocprim17ROCPRIM_400000_NS6detail17trampoline_kernelINS0_14default_configENS1_29binary_search_config_selectorI14custom_numericiEEZNS1_14transform_implILb0ES3_S6_N6thrust23THRUST_200600_302600_NS6detail15normal_iteratorINS9_7pointerIS5_NS9_11hip_rocprim3tagENS9_11use_defaultESF_EEEENSB_INSC_IiSE_SF_SF_EEEEZNS1_13binary_searchIS3_S6_NSB_INS9_10device_ptrIS5_EEEESH_SJ_NS1_16binary_search_opENSA_16wrapped_functionINS9_7greaterIS5_EEbEEEE10hipError_tPvRmT1_T2_T3_mmT4_T5_P12ihipStream_tbEUlRKS5_E_EEST_SX_SY_mSZ_S12_bEUlT_E_NS1_11comp_targetILNS1_3genE0ELNS1_11target_archE4294967295ELNS1_3gpuE0ELNS1_3repE0EEENS1_30default_config_static_selectorELNS0_4arch9wavefront6targetE0EEEvSW_: ; @_ZN7rocprim17ROCPRIM_400000_NS6detail17trampoline_kernelINS0_14default_configENS1_29binary_search_config_selectorI14custom_numericiEEZNS1_14transform_implILb0ES3_S6_N6thrust23THRUST_200600_302600_NS6detail15normal_iteratorINS9_7pointerIS5_NS9_11hip_rocprim3tagENS9_11use_defaultESF_EEEENSB_INSC_IiSE_SF_SF_EEEEZNS1_13binary_searchIS3_S6_NSB_INS9_10device_ptrIS5_EEEESH_SJ_NS1_16binary_search_opENSA_16wrapped_functionINS9_7greaterIS5_EEbEEEE10hipError_tPvRmT1_T2_T3_mmT4_T5_P12ihipStream_tbEUlRKS5_E_EEST_SX_SY_mSZ_S12_bEUlT_E_NS1_11comp_targetILNS1_3genE0ELNS1_11target_archE4294967295ELNS1_3gpuE0ELNS1_3repE0EEENS1_30default_config_static_selectorELNS0_4arch9wavefront6targetE0EEEvSW_
; %bb.0:
	s_clause 0x3
	s_load_b128 s[4:7], s[0:1], 0x0
	s_load_b32 s16, s[0:1], 0x38
	s_load_b64 s[12:13], s[0:1], 0x28
	s_load_b128 s[8:11], s[0:1], 0x18
	s_bfe_u32 s2, ttmp6, 0x4000c
	s_and_b32 s3, ttmp6, 15
	s_add_co_i32 s2, s2, 1
	s_getreg_b32 s14, hwreg(HW_REG_IB_STS2, 6, 4)
	s_mul_i32 s2, ttmp9, s2
	s_delay_alu instid0(SALU_CYCLE_1)
	s_add_co_i32 s3, s3, s2
	s_cmp_eq_u32 s14, 0
	s_cselect_b32 s17, ttmp9, s3
	s_mov_b32 s3, 0
	s_lshl_b32 s2, s17, 8
	s_wait_kmcnt 0x0
	s_mul_u64 s[14:15], s[6:7], 20
	s_add_co_i32 s16, s16, -1
	s_add_nc_u64 s[4:5], s[4:5], s[14:15]
	s_cmp_lg_u32 s17, s16
	s_mov_b32 s16, -1
	s_cbranch_scc0 .LBB176_6
; %bb.1:
	s_mul_u64 s[14:15], s[2:3], 20
	v_mov_b32_e32 v1, 0
	s_add_nc_u64 s[14:15], s[4:5], s[14:15]
	s_cmp_eq_u64 s[12:13], 0
	v_mad_nc_u64_u32 v[2:3], v0, 20, s[14:15]
	flat_load_b32 v6, v[2:3]
	s_wait_xcnt 0x0
	v_mov_b64_e32 v[2:3], 0
	s_cbranch_scc1 .LBB176_5
; %bb.2:
	v_mov_b64_e32 v[4:5], s[12:13]
	s_mov_b32 s14, 0
.LBB176_3:                              ; =>This Inner Loop Header: Depth=1
	s_delay_alu instid0(VALU_DEP_1) | instskip(NEXT) | instid1(VALU_DEP_1)
	v_sub_nc_u64_e32 v[8:9], v[4:5], v[2:3]
	v_lshrrev_b64 v[10:11], 1, v[8:9]
	v_lshrrev_b64 v[8:9], 6, v[8:9]
	s_delay_alu instid0(VALU_DEP_2) | instskip(NEXT) | instid1(VALU_DEP_1)
	v_add_nc_u64_e32 v[10:11], v[10:11], v[2:3]
	v_add_nc_u64_e32 v[8:9], v[10:11], v[8:9]
	s_delay_alu instid0(VALU_DEP_1) | instskip(NEXT) | instid1(VALU_DEP_1)
	v_mad_nc_u64_u32 v[10:11], v8, 20, s[10:11]
	v_mad_u32 v11, v9, 20, v11
	global_load_b32 v7, v[10:11], off
	s_wait_xcnt 0x0
	v_add_nc_u64_e32 v[10:11], 1, v[8:9]
	s_wait_loadcnt_dscnt 0x0
	v_cmp_gt_i32_e32 vcc_lo, v7, v6
	v_dual_cndmask_b32 v5, v9, v5 :: v_dual_cndmask_b32 v4, v8, v4
	s_delay_alu instid0(VALU_DEP_3) | instskip(NEXT) | instid1(VALU_DEP_1)
	v_dual_cndmask_b32 v3, v3, v11 :: v_dual_cndmask_b32 v2, v2, v10
	v_cmp_ge_u64_e32 vcc_lo, v[2:3], v[4:5]
	s_or_b32 s14, vcc_lo, s14
	s_delay_alu instid0(SALU_CYCLE_1)
	s_and_not1_b32 exec_lo, exec_lo, s14
	s_cbranch_execnz .LBB176_3
; %bb.4:
	s_or_b32 exec_lo, exec_lo, s14
.LBB176_5:
	s_delay_alu instid0(VALU_DEP_1)
	v_cmp_eq_u64_e64 s14, s[12:13], v[2:3]
	v_cmp_ne_u64_e64 s15, s[12:13], v[2:3]
	s_branch .LBB176_14
.LBB176_6:
	s_mov_b32 s15, s3
	s_mov_b32 s14, s3
                                        ; implicit-def: $vgpr6
                                        ; implicit-def: $vgpr2_vgpr3
	s_and_b32 vcc_lo, exec_lo, s16
	s_cbranch_vccz .LBB176_14
; %bb.7:
	s_load_b32 s0, s[0:1], 0x10
	s_wait_xcnt 0x0
	s_mov_b32 s1, exec_lo
                                        ; implicit-def: $vgpr6
                                        ; implicit-def: $vgpr2_vgpr3
	s_wait_kmcnt 0x0
	s_sub_co_i32 s0, s0, s2
	s_delay_alu instid0(SALU_CYCLE_1)
	v_cmpx_gt_u32_e64 s0, v0
	s_cbranch_execz .LBB176_13
; %bb.8:
	s_mul_u64 s[16:17], s[2:3], 20
	v_mov_b32_e32 v1, 0
	s_add_nc_u64 s[4:5], s[4:5], s[16:17]
	s_cmp_eq_u64 s[12:13], 0
	v_mad_nc_u64_u32 v[2:3], v0, 20, s[4:5]
	s_wait_loadcnt_dscnt 0x0
	flat_load_b32 v6, v[2:3]
	s_wait_xcnt 0x0
	v_mov_b64_e32 v[2:3], 0
	s_cbranch_scc1 .LBB176_12
; %bb.9:
	v_mov_b64_e32 v[4:5], s[12:13]
	s_mov_b32 s0, 0
.LBB176_10:                             ; =>This Inner Loop Header: Depth=1
	s_delay_alu instid0(VALU_DEP_1) | instskip(NEXT) | instid1(VALU_DEP_1)
	v_sub_nc_u64_e32 v[8:9], v[4:5], v[2:3]
	v_lshrrev_b64 v[10:11], 1, v[8:9]
	v_lshrrev_b64 v[8:9], 6, v[8:9]
	s_delay_alu instid0(VALU_DEP_2) | instskip(NEXT) | instid1(VALU_DEP_1)
	v_add_nc_u64_e32 v[10:11], v[10:11], v[2:3]
	v_add_nc_u64_e32 v[8:9], v[10:11], v[8:9]
	s_delay_alu instid0(VALU_DEP_1) | instskip(NEXT) | instid1(VALU_DEP_1)
	v_mad_nc_u64_u32 v[10:11], v8, 20, s[10:11]
	v_mad_u32 v11, v9, 20, v11
	global_load_b32 v7, v[10:11], off
	s_wait_xcnt 0x0
	v_add_nc_u64_e32 v[10:11], 1, v[8:9]
	s_wait_loadcnt_dscnt 0x0
	v_cmp_gt_i32_e32 vcc_lo, v7, v6
	v_dual_cndmask_b32 v5, v9, v5 :: v_dual_cndmask_b32 v4, v8, v4
	s_delay_alu instid0(VALU_DEP_3) | instskip(NEXT) | instid1(VALU_DEP_1)
	v_dual_cndmask_b32 v3, v3, v11 :: v_dual_cndmask_b32 v2, v2, v10
	v_cmp_ge_u64_e32 vcc_lo, v[2:3], v[4:5]
	s_or_b32 s0, vcc_lo, s0
	s_delay_alu instid0(SALU_CYCLE_1)
	s_and_not1_b32 exec_lo, exec_lo, s0
	s_cbranch_execnz .LBB176_10
; %bb.11:
	s_or_b32 exec_lo, exec_lo, s0
.LBB176_12:
	s_delay_alu instid0(VALU_DEP_1)
	v_cmp_eq_u64_e32 vcc_lo, s[12:13], v[2:3]
	v_cmp_ne_u64_e64 s0, s[12:13], v[2:3]
	s_and_not1_b32 s4, s14, exec_lo
	s_and_not1_b32 s5, s15, exec_lo
	s_and_b32 s12, vcc_lo, exec_lo
	s_and_b32 s0, s0, exec_lo
	s_or_b32 s14, s4, s12
	s_or_b32 s15, s5, s0
.LBB176_13:
	s_or_b32 exec_lo, exec_lo, s1
.LBB176_14:
	v_mov_b32_e32 v4, 0
	s_delay_alu instid0(VALU_DEP_2)
	s_and_saveexec_b32 s0, s15
	s_cbranch_execnz .LBB176_17
; %bb.15:
	s_or_b32 exec_lo, exec_lo, s0
	s_and_saveexec_b32 s0, s14
	s_cbranch_execnz .LBB176_18
.LBB176_16:
	s_endpgm
.LBB176_17:
	v_mad_nc_u64_u32 v[4:5], v2, 20, s[10:11]
	s_or_b32 s14, s14, exec_lo
	s_delay_alu instid0(VALU_DEP_1)
	v_mad_u32 v5, v3, 20, v5
	global_load_b32 v2, v[4:5], off
	s_wait_loadcnt_dscnt 0x0
	v_cmp_le_i32_e32 vcc_lo, v6, v2
	v_cndmask_b32_e64 v4, 0, 1, vcc_lo
	s_or_b32 exec_lo, exec_lo, s0
	s_and_saveexec_b32 s0, s14
	s_cbranch_execz .LBB176_16
.LBB176_18:
	s_lshl_b64 s[0:1], s[6:7], 2
	s_lshl_b64 s[2:3], s[2:3], 2
	s_add_nc_u64 s[0:1], s[8:9], s[0:1]
	s_delay_alu instid0(SALU_CYCLE_1) | instskip(NEXT) | instid1(SALU_CYCLE_1)
	s_add_nc_u64 s[0:1], s[0:1], s[2:3]
	v_lshl_add_u64 v[0:1], v[0:1], 2, s[0:1]
	flat_store_b32 v[0:1], v4
	s_endpgm
	.section	.rodata,"a",@progbits
	.p2align	6, 0x0
	.amdhsa_kernel _ZN7rocprim17ROCPRIM_400000_NS6detail17trampoline_kernelINS0_14default_configENS1_29binary_search_config_selectorI14custom_numericiEEZNS1_14transform_implILb0ES3_S6_N6thrust23THRUST_200600_302600_NS6detail15normal_iteratorINS9_7pointerIS5_NS9_11hip_rocprim3tagENS9_11use_defaultESF_EEEENSB_INSC_IiSE_SF_SF_EEEEZNS1_13binary_searchIS3_S6_NSB_INS9_10device_ptrIS5_EEEESH_SJ_NS1_16binary_search_opENSA_16wrapped_functionINS9_7greaterIS5_EEbEEEE10hipError_tPvRmT1_T2_T3_mmT4_T5_P12ihipStream_tbEUlRKS5_E_EEST_SX_SY_mSZ_S12_bEUlT_E_NS1_11comp_targetILNS1_3genE0ELNS1_11target_archE4294967295ELNS1_3gpuE0ELNS1_3repE0EEENS1_30default_config_static_selectorELNS0_4arch9wavefront6targetE0EEEvSW_
		.amdhsa_group_segment_fixed_size 0
		.amdhsa_private_segment_fixed_size 0
		.amdhsa_kernarg_size 312
		.amdhsa_user_sgpr_count 2
		.amdhsa_user_sgpr_dispatch_ptr 0
		.amdhsa_user_sgpr_queue_ptr 0
		.amdhsa_user_sgpr_kernarg_segment_ptr 1
		.amdhsa_user_sgpr_dispatch_id 0
		.amdhsa_user_sgpr_kernarg_preload_length 0
		.amdhsa_user_sgpr_kernarg_preload_offset 0
		.amdhsa_user_sgpr_private_segment_size 0
		.amdhsa_wavefront_size32 1
		.amdhsa_uses_dynamic_stack 0
		.amdhsa_enable_private_segment 0
		.amdhsa_system_sgpr_workgroup_id_x 1
		.amdhsa_system_sgpr_workgroup_id_y 0
		.amdhsa_system_sgpr_workgroup_id_z 0
		.amdhsa_system_sgpr_workgroup_info 0
		.amdhsa_system_vgpr_workitem_id 0
		.amdhsa_next_free_vgpr 12
		.amdhsa_next_free_sgpr 18
		.amdhsa_named_barrier_count 0
		.amdhsa_reserve_vcc 1
		.amdhsa_float_round_mode_32 0
		.amdhsa_float_round_mode_16_64 0
		.amdhsa_float_denorm_mode_32 3
		.amdhsa_float_denorm_mode_16_64 3
		.amdhsa_fp16_overflow 0
		.amdhsa_memory_ordered 1
		.amdhsa_forward_progress 1
		.amdhsa_inst_pref_size 6
		.amdhsa_round_robin_scheduling 0
		.amdhsa_exception_fp_ieee_invalid_op 0
		.amdhsa_exception_fp_denorm_src 0
		.amdhsa_exception_fp_ieee_div_zero 0
		.amdhsa_exception_fp_ieee_overflow 0
		.amdhsa_exception_fp_ieee_underflow 0
		.amdhsa_exception_fp_ieee_inexact 0
		.amdhsa_exception_int_div_zero 0
	.end_amdhsa_kernel
	.section	.text._ZN7rocprim17ROCPRIM_400000_NS6detail17trampoline_kernelINS0_14default_configENS1_29binary_search_config_selectorI14custom_numericiEEZNS1_14transform_implILb0ES3_S6_N6thrust23THRUST_200600_302600_NS6detail15normal_iteratorINS9_7pointerIS5_NS9_11hip_rocprim3tagENS9_11use_defaultESF_EEEENSB_INSC_IiSE_SF_SF_EEEEZNS1_13binary_searchIS3_S6_NSB_INS9_10device_ptrIS5_EEEESH_SJ_NS1_16binary_search_opENSA_16wrapped_functionINS9_7greaterIS5_EEbEEEE10hipError_tPvRmT1_T2_T3_mmT4_T5_P12ihipStream_tbEUlRKS5_E_EEST_SX_SY_mSZ_S12_bEUlT_E_NS1_11comp_targetILNS1_3genE0ELNS1_11target_archE4294967295ELNS1_3gpuE0ELNS1_3repE0EEENS1_30default_config_static_selectorELNS0_4arch9wavefront6targetE0EEEvSW_,"axG",@progbits,_ZN7rocprim17ROCPRIM_400000_NS6detail17trampoline_kernelINS0_14default_configENS1_29binary_search_config_selectorI14custom_numericiEEZNS1_14transform_implILb0ES3_S6_N6thrust23THRUST_200600_302600_NS6detail15normal_iteratorINS9_7pointerIS5_NS9_11hip_rocprim3tagENS9_11use_defaultESF_EEEENSB_INSC_IiSE_SF_SF_EEEEZNS1_13binary_searchIS3_S6_NSB_INS9_10device_ptrIS5_EEEESH_SJ_NS1_16binary_search_opENSA_16wrapped_functionINS9_7greaterIS5_EEbEEEE10hipError_tPvRmT1_T2_T3_mmT4_T5_P12ihipStream_tbEUlRKS5_E_EEST_SX_SY_mSZ_S12_bEUlT_E_NS1_11comp_targetILNS1_3genE0ELNS1_11target_archE4294967295ELNS1_3gpuE0ELNS1_3repE0EEENS1_30default_config_static_selectorELNS0_4arch9wavefront6targetE0EEEvSW_,comdat
.Lfunc_end176:
	.size	_ZN7rocprim17ROCPRIM_400000_NS6detail17trampoline_kernelINS0_14default_configENS1_29binary_search_config_selectorI14custom_numericiEEZNS1_14transform_implILb0ES3_S6_N6thrust23THRUST_200600_302600_NS6detail15normal_iteratorINS9_7pointerIS5_NS9_11hip_rocprim3tagENS9_11use_defaultESF_EEEENSB_INSC_IiSE_SF_SF_EEEEZNS1_13binary_searchIS3_S6_NSB_INS9_10device_ptrIS5_EEEESH_SJ_NS1_16binary_search_opENSA_16wrapped_functionINS9_7greaterIS5_EEbEEEE10hipError_tPvRmT1_T2_T3_mmT4_T5_P12ihipStream_tbEUlRKS5_E_EEST_SX_SY_mSZ_S12_bEUlT_E_NS1_11comp_targetILNS1_3genE0ELNS1_11target_archE4294967295ELNS1_3gpuE0ELNS1_3repE0EEENS1_30default_config_static_selectorELNS0_4arch9wavefront6targetE0EEEvSW_, .Lfunc_end176-_ZN7rocprim17ROCPRIM_400000_NS6detail17trampoline_kernelINS0_14default_configENS1_29binary_search_config_selectorI14custom_numericiEEZNS1_14transform_implILb0ES3_S6_N6thrust23THRUST_200600_302600_NS6detail15normal_iteratorINS9_7pointerIS5_NS9_11hip_rocprim3tagENS9_11use_defaultESF_EEEENSB_INSC_IiSE_SF_SF_EEEEZNS1_13binary_searchIS3_S6_NSB_INS9_10device_ptrIS5_EEEESH_SJ_NS1_16binary_search_opENSA_16wrapped_functionINS9_7greaterIS5_EEbEEEE10hipError_tPvRmT1_T2_T3_mmT4_T5_P12ihipStream_tbEUlRKS5_E_EEST_SX_SY_mSZ_S12_bEUlT_E_NS1_11comp_targetILNS1_3genE0ELNS1_11target_archE4294967295ELNS1_3gpuE0ELNS1_3repE0EEENS1_30default_config_static_selectorELNS0_4arch9wavefront6targetE0EEEvSW_
                                        ; -- End function
	.set _ZN7rocprim17ROCPRIM_400000_NS6detail17trampoline_kernelINS0_14default_configENS1_29binary_search_config_selectorI14custom_numericiEEZNS1_14transform_implILb0ES3_S6_N6thrust23THRUST_200600_302600_NS6detail15normal_iteratorINS9_7pointerIS5_NS9_11hip_rocprim3tagENS9_11use_defaultESF_EEEENSB_INSC_IiSE_SF_SF_EEEEZNS1_13binary_searchIS3_S6_NSB_INS9_10device_ptrIS5_EEEESH_SJ_NS1_16binary_search_opENSA_16wrapped_functionINS9_7greaterIS5_EEbEEEE10hipError_tPvRmT1_T2_T3_mmT4_T5_P12ihipStream_tbEUlRKS5_E_EEST_SX_SY_mSZ_S12_bEUlT_E_NS1_11comp_targetILNS1_3genE0ELNS1_11target_archE4294967295ELNS1_3gpuE0ELNS1_3repE0EEENS1_30default_config_static_selectorELNS0_4arch9wavefront6targetE0EEEvSW_.num_vgpr, 12
	.set _ZN7rocprim17ROCPRIM_400000_NS6detail17trampoline_kernelINS0_14default_configENS1_29binary_search_config_selectorI14custom_numericiEEZNS1_14transform_implILb0ES3_S6_N6thrust23THRUST_200600_302600_NS6detail15normal_iteratorINS9_7pointerIS5_NS9_11hip_rocprim3tagENS9_11use_defaultESF_EEEENSB_INSC_IiSE_SF_SF_EEEEZNS1_13binary_searchIS3_S6_NSB_INS9_10device_ptrIS5_EEEESH_SJ_NS1_16binary_search_opENSA_16wrapped_functionINS9_7greaterIS5_EEbEEEE10hipError_tPvRmT1_T2_T3_mmT4_T5_P12ihipStream_tbEUlRKS5_E_EEST_SX_SY_mSZ_S12_bEUlT_E_NS1_11comp_targetILNS1_3genE0ELNS1_11target_archE4294967295ELNS1_3gpuE0ELNS1_3repE0EEENS1_30default_config_static_selectorELNS0_4arch9wavefront6targetE0EEEvSW_.num_agpr, 0
	.set _ZN7rocprim17ROCPRIM_400000_NS6detail17trampoline_kernelINS0_14default_configENS1_29binary_search_config_selectorI14custom_numericiEEZNS1_14transform_implILb0ES3_S6_N6thrust23THRUST_200600_302600_NS6detail15normal_iteratorINS9_7pointerIS5_NS9_11hip_rocprim3tagENS9_11use_defaultESF_EEEENSB_INSC_IiSE_SF_SF_EEEEZNS1_13binary_searchIS3_S6_NSB_INS9_10device_ptrIS5_EEEESH_SJ_NS1_16binary_search_opENSA_16wrapped_functionINS9_7greaterIS5_EEbEEEE10hipError_tPvRmT1_T2_T3_mmT4_T5_P12ihipStream_tbEUlRKS5_E_EEST_SX_SY_mSZ_S12_bEUlT_E_NS1_11comp_targetILNS1_3genE0ELNS1_11target_archE4294967295ELNS1_3gpuE0ELNS1_3repE0EEENS1_30default_config_static_selectorELNS0_4arch9wavefront6targetE0EEEvSW_.numbered_sgpr, 18
	.set _ZN7rocprim17ROCPRIM_400000_NS6detail17trampoline_kernelINS0_14default_configENS1_29binary_search_config_selectorI14custom_numericiEEZNS1_14transform_implILb0ES3_S6_N6thrust23THRUST_200600_302600_NS6detail15normal_iteratorINS9_7pointerIS5_NS9_11hip_rocprim3tagENS9_11use_defaultESF_EEEENSB_INSC_IiSE_SF_SF_EEEEZNS1_13binary_searchIS3_S6_NSB_INS9_10device_ptrIS5_EEEESH_SJ_NS1_16binary_search_opENSA_16wrapped_functionINS9_7greaterIS5_EEbEEEE10hipError_tPvRmT1_T2_T3_mmT4_T5_P12ihipStream_tbEUlRKS5_E_EEST_SX_SY_mSZ_S12_bEUlT_E_NS1_11comp_targetILNS1_3genE0ELNS1_11target_archE4294967295ELNS1_3gpuE0ELNS1_3repE0EEENS1_30default_config_static_selectorELNS0_4arch9wavefront6targetE0EEEvSW_.num_named_barrier, 0
	.set _ZN7rocprim17ROCPRIM_400000_NS6detail17trampoline_kernelINS0_14default_configENS1_29binary_search_config_selectorI14custom_numericiEEZNS1_14transform_implILb0ES3_S6_N6thrust23THRUST_200600_302600_NS6detail15normal_iteratorINS9_7pointerIS5_NS9_11hip_rocprim3tagENS9_11use_defaultESF_EEEENSB_INSC_IiSE_SF_SF_EEEEZNS1_13binary_searchIS3_S6_NSB_INS9_10device_ptrIS5_EEEESH_SJ_NS1_16binary_search_opENSA_16wrapped_functionINS9_7greaterIS5_EEbEEEE10hipError_tPvRmT1_T2_T3_mmT4_T5_P12ihipStream_tbEUlRKS5_E_EEST_SX_SY_mSZ_S12_bEUlT_E_NS1_11comp_targetILNS1_3genE0ELNS1_11target_archE4294967295ELNS1_3gpuE0ELNS1_3repE0EEENS1_30default_config_static_selectorELNS0_4arch9wavefront6targetE0EEEvSW_.private_seg_size, 0
	.set _ZN7rocprim17ROCPRIM_400000_NS6detail17trampoline_kernelINS0_14default_configENS1_29binary_search_config_selectorI14custom_numericiEEZNS1_14transform_implILb0ES3_S6_N6thrust23THRUST_200600_302600_NS6detail15normal_iteratorINS9_7pointerIS5_NS9_11hip_rocprim3tagENS9_11use_defaultESF_EEEENSB_INSC_IiSE_SF_SF_EEEEZNS1_13binary_searchIS3_S6_NSB_INS9_10device_ptrIS5_EEEESH_SJ_NS1_16binary_search_opENSA_16wrapped_functionINS9_7greaterIS5_EEbEEEE10hipError_tPvRmT1_T2_T3_mmT4_T5_P12ihipStream_tbEUlRKS5_E_EEST_SX_SY_mSZ_S12_bEUlT_E_NS1_11comp_targetILNS1_3genE0ELNS1_11target_archE4294967295ELNS1_3gpuE0ELNS1_3repE0EEENS1_30default_config_static_selectorELNS0_4arch9wavefront6targetE0EEEvSW_.uses_vcc, 1
	.set _ZN7rocprim17ROCPRIM_400000_NS6detail17trampoline_kernelINS0_14default_configENS1_29binary_search_config_selectorI14custom_numericiEEZNS1_14transform_implILb0ES3_S6_N6thrust23THRUST_200600_302600_NS6detail15normal_iteratorINS9_7pointerIS5_NS9_11hip_rocprim3tagENS9_11use_defaultESF_EEEENSB_INSC_IiSE_SF_SF_EEEEZNS1_13binary_searchIS3_S6_NSB_INS9_10device_ptrIS5_EEEESH_SJ_NS1_16binary_search_opENSA_16wrapped_functionINS9_7greaterIS5_EEbEEEE10hipError_tPvRmT1_T2_T3_mmT4_T5_P12ihipStream_tbEUlRKS5_E_EEST_SX_SY_mSZ_S12_bEUlT_E_NS1_11comp_targetILNS1_3genE0ELNS1_11target_archE4294967295ELNS1_3gpuE0ELNS1_3repE0EEENS1_30default_config_static_selectorELNS0_4arch9wavefront6targetE0EEEvSW_.uses_flat_scratch, 0
	.set _ZN7rocprim17ROCPRIM_400000_NS6detail17trampoline_kernelINS0_14default_configENS1_29binary_search_config_selectorI14custom_numericiEEZNS1_14transform_implILb0ES3_S6_N6thrust23THRUST_200600_302600_NS6detail15normal_iteratorINS9_7pointerIS5_NS9_11hip_rocprim3tagENS9_11use_defaultESF_EEEENSB_INSC_IiSE_SF_SF_EEEEZNS1_13binary_searchIS3_S6_NSB_INS9_10device_ptrIS5_EEEESH_SJ_NS1_16binary_search_opENSA_16wrapped_functionINS9_7greaterIS5_EEbEEEE10hipError_tPvRmT1_T2_T3_mmT4_T5_P12ihipStream_tbEUlRKS5_E_EEST_SX_SY_mSZ_S12_bEUlT_E_NS1_11comp_targetILNS1_3genE0ELNS1_11target_archE4294967295ELNS1_3gpuE0ELNS1_3repE0EEENS1_30default_config_static_selectorELNS0_4arch9wavefront6targetE0EEEvSW_.has_dyn_sized_stack, 0
	.set _ZN7rocprim17ROCPRIM_400000_NS6detail17trampoline_kernelINS0_14default_configENS1_29binary_search_config_selectorI14custom_numericiEEZNS1_14transform_implILb0ES3_S6_N6thrust23THRUST_200600_302600_NS6detail15normal_iteratorINS9_7pointerIS5_NS9_11hip_rocprim3tagENS9_11use_defaultESF_EEEENSB_INSC_IiSE_SF_SF_EEEEZNS1_13binary_searchIS3_S6_NSB_INS9_10device_ptrIS5_EEEESH_SJ_NS1_16binary_search_opENSA_16wrapped_functionINS9_7greaterIS5_EEbEEEE10hipError_tPvRmT1_T2_T3_mmT4_T5_P12ihipStream_tbEUlRKS5_E_EEST_SX_SY_mSZ_S12_bEUlT_E_NS1_11comp_targetILNS1_3genE0ELNS1_11target_archE4294967295ELNS1_3gpuE0ELNS1_3repE0EEENS1_30default_config_static_selectorELNS0_4arch9wavefront6targetE0EEEvSW_.has_recursion, 0
	.set _ZN7rocprim17ROCPRIM_400000_NS6detail17trampoline_kernelINS0_14default_configENS1_29binary_search_config_selectorI14custom_numericiEEZNS1_14transform_implILb0ES3_S6_N6thrust23THRUST_200600_302600_NS6detail15normal_iteratorINS9_7pointerIS5_NS9_11hip_rocprim3tagENS9_11use_defaultESF_EEEENSB_INSC_IiSE_SF_SF_EEEEZNS1_13binary_searchIS3_S6_NSB_INS9_10device_ptrIS5_EEEESH_SJ_NS1_16binary_search_opENSA_16wrapped_functionINS9_7greaterIS5_EEbEEEE10hipError_tPvRmT1_T2_T3_mmT4_T5_P12ihipStream_tbEUlRKS5_E_EEST_SX_SY_mSZ_S12_bEUlT_E_NS1_11comp_targetILNS1_3genE0ELNS1_11target_archE4294967295ELNS1_3gpuE0ELNS1_3repE0EEENS1_30default_config_static_selectorELNS0_4arch9wavefront6targetE0EEEvSW_.has_indirect_call, 0
	.section	.AMDGPU.csdata,"",@progbits
; Kernel info:
; codeLenInByte = 748
; TotalNumSgprs: 20
; NumVgprs: 12
; ScratchSize: 0
; MemoryBound: 0
; FloatMode: 240
; IeeeMode: 1
; LDSByteSize: 0 bytes/workgroup (compile time only)
; SGPRBlocks: 0
; VGPRBlocks: 0
; NumSGPRsForWavesPerEU: 20
; NumVGPRsForWavesPerEU: 12
; NamedBarCnt: 0
; Occupancy: 16
; WaveLimiterHint : 0
; COMPUTE_PGM_RSRC2:SCRATCH_EN: 0
; COMPUTE_PGM_RSRC2:USER_SGPR: 2
; COMPUTE_PGM_RSRC2:TRAP_HANDLER: 0
; COMPUTE_PGM_RSRC2:TGID_X_EN: 1
; COMPUTE_PGM_RSRC2:TGID_Y_EN: 0
; COMPUTE_PGM_RSRC2:TGID_Z_EN: 0
; COMPUTE_PGM_RSRC2:TIDIG_COMP_CNT: 0
	.section	.text._ZN7rocprim17ROCPRIM_400000_NS6detail17trampoline_kernelINS0_14default_configENS1_29binary_search_config_selectorI14custom_numericiEEZNS1_14transform_implILb0ES3_S6_N6thrust23THRUST_200600_302600_NS6detail15normal_iteratorINS9_7pointerIS5_NS9_11hip_rocprim3tagENS9_11use_defaultESF_EEEENSB_INSC_IiSE_SF_SF_EEEEZNS1_13binary_searchIS3_S6_NSB_INS9_10device_ptrIS5_EEEESH_SJ_NS1_16binary_search_opENSA_16wrapped_functionINS9_7greaterIS5_EEbEEEE10hipError_tPvRmT1_T2_T3_mmT4_T5_P12ihipStream_tbEUlRKS5_E_EEST_SX_SY_mSZ_S12_bEUlT_E_NS1_11comp_targetILNS1_3genE5ELNS1_11target_archE942ELNS1_3gpuE9ELNS1_3repE0EEENS1_30default_config_static_selectorELNS0_4arch9wavefront6targetE0EEEvSW_,"axG",@progbits,_ZN7rocprim17ROCPRIM_400000_NS6detail17trampoline_kernelINS0_14default_configENS1_29binary_search_config_selectorI14custom_numericiEEZNS1_14transform_implILb0ES3_S6_N6thrust23THRUST_200600_302600_NS6detail15normal_iteratorINS9_7pointerIS5_NS9_11hip_rocprim3tagENS9_11use_defaultESF_EEEENSB_INSC_IiSE_SF_SF_EEEEZNS1_13binary_searchIS3_S6_NSB_INS9_10device_ptrIS5_EEEESH_SJ_NS1_16binary_search_opENSA_16wrapped_functionINS9_7greaterIS5_EEbEEEE10hipError_tPvRmT1_T2_T3_mmT4_T5_P12ihipStream_tbEUlRKS5_E_EEST_SX_SY_mSZ_S12_bEUlT_E_NS1_11comp_targetILNS1_3genE5ELNS1_11target_archE942ELNS1_3gpuE9ELNS1_3repE0EEENS1_30default_config_static_selectorELNS0_4arch9wavefront6targetE0EEEvSW_,comdat
	.protected	_ZN7rocprim17ROCPRIM_400000_NS6detail17trampoline_kernelINS0_14default_configENS1_29binary_search_config_selectorI14custom_numericiEEZNS1_14transform_implILb0ES3_S6_N6thrust23THRUST_200600_302600_NS6detail15normal_iteratorINS9_7pointerIS5_NS9_11hip_rocprim3tagENS9_11use_defaultESF_EEEENSB_INSC_IiSE_SF_SF_EEEEZNS1_13binary_searchIS3_S6_NSB_INS9_10device_ptrIS5_EEEESH_SJ_NS1_16binary_search_opENSA_16wrapped_functionINS9_7greaterIS5_EEbEEEE10hipError_tPvRmT1_T2_T3_mmT4_T5_P12ihipStream_tbEUlRKS5_E_EEST_SX_SY_mSZ_S12_bEUlT_E_NS1_11comp_targetILNS1_3genE5ELNS1_11target_archE942ELNS1_3gpuE9ELNS1_3repE0EEENS1_30default_config_static_selectorELNS0_4arch9wavefront6targetE0EEEvSW_ ; -- Begin function _ZN7rocprim17ROCPRIM_400000_NS6detail17trampoline_kernelINS0_14default_configENS1_29binary_search_config_selectorI14custom_numericiEEZNS1_14transform_implILb0ES3_S6_N6thrust23THRUST_200600_302600_NS6detail15normal_iteratorINS9_7pointerIS5_NS9_11hip_rocprim3tagENS9_11use_defaultESF_EEEENSB_INSC_IiSE_SF_SF_EEEEZNS1_13binary_searchIS3_S6_NSB_INS9_10device_ptrIS5_EEEESH_SJ_NS1_16binary_search_opENSA_16wrapped_functionINS9_7greaterIS5_EEbEEEE10hipError_tPvRmT1_T2_T3_mmT4_T5_P12ihipStream_tbEUlRKS5_E_EEST_SX_SY_mSZ_S12_bEUlT_E_NS1_11comp_targetILNS1_3genE5ELNS1_11target_archE942ELNS1_3gpuE9ELNS1_3repE0EEENS1_30default_config_static_selectorELNS0_4arch9wavefront6targetE0EEEvSW_
	.globl	_ZN7rocprim17ROCPRIM_400000_NS6detail17trampoline_kernelINS0_14default_configENS1_29binary_search_config_selectorI14custom_numericiEEZNS1_14transform_implILb0ES3_S6_N6thrust23THRUST_200600_302600_NS6detail15normal_iteratorINS9_7pointerIS5_NS9_11hip_rocprim3tagENS9_11use_defaultESF_EEEENSB_INSC_IiSE_SF_SF_EEEEZNS1_13binary_searchIS3_S6_NSB_INS9_10device_ptrIS5_EEEESH_SJ_NS1_16binary_search_opENSA_16wrapped_functionINS9_7greaterIS5_EEbEEEE10hipError_tPvRmT1_T2_T3_mmT4_T5_P12ihipStream_tbEUlRKS5_E_EEST_SX_SY_mSZ_S12_bEUlT_E_NS1_11comp_targetILNS1_3genE5ELNS1_11target_archE942ELNS1_3gpuE9ELNS1_3repE0EEENS1_30default_config_static_selectorELNS0_4arch9wavefront6targetE0EEEvSW_
	.p2align	8
	.type	_ZN7rocprim17ROCPRIM_400000_NS6detail17trampoline_kernelINS0_14default_configENS1_29binary_search_config_selectorI14custom_numericiEEZNS1_14transform_implILb0ES3_S6_N6thrust23THRUST_200600_302600_NS6detail15normal_iteratorINS9_7pointerIS5_NS9_11hip_rocprim3tagENS9_11use_defaultESF_EEEENSB_INSC_IiSE_SF_SF_EEEEZNS1_13binary_searchIS3_S6_NSB_INS9_10device_ptrIS5_EEEESH_SJ_NS1_16binary_search_opENSA_16wrapped_functionINS9_7greaterIS5_EEbEEEE10hipError_tPvRmT1_T2_T3_mmT4_T5_P12ihipStream_tbEUlRKS5_E_EEST_SX_SY_mSZ_S12_bEUlT_E_NS1_11comp_targetILNS1_3genE5ELNS1_11target_archE942ELNS1_3gpuE9ELNS1_3repE0EEENS1_30default_config_static_selectorELNS0_4arch9wavefront6targetE0EEEvSW_,@function
_ZN7rocprim17ROCPRIM_400000_NS6detail17trampoline_kernelINS0_14default_configENS1_29binary_search_config_selectorI14custom_numericiEEZNS1_14transform_implILb0ES3_S6_N6thrust23THRUST_200600_302600_NS6detail15normal_iteratorINS9_7pointerIS5_NS9_11hip_rocprim3tagENS9_11use_defaultESF_EEEENSB_INSC_IiSE_SF_SF_EEEEZNS1_13binary_searchIS3_S6_NSB_INS9_10device_ptrIS5_EEEESH_SJ_NS1_16binary_search_opENSA_16wrapped_functionINS9_7greaterIS5_EEbEEEE10hipError_tPvRmT1_T2_T3_mmT4_T5_P12ihipStream_tbEUlRKS5_E_EEST_SX_SY_mSZ_S12_bEUlT_E_NS1_11comp_targetILNS1_3genE5ELNS1_11target_archE942ELNS1_3gpuE9ELNS1_3repE0EEENS1_30default_config_static_selectorELNS0_4arch9wavefront6targetE0EEEvSW_: ; @_ZN7rocprim17ROCPRIM_400000_NS6detail17trampoline_kernelINS0_14default_configENS1_29binary_search_config_selectorI14custom_numericiEEZNS1_14transform_implILb0ES3_S6_N6thrust23THRUST_200600_302600_NS6detail15normal_iteratorINS9_7pointerIS5_NS9_11hip_rocprim3tagENS9_11use_defaultESF_EEEENSB_INSC_IiSE_SF_SF_EEEEZNS1_13binary_searchIS3_S6_NSB_INS9_10device_ptrIS5_EEEESH_SJ_NS1_16binary_search_opENSA_16wrapped_functionINS9_7greaterIS5_EEbEEEE10hipError_tPvRmT1_T2_T3_mmT4_T5_P12ihipStream_tbEUlRKS5_E_EEST_SX_SY_mSZ_S12_bEUlT_E_NS1_11comp_targetILNS1_3genE5ELNS1_11target_archE942ELNS1_3gpuE9ELNS1_3repE0EEENS1_30default_config_static_selectorELNS0_4arch9wavefront6targetE0EEEvSW_
; %bb.0:
	.section	.rodata,"a",@progbits
	.p2align	6, 0x0
	.amdhsa_kernel _ZN7rocprim17ROCPRIM_400000_NS6detail17trampoline_kernelINS0_14default_configENS1_29binary_search_config_selectorI14custom_numericiEEZNS1_14transform_implILb0ES3_S6_N6thrust23THRUST_200600_302600_NS6detail15normal_iteratorINS9_7pointerIS5_NS9_11hip_rocprim3tagENS9_11use_defaultESF_EEEENSB_INSC_IiSE_SF_SF_EEEEZNS1_13binary_searchIS3_S6_NSB_INS9_10device_ptrIS5_EEEESH_SJ_NS1_16binary_search_opENSA_16wrapped_functionINS9_7greaterIS5_EEbEEEE10hipError_tPvRmT1_T2_T3_mmT4_T5_P12ihipStream_tbEUlRKS5_E_EEST_SX_SY_mSZ_S12_bEUlT_E_NS1_11comp_targetILNS1_3genE5ELNS1_11target_archE942ELNS1_3gpuE9ELNS1_3repE0EEENS1_30default_config_static_selectorELNS0_4arch9wavefront6targetE0EEEvSW_
		.amdhsa_group_segment_fixed_size 0
		.amdhsa_private_segment_fixed_size 0
		.amdhsa_kernarg_size 56
		.amdhsa_user_sgpr_count 2
		.amdhsa_user_sgpr_dispatch_ptr 0
		.amdhsa_user_sgpr_queue_ptr 0
		.amdhsa_user_sgpr_kernarg_segment_ptr 1
		.amdhsa_user_sgpr_dispatch_id 0
		.amdhsa_user_sgpr_kernarg_preload_length 0
		.amdhsa_user_sgpr_kernarg_preload_offset 0
		.amdhsa_user_sgpr_private_segment_size 0
		.amdhsa_wavefront_size32 1
		.amdhsa_uses_dynamic_stack 0
		.amdhsa_enable_private_segment 0
		.amdhsa_system_sgpr_workgroup_id_x 1
		.amdhsa_system_sgpr_workgroup_id_y 0
		.amdhsa_system_sgpr_workgroup_id_z 0
		.amdhsa_system_sgpr_workgroup_info 0
		.amdhsa_system_vgpr_workitem_id 0
		.amdhsa_next_free_vgpr 1
		.amdhsa_next_free_sgpr 1
		.amdhsa_named_barrier_count 0
		.amdhsa_reserve_vcc 0
		.amdhsa_float_round_mode_32 0
		.amdhsa_float_round_mode_16_64 0
		.amdhsa_float_denorm_mode_32 3
		.amdhsa_float_denorm_mode_16_64 3
		.amdhsa_fp16_overflow 0
		.amdhsa_memory_ordered 1
		.amdhsa_forward_progress 1
		.amdhsa_inst_pref_size 0
		.amdhsa_round_robin_scheduling 0
		.amdhsa_exception_fp_ieee_invalid_op 0
		.amdhsa_exception_fp_denorm_src 0
		.amdhsa_exception_fp_ieee_div_zero 0
		.amdhsa_exception_fp_ieee_overflow 0
		.amdhsa_exception_fp_ieee_underflow 0
		.amdhsa_exception_fp_ieee_inexact 0
		.amdhsa_exception_int_div_zero 0
	.end_amdhsa_kernel
	.section	.text._ZN7rocprim17ROCPRIM_400000_NS6detail17trampoline_kernelINS0_14default_configENS1_29binary_search_config_selectorI14custom_numericiEEZNS1_14transform_implILb0ES3_S6_N6thrust23THRUST_200600_302600_NS6detail15normal_iteratorINS9_7pointerIS5_NS9_11hip_rocprim3tagENS9_11use_defaultESF_EEEENSB_INSC_IiSE_SF_SF_EEEEZNS1_13binary_searchIS3_S6_NSB_INS9_10device_ptrIS5_EEEESH_SJ_NS1_16binary_search_opENSA_16wrapped_functionINS9_7greaterIS5_EEbEEEE10hipError_tPvRmT1_T2_T3_mmT4_T5_P12ihipStream_tbEUlRKS5_E_EEST_SX_SY_mSZ_S12_bEUlT_E_NS1_11comp_targetILNS1_3genE5ELNS1_11target_archE942ELNS1_3gpuE9ELNS1_3repE0EEENS1_30default_config_static_selectorELNS0_4arch9wavefront6targetE0EEEvSW_,"axG",@progbits,_ZN7rocprim17ROCPRIM_400000_NS6detail17trampoline_kernelINS0_14default_configENS1_29binary_search_config_selectorI14custom_numericiEEZNS1_14transform_implILb0ES3_S6_N6thrust23THRUST_200600_302600_NS6detail15normal_iteratorINS9_7pointerIS5_NS9_11hip_rocprim3tagENS9_11use_defaultESF_EEEENSB_INSC_IiSE_SF_SF_EEEEZNS1_13binary_searchIS3_S6_NSB_INS9_10device_ptrIS5_EEEESH_SJ_NS1_16binary_search_opENSA_16wrapped_functionINS9_7greaterIS5_EEbEEEE10hipError_tPvRmT1_T2_T3_mmT4_T5_P12ihipStream_tbEUlRKS5_E_EEST_SX_SY_mSZ_S12_bEUlT_E_NS1_11comp_targetILNS1_3genE5ELNS1_11target_archE942ELNS1_3gpuE9ELNS1_3repE0EEENS1_30default_config_static_selectorELNS0_4arch9wavefront6targetE0EEEvSW_,comdat
.Lfunc_end177:
	.size	_ZN7rocprim17ROCPRIM_400000_NS6detail17trampoline_kernelINS0_14default_configENS1_29binary_search_config_selectorI14custom_numericiEEZNS1_14transform_implILb0ES3_S6_N6thrust23THRUST_200600_302600_NS6detail15normal_iteratorINS9_7pointerIS5_NS9_11hip_rocprim3tagENS9_11use_defaultESF_EEEENSB_INSC_IiSE_SF_SF_EEEEZNS1_13binary_searchIS3_S6_NSB_INS9_10device_ptrIS5_EEEESH_SJ_NS1_16binary_search_opENSA_16wrapped_functionINS9_7greaterIS5_EEbEEEE10hipError_tPvRmT1_T2_T3_mmT4_T5_P12ihipStream_tbEUlRKS5_E_EEST_SX_SY_mSZ_S12_bEUlT_E_NS1_11comp_targetILNS1_3genE5ELNS1_11target_archE942ELNS1_3gpuE9ELNS1_3repE0EEENS1_30default_config_static_selectorELNS0_4arch9wavefront6targetE0EEEvSW_, .Lfunc_end177-_ZN7rocprim17ROCPRIM_400000_NS6detail17trampoline_kernelINS0_14default_configENS1_29binary_search_config_selectorI14custom_numericiEEZNS1_14transform_implILb0ES3_S6_N6thrust23THRUST_200600_302600_NS6detail15normal_iteratorINS9_7pointerIS5_NS9_11hip_rocprim3tagENS9_11use_defaultESF_EEEENSB_INSC_IiSE_SF_SF_EEEEZNS1_13binary_searchIS3_S6_NSB_INS9_10device_ptrIS5_EEEESH_SJ_NS1_16binary_search_opENSA_16wrapped_functionINS9_7greaterIS5_EEbEEEE10hipError_tPvRmT1_T2_T3_mmT4_T5_P12ihipStream_tbEUlRKS5_E_EEST_SX_SY_mSZ_S12_bEUlT_E_NS1_11comp_targetILNS1_3genE5ELNS1_11target_archE942ELNS1_3gpuE9ELNS1_3repE0EEENS1_30default_config_static_selectorELNS0_4arch9wavefront6targetE0EEEvSW_
                                        ; -- End function
	.set _ZN7rocprim17ROCPRIM_400000_NS6detail17trampoline_kernelINS0_14default_configENS1_29binary_search_config_selectorI14custom_numericiEEZNS1_14transform_implILb0ES3_S6_N6thrust23THRUST_200600_302600_NS6detail15normal_iteratorINS9_7pointerIS5_NS9_11hip_rocprim3tagENS9_11use_defaultESF_EEEENSB_INSC_IiSE_SF_SF_EEEEZNS1_13binary_searchIS3_S6_NSB_INS9_10device_ptrIS5_EEEESH_SJ_NS1_16binary_search_opENSA_16wrapped_functionINS9_7greaterIS5_EEbEEEE10hipError_tPvRmT1_T2_T3_mmT4_T5_P12ihipStream_tbEUlRKS5_E_EEST_SX_SY_mSZ_S12_bEUlT_E_NS1_11comp_targetILNS1_3genE5ELNS1_11target_archE942ELNS1_3gpuE9ELNS1_3repE0EEENS1_30default_config_static_selectorELNS0_4arch9wavefront6targetE0EEEvSW_.num_vgpr, 0
	.set _ZN7rocprim17ROCPRIM_400000_NS6detail17trampoline_kernelINS0_14default_configENS1_29binary_search_config_selectorI14custom_numericiEEZNS1_14transform_implILb0ES3_S6_N6thrust23THRUST_200600_302600_NS6detail15normal_iteratorINS9_7pointerIS5_NS9_11hip_rocprim3tagENS9_11use_defaultESF_EEEENSB_INSC_IiSE_SF_SF_EEEEZNS1_13binary_searchIS3_S6_NSB_INS9_10device_ptrIS5_EEEESH_SJ_NS1_16binary_search_opENSA_16wrapped_functionINS9_7greaterIS5_EEbEEEE10hipError_tPvRmT1_T2_T3_mmT4_T5_P12ihipStream_tbEUlRKS5_E_EEST_SX_SY_mSZ_S12_bEUlT_E_NS1_11comp_targetILNS1_3genE5ELNS1_11target_archE942ELNS1_3gpuE9ELNS1_3repE0EEENS1_30default_config_static_selectorELNS0_4arch9wavefront6targetE0EEEvSW_.num_agpr, 0
	.set _ZN7rocprim17ROCPRIM_400000_NS6detail17trampoline_kernelINS0_14default_configENS1_29binary_search_config_selectorI14custom_numericiEEZNS1_14transform_implILb0ES3_S6_N6thrust23THRUST_200600_302600_NS6detail15normal_iteratorINS9_7pointerIS5_NS9_11hip_rocprim3tagENS9_11use_defaultESF_EEEENSB_INSC_IiSE_SF_SF_EEEEZNS1_13binary_searchIS3_S6_NSB_INS9_10device_ptrIS5_EEEESH_SJ_NS1_16binary_search_opENSA_16wrapped_functionINS9_7greaterIS5_EEbEEEE10hipError_tPvRmT1_T2_T3_mmT4_T5_P12ihipStream_tbEUlRKS5_E_EEST_SX_SY_mSZ_S12_bEUlT_E_NS1_11comp_targetILNS1_3genE5ELNS1_11target_archE942ELNS1_3gpuE9ELNS1_3repE0EEENS1_30default_config_static_selectorELNS0_4arch9wavefront6targetE0EEEvSW_.numbered_sgpr, 0
	.set _ZN7rocprim17ROCPRIM_400000_NS6detail17trampoline_kernelINS0_14default_configENS1_29binary_search_config_selectorI14custom_numericiEEZNS1_14transform_implILb0ES3_S6_N6thrust23THRUST_200600_302600_NS6detail15normal_iteratorINS9_7pointerIS5_NS9_11hip_rocprim3tagENS9_11use_defaultESF_EEEENSB_INSC_IiSE_SF_SF_EEEEZNS1_13binary_searchIS3_S6_NSB_INS9_10device_ptrIS5_EEEESH_SJ_NS1_16binary_search_opENSA_16wrapped_functionINS9_7greaterIS5_EEbEEEE10hipError_tPvRmT1_T2_T3_mmT4_T5_P12ihipStream_tbEUlRKS5_E_EEST_SX_SY_mSZ_S12_bEUlT_E_NS1_11comp_targetILNS1_3genE5ELNS1_11target_archE942ELNS1_3gpuE9ELNS1_3repE0EEENS1_30default_config_static_selectorELNS0_4arch9wavefront6targetE0EEEvSW_.num_named_barrier, 0
	.set _ZN7rocprim17ROCPRIM_400000_NS6detail17trampoline_kernelINS0_14default_configENS1_29binary_search_config_selectorI14custom_numericiEEZNS1_14transform_implILb0ES3_S6_N6thrust23THRUST_200600_302600_NS6detail15normal_iteratorINS9_7pointerIS5_NS9_11hip_rocprim3tagENS9_11use_defaultESF_EEEENSB_INSC_IiSE_SF_SF_EEEEZNS1_13binary_searchIS3_S6_NSB_INS9_10device_ptrIS5_EEEESH_SJ_NS1_16binary_search_opENSA_16wrapped_functionINS9_7greaterIS5_EEbEEEE10hipError_tPvRmT1_T2_T3_mmT4_T5_P12ihipStream_tbEUlRKS5_E_EEST_SX_SY_mSZ_S12_bEUlT_E_NS1_11comp_targetILNS1_3genE5ELNS1_11target_archE942ELNS1_3gpuE9ELNS1_3repE0EEENS1_30default_config_static_selectorELNS0_4arch9wavefront6targetE0EEEvSW_.private_seg_size, 0
	.set _ZN7rocprim17ROCPRIM_400000_NS6detail17trampoline_kernelINS0_14default_configENS1_29binary_search_config_selectorI14custom_numericiEEZNS1_14transform_implILb0ES3_S6_N6thrust23THRUST_200600_302600_NS6detail15normal_iteratorINS9_7pointerIS5_NS9_11hip_rocprim3tagENS9_11use_defaultESF_EEEENSB_INSC_IiSE_SF_SF_EEEEZNS1_13binary_searchIS3_S6_NSB_INS9_10device_ptrIS5_EEEESH_SJ_NS1_16binary_search_opENSA_16wrapped_functionINS9_7greaterIS5_EEbEEEE10hipError_tPvRmT1_T2_T3_mmT4_T5_P12ihipStream_tbEUlRKS5_E_EEST_SX_SY_mSZ_S12_bEUlT_E_NS1_11comp_targetILNS1_3genE5ELNS1_11target_archE942ELNS1_3gpuE9ELNS1_3repE0EEENS1_30default_config_static_selectorELNS0_4arch9wavefront6targetE0EEEvSW_.uses_vcc, 0
	.set _ZN7rocprim17ROCPRIM_400000_NS6detail17trampoline_kernelINS0_14default_configENS1_29binary_search_config_selectorI14custom_numericiEEZNS1_14transform_implILb0ES3_S6_N6thrust23THRUST_200600_302600_NS6detail15normal_iteratorINS9_7pointerIS5_NS9_11hip_rocprim3tagENS9_11use_defaultESF_EEEENSB_INSC_IiSE_SF_SF_EEEEZNS1_13binary_searchIS3_S6_NSB_INS9_10device_ptrIS5_EEEESH_SJ_NS1_16binary_search_opENSA_16wrapped_functionINS9_7greaterIS5_EEbEEEE10hipError_tPvRmT1_T2_T3_mmT4_T5_P12ihipStream_tbEUlRKS5_E_EEST_SX_SY_mSZ_S12_bEUlT_E_NS1_11comp_targetILNS1_3genE5ELNS1_11target_archE942ELNS1_3gpuE9ELNS1_3repE0EEENS1_30default_config_static_selectorELNS0_4arch9wavefront6targetE0EEEvSW_.uses_flat_scratch, 0
	.set _ZN7rocprim17ROCPRIM_400000_NS6detail17trampoline_kernelINS0_14default_configENS1_29binary_search_config_selectorI14custom_numericiEEZNS1_14transform_implILb0ES3_S6_N6thrust23THRUST_200600_302600_NS6detail15normal_iteratorINS9_7pointerIS5_NS9_11hip_rocprim3tagENS9_11use_defaultESF_EEEENSB_INSC_IiSE_SF_SF_EEEEZNS1_13binary_searchIS3_S6_NSB_INS9_10device_ptrIS5_EEEESH_SJ_NS1_16binary_search_opENSA_16wrapped_functionINS9_7greaterIS5_EEbEEEE10hipError_tPvRmT1_T2_T3_mmT4_T5_P12ihipStream_tbEUlRKS5_E_EEST_SX_SY_mSZ_S12_bEUlT_E_NS1_11comp_targetILNS1_3genE5ELNS1_11target_archE942ELNS1_3gpuE9ELNS1_3repE0EEENS1_30default_config_static_selectorELNS0_4arch9wavefront6targetE0EEEvSW_.has_dyn_sized_stack, 0
	.set _ZN7rocprim17ROCPRIM_400000_NS6detail17trampoline_kernelINS0_14default_configENS1_29binary_search_config_selectorI14custom_numericiEEZNS1_14transform_implILb0ES3_S6_N6thrust23THRUST_200600_302600_NS6detail15normal_iteratorINS9_7pointerIS5_NS9_11hip_rocprim3tagENS9_11use_defaultESF_EEEENSB_INSC_IiSE_SF_SF_EEEEZNS1_13binary_searchIS3_S6_NSB_INS9_10device_ptrIS5_EEEESH_SJ_NS1_16binary_search_opENSA_16wrapped_functionINS9_7greaterIS5_EEbEEEE10hipError_tPvRmT1_T2_T3_mmT4_T5_P12ihipStream_tbEUlRKS5_E_EEST_SX_SY_mSZ_S12_bEUlT_E_NS1_11comp_targetILNS1_3genE5ELNS1_11target_archE942ELNS1_3gpuE9ELNS1_3repE0EEENS1_30default_config_static_selectorELNS0_4arch9wavefront6targetE0EEEvSW_.has_recursion, 0
	.set _ZN7rocprim17ROCPRIM_400000_NS6detail17trampoline_kernelINS0_14default_configENS1_29binary_search_config_selectorI14custom_numericiEEZNS1_14transform_implILb0ES3_S6_N6thrust23THRUST_200600_302600_NS6detail15normal_iteratorINS9_7pointerIS5_NS9_11hip_rocprim3tagENS9_11use_defaultESF_EEEENSB_INSC_IiSE_SF_SF_EEEEZNS1_13binary_searchIS3_S6_NSB_INS9_10device_ptrIS5_EEEESH_SJ_NS1_16binary_search_opENSA_16wrapped_functionINS9_7greaterIS5_EEbEEEE10hipError_tPvRmT1_T2_T3_mmT4_T5_P12ihipStream_tbEUlRKS5_E_EEST_SX_SY_mSZ_S12_bEUlT_E_NS1_11comp_targetILNS1_3genE5ELNS1_11target_archE942ELNS1_3gpuE9ELNS1_3repE0EEENS1_30default_config_static_selectorELNS0_4arch9wavefront6targetE0EEEvSW_.has_indirect_call, 0
	.section	.AMDGPU.csdata,"",@progbits
; Kernel info:
; codeLenInByte = 0
; TotalNumSgprs: 0
; NumVgprs: 0
; ScratchSize: 0
; MemoryBound: 0
; FloatMode: 240
; IeeeMode: 1
; LDSByteSize: 0 bytes/workgroup (compile time only)
; SGPRBlocks: 0
; VGPRBlocks: 0
; NumSGPRsForWavesPerEU: 1
; NumVGPRsForWavesPerEU: 1
; NamedBarCnt: 0
; Occupancy: 16
; WaveLimiterHint : 0
; COMPUTE_PGM_RSRC2:SCRATCH_EN: 0
; COMPUTE_PGM_RSRC2:USER_SGPR: 2
; COMPUTE_PGM_RSRC2:TRAP_HANDLER: 0
; COMPUTE_PGM_RSRC2:TGID_X_EN: 1
; COMPUTE_PGM_RSRC2:TGID_Y_EN: 0
; COMPUTE_PGM_RSRC2:TGID_Z_EN: 0
; COMPUTE_PGM_RSRC2:TIDIG_COMP_CNT: 0
	.section	.text._ZN7rocprim17ROCPRIM_400000_NS6detail17trampoline_kernelINS0_14default_configENS1_29binary_search_config_selectorI14custom_numericiEEZNS1_14transform_implILb0ES3_S6_N6thrust23THRUST_200600_302600_NS6detail15normal_iteratorINS9_7pointerIS5_NS9_11hip_rocprim3tagENS9_11use_defaultESF_EEEENSB_INSC_IiSE_SF_SF_EEEEZNS1_13binary_searchIS3_S6_NSB_INS9_10device_ptrIS5_EEEESH_SJ_NS1_16binary_search_opENSA_16wrapped_functionINS9_7greaterIS5_EEbEEEE10hipError_tPvRmT1_T2_T3_mmT4_T5_P12ihipStream_tbEUlRKS5_E_EEST_SX_SY_mSZ_S12_bEUlT_E_NS1_11comp_targetILNS1_3genE4ELNS1_11target_archE910ELNS1_3gpuE8ELNS1_3repE0EEENS1_30default_config_static_selectorELNS0_4arch9wavefront6targetE0EEEvSW_,"axG",@progbits,_ZN7rocprim17ROCPRIM_400000_NS6detail17trampoline_kernelINS0_14default_configENS1_29binary_search_config_selectorI14custom_numericiEEZNS1_14transform_implILb0ES3_S6_N6thrust23THRUST_200600_302600_NS6detail15normal_iteratorINS9_7pointerIS5_NS9_11hip_rocprim3tagENS9_11use_defaultESF_EEEENSB_INSC_IiSE_SF_SF_EEEEZNS1_13binary_searchIS3_S6_NSB_INS9_10device_ptrIS5_EEEESH_SJ_NS1_16binary_search_opENSA_16wrapped_functionINS9_7greaterIS5_EEbEEEE10hipError_tPvRmT1_T2_T3_mmT4_T5_P12ihipStream_tbEUlRKS5_E_EEST_SX_SY_mSZ_S12_bEUlT_E_NS1_11comp_targetILNS1_3genE4ELNS1_11target_archE910ELNS1_3gpuE8ELNS1_3repE0EEENS1_30default_config_static_selectorELNS0_4arch9wavefront6targetE0EEEvSW_,comdat
	.protected	_ZN7rocprim17ROCPRIM_400000_NS6detail17trampoline_kernelINS0_14default_configENS1_29binary_search_config_selectorI14custom_numericiEEZNS1_14transform_implILb0ES3_S6_N6thrust23THRUST_200600_302600_NS6detail15normal_iteratorINS9_7pointerIS5_NS9_11hip_rocprim3tagENS9_11use_defaultESF_EEEENSB_INSC_IiSE_SF_SF_EEEEZNS1_13binary_searchIS3_S6_NSB_INS9_10device_ptrIS5_EEEESH_SJ_NS1_16binary_search_opENSA_16wrapped_functionINS9_7greaterIS5_EEbEEEE10hipError_tPvRmT1_T2_T3_mmT4_T5_P12ihipStream_tbEUlRKS5_E_EEST_SX_SY_mSZ_S12_bEUlT_E_NS1_11comp_targetILNS1_3genE4ELNS1_11target_archE910ELNS1_3gpuE8ELNS1_3repE0EEENS1_30default_config_static_selectorELNS0_4arch9wavefront6targetE0EEEvSW_ ; -- Begin function _ZN7rocprim17ROCPRIM_400000_NS6detail17trampoline_kernelINS0_14default_configENS1_29binary_search_config_selectorI14custom_numericiEEZNS1_14transform_implILb0ES3_S6_N6thrust23THRUST_200600_302600_NS6detail15normal_iteratorINS9_7pointerIS5_NS9_11hip_rocprim3tagENS9_11use_defaultESF_EEEENSB_INSC_IiSE_SF_SF_EEEEZNS1_13binary_searchIS3_S6_NSB_INS9_10device_ptrIS5_EEEESH_SJ_NS1_16binary_search_opENSA_16wrapped_functionINS9_7greaterIS5_EEbEEEE10hipError_tPvRmT1_T2_T3_mmT4_T5_P12ihipStream_tbEUlRKS5_E_EEST_SX_SY_mSZ_S12_bEUlT_E_NS1_11comp_targetILNS1_3genE4ELNS1_11target_archE910ELNS1_3gpuE8ELNS1_3repE0EEENS1_30default_config_static_selectorELNS0_4arch9wavefront6targetE0EEEvSW_
	.globl	_ZN7rocprim17ROCPRIM_400000_NS6detail17trampoline_kernelINS0_14default_configENS1_29binary_search_config_selectorI14custom_numericiEEZNS1_14transform_implILb0ES3_S6_N6thrust23THRUST_200600_302600_NS6detail15normal_iteratorINS9_7pointerIS5_NS9_11hip_rocprim3tagENS9_11use_defaultESF_EEEENSB_INSC_IiSE_SF_SF_EEEEZNS1_13binary_searchIS3_S6_NSB_INS9_10device_ptrIS5_EEEESH_SJ_NS1_16binary_search_opENSA_16wrapped_functionINS9_7greaterIS5_EEbEEEE10hipError_tPvRmT1_T2_T3_mmT4_T5_P12ihipStream_tbEUlRKS5_E_EEST_SX_SY_mSZ_S12_bEUlT_E_NS1_11comp_targetILNS1_3genE4ELNS1_11target_archE910ELNS1_3gpuE8ELNS1_3repE0EEENS1_30default_config_static_selectorELNS0_4arch9wavefront6targetE0EEEvSW_
	.p2align	8
	.type	_ZN7rocprim17ROCPRIM_400000_NS6detail17trampoline_kernelINS0_14default_configENS1_29binary_search_config_selectorI14custom_numericiEEZNS1_14transform_implILb0ES3_S6_N6thrust23THRUST_200600_302600_NS6detail15normal_iteratorINS9_7pointerIS5_NS9_11hip_rocprim3tagENS9_11use_defaultESF_EEEENSB_INSC_IiSE_SF_SF_EEEEZNS1_13binary_searchIS3_S6_NSB_INS9_10device_ptrIS5_EEEESH_SJ_NS1_16binary_search_opENSA_16wrapped_functionINS9_7greaterIS5_EEbEEEE10hipError_tPvRmT1_T2_T3_mmT4_T5_P12ihipStream_tbEUlRKS5_E_EEST_SX_SY_mSZ_S12_bEUlT_E_NS1_11comp_targetILNS1_3genE4ELNS1_11target_archE910ELNS1_3gpuE8ELNS1_3repE0EEENS1_30default_config_static_selectorELNS0_4arch9wavefront6targetE0EEEvSW_,@function
_ZN7rocprim17ROCPRIM_400000_NS6detail17trampoline_kernelINS0_14default_configENS1_29binary_search_config_selectorI14custom_numericiEEZNS1_14transform_implILb0ES3_S6_N6thrust23THRUST_200600_302600_NS6detail15normal_iteratorINS9_7pointerIS5_NS9_11hip_rocprim3tagENS9_11use_defaultESF_EEEENSB_INSC_IiSE_SF_SF_EEEEZNS1_13binary_searchIS3_S6_NSB_INS9_10device_ptrIS5_EEEESH_SJ_NS1_16binary_search_opENSA_16wrapped_functionINS9_7greaterIS5_EEbEEEE10hipError_tPvRmT1_T2_T3_mmT4_T5_P12ihipStream_tbEUlRKS5_E_EEST_SX_SY_mSZ_S12_bEUlT_E_NS1_11comp_targetILNS1_3genE4ELNS1_11target_archE910ELNS1_3gpuE8ELNS1_3repE0EEENS1_30default_config_static_selectorELNS0_4arch9wavefront6targetE0EEEvSW_: ; @_ZN7rocprim17ROCPRIM_400000_NS6detail17trampoline_kernelINS0_14default_configENS1_29binary_search_config_selectorI14custom_numericiEEZNS1_14transform_implILb0ES3_S6_N6thrust23THRUST_200600_302600_NS6detail15normal_iteratorINS9_7pointerIS5_NS9_11hip_rocprim3tagENS9_11use_defaultESF_EEEENSB_INSC_IiSE_SF_SF_EEEEZNS1_13binary_searchIS3_S6_NSB_INS9_10device_ptrIS5_EEEESH_SJ_NS1_16binary_search_opENSA_16wrapped_functionINS9_7greaterIS5_EEbEEEE10hipError_tPvRmT1_T2_T3_mmT4_T5_P12ihipStream_tbEUlRKS5_E_EEST_SX_SY_mSZ_S12_bEUlT_E_NS1_11comp_targetILNS1_3genE4ELNS1_11target_archE910ELNS1_3gpuE8ELNS1_3repE0EEENS1_30default_config_static_selectorELNS0_4arch9wavefront6targetE0EEEvSW_
; %bb.0:
	.section	.rodata,"a",@progbits
	.p2align	6, 0x0
	.amdhsa_kernel _ZN7rocprim17ROCPRIM_400000_NS6detail17trampoline_kernelINS0_14default_configENS1_29binary_search_config_selectorI14custom_numericiEEZNS1_14transform_implILb0ES3_S6_N6thrust23THRUST_200600_302600_NS6detail15normal_iteratorINS9_7pointerIS5_NS9_11hip_rocprim3tagENS9_11use_defaultESF_EEEENSB_INSC_IiSE_SF_SF_EEEEZNS1_13binary_searchIS3_S6_NSB_INS9_10device_ptrIS5_EEEESH_SJ_NS1_16binary_search_opENSA_16wrapped_functionINS9_7greaterIS5_EEbEEEE10hipError_tPvRmT1_T2_T3_mmT4_T5_P12ihipStream_tbEUlRKS5_E_EEST_SX_SY_mSZ_S12_bEUlT_E_NS1_11comp_targetILNS1_3genE4ELNS1_11target_archE910ELNS1_3gpuE8ELNS1_3repE0EEENS1_30default_config_static_selectorELNS0_4arch9wavefront6targetE0EEEvSW_
		.amdhsa_group_segment_fixed_size 0
		.amdhsa_private_segment_fixed_size 0
		.amdhsa_kernarg_size 56
		.amdhsa_user_sgpr_count 2
		.amdhsa_user_sgpr_dispatch_ptr 0
		.amdhsa_user_sgpr_queue_ptr 0
		.amdhsa_user_sgpr_kernarg_segment_ptr 1
		.amdhsa_user_sgpr_dispatch_id 0
		.amdhsa_user_sgpr_kernarg_preload_length 0
		.amdhsa_user_sgpr_kernarg_preload_offset 0
		.amdhsa_user_sgpr_private_segment_size 0
		.amdhsa_wavefront_size32 1
		.amdhsa_uses_dynamic_stack 0
		.amdhsa_enable_private_segment 0
		.amdhsa_system_sgpr_workgroup_id_x 1
		.amdhsa_system_sgpr_workgroup_id_y 0
		.amdhsa_system_sgpr_workgroup_id_z 0
		.amdhsa_system_sgpr_workgroup_info 0
		.amdhsa_system_vgpr_workitem_id 0
		.amdhsa_next_free_vgpr 1
		.amdhsa_next_free_sgpr 1
		.amdhsa_named_barrier_count 0
		.amdhsa_reserve_vcc 0
		.amdhsa_float_round_mode_32 0
		.amdhsa_float_round_mode_16_64 0
		.amdhsa_float_denorm_mode_32 3
		.amdhsa_float_denorm_mode_16_64 3
		.amdhsa_fp16_overflow 0
		.amdhsa_memory_ordered 1
		.amdhsa_forward_progress 1
		.amdhsa_inst_pref_size 0
		.amdhsa_round_robin_scheduling 0
		.amdhsa_exception_fp_ieee_invalid_op 0
		.amdhsa_exception_fp_denorm_src 0
		.amdhsa_exception_fp_ieee_div_zero 0
		.amdhsa_exception_fp_ieee_overflow 0
		.amdhsa_exception_fp_ieee_underflow 0
		.amdhsa_exception_fp_ieee_inexact 0
		.amdhsa_exception_int_div_zero 0
	.end_amdhsa_kernel
	.section	.text._ZN7rocprim17ROCPRIM_400000_NS6detail17trampoline_kernelINS0_14default_configENS1_29binary_search_config_selectorI14custom_numericiEEZNS1_14transform_implILb0ES3_S6_N6thrust23THRUST_200600_302600_NS6detail15normal_iteratorINS9_7pointerIS5_NS9_11hip_rocprim3tagENS9_11use_defaultESF_EEEENSB_INSC_IiSE_SF_SF_EEEEZNS1_13binary_searchIS3_S6_NSB_INS9_10device_ptrIS5_EEEESH_SJ_NS1_16binary_search_opENSA_16wrapped_functionINS9_7greaterIS5_EEbEEEE10hipError_tPvRmT1_T2_T3_mmT4_T5_P12ihipStream_tbEUlRKS5_E_EEST_SX_SY_mSZ_S12_bEUlT_E_NS1_11comp_targetILNS1_3genE4ELNS1_11target_archE910ELNS1_3gpuE8ELNS1_3repE0EEENS1_30default_config_static_selectorELNS0_4arch9wavefront6targetE0EEEvSW_,"axG",@progbits,_ZN7rocprim17ROCPRIM_400000_NS6detail17trampoline_kernelINS0_14default_configENS1_29binary_search_config_selectorI14custom_numericiEEZNS1_14transform_implILb0ES3_S6_N6thrust23THRUST_200600_302600_NS6detail15normal_iteratorINS9_7pointerIS5_NS9_11hip_rocprim3tagENS9_11use_defaultESF_EEEENSB_INSC_IiSE_SF_SF_EEEEZNS1_13binary_searchIS3_S6_NSB_INS9_10device_ptrIS5_EEEESH_SJ_NS1_16binary_search_opENSA_16wrapped_functionINS9_7greaterIS5_EEbEEEE10hipError_tPvRmT1_T2_T3_mmT4_T5_P12ihipStream_tbEUlRKS5_E_EEST_SX_SY_mSZ_S12_bEUlT_E_NS1_11comp_targetILNS1_3genE4ELNS1_11target_archE910ELNS1_3gpuE8ELNS1_3repE0EEENS1_30default_config_static_selectorELNS0_4arch9wavefront6targetE0EEEvSW_,comdat
.Lfunc_end178:
	.size	_ZN7rocprim17ROCPRIM_400000_NS6detail17trampoline_kernelINS0_14default_configENS1_29binary_search_config_selectorI14custom_numericiEEZNS1_14transform_implILb0ES3_S6_N6thrust23THRUST_200600_302600_NS6detail15normal_iteratorINS9_7pointerIS5_NS9_11hip_rocprim3tagENS9_11use_defaultESF_EEEENSB_INSC_IiSE_SF_SF_EEEEZNS1_13binary_searchIS3_S6_NSB_INS9_10device_ptrIS5_EEEESH_SJ_NS1_16binary_search_opENSA_16wrapped_functionINS9_7greaterIS5_EEbEEEE10hipError_tPvRmT1_T2_T3_mmT4_T5_P12ihipStream_tbEUlRKS5_E_EEST_SX_SY_mSZ_S12_bEUlT_E_NS1_11comp_targetILNS1_3genE4ELNS1_11target_archE910ELNS1_3gpuE8ELNS1_3repE0EEENS1_30default_config_static_selectorELNS0_4arch9wavefront6targetE0EEEvSW_, .Lfunc_end178-_ZN7rocprim17ROCPRIM_400000_NS6detail17trampoline_kernelINS0_14default_configENS1_29binary_search_config_selectorI14custom_numericiEEZNS1_14transform_implILb0ES3_S6_N6thrust23THRUST_200600_302600_NS6detail15normal_iteratorINS9_7pointerIS5_NS9_11hip_rocprim3tagENS9_11use_defaultESF_EEEENSB_INSC_IiSE_SF_SF_EEEEZNS1_13binary_searchIS3_S6_NSB_INS9_10device_ptrIS5_EEEESH_SJ_NS1_16binary_search_opENSA_16wrapped_functionINS9_7greaterIS5_EEbEEEE10hipError_tPvRmT1_T2_T3_mmT4_T5_P12ihipStream_tbEUlRKS5_E_EEST_SX_SY_mSZ_S12_bEUlT_E_NS1_11comp_targetILNS1_3genE4ELNS1_11target_archE910ELNS1_3gpuE8ELNS1_3repE0EEENS1_30default_config_static_selectorELNS0_4arch9wavefront6targetE0EEEvSW_
                                        ; -- End function
	.set _ZN7rocprim17ROCPRIM_400000_NS6detail17trampoline_kernelINS0_14default_configENS1_29binary_search_config_selectorI14custom_numericiEEZNS1_14transform_implILb0ES3_S6_N6thrust23THRUST_200600_302600_NS6detail15normal_iteratorINS9_7pointerIS5_NS9_11hip_rocprim3tagENS9_11use_defaultESF_EEEENSB_INSC_IiSE_SF_SF_EEEEZNS1_13binary_searchIS3_S6_NSB_INS9_10device_ptrIS5_EEEESH_SJ_NS1_16binary_search_opENSA_16wrapped_functionINS9_7greaterIS5_EEbEEEE10hipError_tPvRmT1_T2_T3_mmT4_T5_P12ihipStream_tbEUlRKS5_E_EEST_SX_SY_mSZ_S12_bEUlT_E_NS1_11comp_targetILNS1_3genE4ELNS1_11target_archE910ELNS1_3gpuE8ELNS1_3repE0EEENS1_30default_config_static_selectorELNS0_4arch9wavefront6targetE0EEEvSW_.num_vgpr, 0
	.set _ZN7rocprim17ROCPRIM_400000_NS6detail17trampoline_kernelINS0_14default_configENS1_29binary_search_config_selectorI14custom_numericiEEZNS1_14transform_implILb0ES3_S6_N6thrust23THRUST_200600_302600_NS6detail15normal_iteratorINS9_7pointerIS5_NS9_11hip_rocprim3tagENS9_11use_defaultESF_EEEENSB_INSC_IiSE_SF_SF_EEEEZNS1_13binary_searchIS3_S6_NSB_INS9_10device_ptrIS5_EEEESH_SJ_NS1_16binary_search_opENSA_16wrapped_functionINS9_7greaterIS5_EEbEEEE10hipError_tPvRmT1_T2_T3_mmT4_T5_P12ihipStream_tbEUlRKS5_E_EEST_SX_SY_mSZ_S12_bEUlT_E_NS1_11comp_targetILNS1_3genE4ELNS1_11target_archE910ELNS1_3gpuE8ELNS1_3repE0EEENS1_30default_config_static_selectorELNS0_4arch9wavefront6targetE0EEEvSW_.num_agpr, 0
	.set _ZN7rocprim17ROCPRIM_400000_NS6detail17trampoline_kernelINS0_14default_configENS1_29binary_search_config_selectorI14custom_numericiEEZNS1_14transform_implILb0ES3_S6_N6thrust23THRUST_200600_302600_NS6detail15normal_iteratorINS9_7pointerIS5_NS9_11hip_rocprim3tagENS9_11use_defaultESF_EEEENSB_INSC_IiSE_SF_SF_EEEEZNS1_13binary_searchIS3_S6_NSB_INS9_10device_ptrIS5_EEEESH_SJ_NS1_16binary_search_opENSA_16wrapped_functionINS9_7greaterIS5_EEbEEEE10hipError_tPvRmT1_T2_T3_mmT4_T5_P12ihipStream_tbEUlRKS5_E_EEST_SX_SY_mSZ_S12_bEUlT_E_NS1_11comp_targetILNS1_3genE4ELNS1_11target_archE910ELNS1_3gpuE8ELNS1_3repE0EEENS1_30default_config_static_selectorELNS0_4arch9wavefront6targetE0EEEvSW_.numbered_sgpr, 0
	.set _ZN7rocprim17ROCPRIM_400000_NS6detail17trampoline_kernelINS0_14default_configENS1_29binary_search_config_selectorI14custom_numericiEEZNS1_14transform_implILb0ES3_S6_N6thrust23THRUST_200600_302600_NS6detail15normal_iteratorINS9_7pointerIS5_NS9_11hip_rocprim3tagENS9_11use_defaultESF_EEEENSB_INSC_IiSE_SF_SF_EEEEZNS1_13binary_searchIS3_S6_NSB_INS9_10device_ptrIS5_EEEESH_SJ_NS1_16binary_search_opENSA_16wrapped_functionINS9_7greaterIS5_EEbEEEE10hipError_tPvRmT1_T2_T3_mmT4_T5_P12ihipStream_tbEUlRKS5_E_EEST_SX_SY_mSZ_S12_bEUlT_E_NS1_11comp_targetILNS1_3genE4ELNS1_11target_archE910ELNS1_3gpuE8ELNS1_3repE0EEENS1_30default_config_static_selectorELNS0_4arch9wavefront6targetE0EEEvSW_.num_named_barrier, 0
	.set _ZN7rocprim17ROCPRIM_400000_NS6detail17trampoline_kernelINS0_14default_configENS1_29binary_search_config_selectorI14custom_numericiEEZNS1_14transform_implILb0ES3_S6_N6thrust23THRUST_200600_302600_NS6detail15normal_iteratorINS9_7pointerIS5_NS9_11hip_rocprim3tagENS9_11use_defaultESF_EEEENSB_INSC_IiSE_SF_SF_EEEEZNS1_13binary_searchIS3_S6_NSB_INS9_10device_ptrIS5_EEEESH_SJ_NS1_16binary_search_opENSA_16wrapped_functionINS9_7greaterIS5_EEbEEEE10hipError_tPvRmT1_T2_T3_mmT4_T5_P12ihipStream_tbEUlRKS5_E_EEST_SX_SY_mSZ_S12_bEUlT_E_NS1_11comp_targetILNS1_3genE4ELNS1_11target_archE910ELNS1_3gpuE8ELNS1_3repE0EEENS1_30default_config_static_selectorELNS0_4arch9wavefront6targetE0EEEvSW_.private_seg_size, 0
	.set _ZN7rocprim17ROCPRIM_400000_NS6detail17trampoline_kernelINS0_14default_configENS1_29binary_search_config_selectorI14custom_numericiEEZNS1_14transform_implILb0ES3_S6_N6thrust23THRUST_200600_302600_NS6detail15normal_iteratorINS9_7pointerIS5_NS9_11hip_rocprim3tagENS9_11use_defaultESF_EEEENSB_INSC_IiSE_SF_SF_EEEEZNS1_13binary_searchIS3_S6_NSB_INS9_10device_ptrIS5_EEEESH_SJ_NS1_16binary_search_opENSA_16wrapped_functionINS9_7greaterIS5_EEbEEEE10hipError_tPvRmT1_T2_T3_mmT4_T5_P12ihipStream_tbEUlRKS5_E_EEST_SX_SY_mSZ_S12_bEUlT_E_NS1_11comp_targetILNS1_3genE4ELNS1_11target_archE910ELNS1_3gpuE8ELNS1_3repE0EEENS1_30default_config_static_selectorELNS0_4arch9wavefront6targetE0EEEvSW_.uses_vcc, 0
	.set _ZN7rocprim17ROCPRIM_400000_NS6detail17trampoline_kernelINS0_14default_configENS1_29binary_search_config_selectorI14custom_numericiEEZNS1_14transform_implILb0ES3_S6_N6thrust23THRUST_200600_302600_NS6detail15normal_iteratorINS9_7pointerIS5_NS9_11hip_rocprim3tagENS9_11use_defaultESF_EEEENSB_INSC_IiSE_SF_SF_EEEEZNS1_13binary_searchIS3_S6_NSB_INS9_10device_ptrIS5_EEEESH_SJ_NS1_16binary_search_opENSA_16wrapped_functionINS9_7greaterIS5_EEbEEEE10hipError_tPvRmT1_T2_T3_mmT4_T5_P12ihipStream_tbEUlRKS5_E_EEST_SX_SY_mSZ_S12_bEUlT_E_NS1_11comp_targetILNS1_3genE4ELNS1_11target_archE910ELNS1_3gpuE8ELNS1_3repE0EEENS1_30default_config_static_selectorELNS0_4arch9wavefront6targetE0EEEvSW_.uses_flat_scratch, 0
	.set _ZN7rocprim17ROCPRIM_400000_NS6detail17trampoline_kernelINS0_14default_configENS1_29binary_search_config_selectorI14custom_numericiEEZNS1_14transform_implILb0ES3_S6_N6thrust23THRUST_200600_302600_NS6detail15normal_iteratorINS9_7pointerIS5_NS9_11hip_rocprim3tagENS9_11use_defaultESF_EEEENSB_INSC_IiSE_SF_SF_EEEEZNS1_13binary_searchIS3_S6_NSB_INS9_10device_ptrIS5_EEEESH_SJ_NS1_16binary_search_opENSA_16wrapped_functionINS9_7greaterIS5_EEbEEEE10hipError_tPvRmT1_T2_T3_mmT4_T5_P12ihipStream_tbEUlRKS5_E_EEST_SX_SY_mSZ_S12_bEUlT_E_NS1_11comp_targetILNS1_3genE4ELNS1_11target_archE910ELNS1_3gpuE8ELNS1_3repE0EEENS1_30default_config_static_selectorELNS0_4arch9wavefront6targetE0EEEvSW_.has_dyn_sized_stack, 0
	.set _ZN7rocprim17ROCPRIM_400000_NS6detail17trampoline_kernelINS0_14default_configENS1_29binary_search_config_selectorI14custom_numericiEEZNS1_14transform_implILb0ES3_S6_N6thrust23THRUST_200600_302600_NS6detail15normal_iteratorINS9_7pointerIS5_NS9_11hip_rocprim3tagENS9_11use_defaultESF_EEEENSB_INSC_IiSE_SF_SF_EEEEZNS1_13binary_searchIS3_S6_NSB_INS9_10device_ptrIS5_EEEESH_SJ_NS1_16binary_search_opENSA_16wrapped_functionINS9_7greaterIS5_EEbEEEE10hipError_tPvRmT1_T2_T3_mmT4_T5_P12ihipStream_tbEUlRKS5_E_EEST_SX_SY_mSZ_S12_bEUlT_E_NS1_11comp_targetILNS1_3genE4ELNS1_11target_archE910ELNS1_3gpuE8ELNS1_3repE0EEENS1_30default_config_static_selectorELNS0_4arch9wavefront6targetE0EEEvSW_.has_recursion, 0
	.set _ZN7rocprim17ROCPRIM_400000_NS6detail17trampoline_kernelINS0_14default_configENS1_29binary_search_config_selectorI14custom_numericiEEZNS1_14transform_implILb0ES3_S6_N6thrust23THRUST_200600_302600_NS6detail15normal_iteratorINS9_7pointerIS5_NS9_11hip_rocprim3tagENS9_11use_defaultESF_EEEENSB_INSC_IiSE_SF_SF_EEEEZNS1_13binary_searchIS3_S6_NSB_INS9_10device_ptrIS5_EEEESH_SJ_NS1_16binary_search_opENSA_16wrapped_functionINS9_7greaterIS5_EEbEEEE10hipError_tPvRmT1_T2_T3_mmT4_T5_P12ihipStream_tbEUlRKS5_E_EEST_SX_SY_mSZ_S12_bEUlT_E_NS1_11comp_targetILNS1_3genE4ELNS1_11target_archE910ELNS1_3gpuE8ELNS1_3repE0EEENS1_30default_config_static_selectorELNS0_4arch9wavefront6targetE0EEEvSW_.has_indirect_call, 0
	.section	.AMDGPU.csdata,"",@progbits
; Kernel info:
; codeLenInByte = 0
; TotalNumSgprs: 0
; NumVgprs: 0
; ScratchSize: 0
; MemoryBound: 0
; FloatMode: 240
; IeeeMode: 1
; LDSByteSize: 0 bytes/workgroup (compile time only)
; SGPRBlocks: 0
; VGPRBlocks: 0
; NumSGPRsForWavesPerEU: 1
; NumVGPRsForWavesPerEU: 1
; NamedBarCnt: 0
; Occupancy: 16
; WaveLimiterHint : 0
; COMPUTE_PGM_RSRC2:SCRATCH_EN: 0
; COMPUTE_PGM_RSRC2:USER_SGPR: 2
; COMPUTE_PGM_RSRC2:TRAP_HANDLER: 0
; COMPUTE_PGM_RSRC2:TGID_X_EN: 1
; COMPUTE_PGM_RSRC2:TGID_Y_EN: 0
; COMPUTE_PGM_RSRC2:TGID_Z_EN: 0
; COMPUTE_PGM_RSRC2:TIDIG_COMP_CNT: 0
	.section	.text._ZN7rocprim17ROCPRIM_400000_NS6detail17trampoline_kernelINS0_14default_configENS1_29binary_search_config_selectorI14custom_numericiEEZNS1_14transform_implILb0ES3_S6_N6thrust23THRUST_200600_302600_NS6detail15normal_iteratorINS9_7pointerIS5_NS9_11hip_rocprim3tagENS9_11use_defaultESF_EEEENSB_INSC_IiSE_SF_SF_EEEEZNS1_13binary_searchIS3_S6_NSB_INS9_10device_ptrIS5_EEEESH_SJ_NS1_16binary_search_opENSA_16wrapped_functionINS9_7greaterIS5_EEbEEEE10hipError_tPvRmT1_T2_T3_mmT4_T5_P12ihipStream_tbEUlRKS5_E_EEST_SX_SY_mSZ_S12_bEUlT_E_NS1_11comp_targetILNS1_3genE3ELNS1_11target_archE908ELNS1_3gpuE7ELNS1_3repE0EEENS1_30default_config_static_selectorELNS0_4arch9wavefront6targetE0EEEvSW_,"axG",@progbits,_ZN7rocprim17ROCPRIM_400000_NS6detail17trampoline_kernelINS0_14default_configENS1_29binary_search_config_selectorI14custom_numericiEEZNS1_14transform_implILb0ES3_S6_N6thrust23THRUST_200600_302600_NS6detail15normal_iteratorINS9_7pointerIS5_NS9_11hip_rocprim3tagENS9_11use_defaultESF_EEEENSB_INSC_IiSE_SF_SF_EEEEZNS1_13binary_searchIS3_S6_NSB_INS9_10device_ptrIS5_EEEESH_SJ_NS1_16binary_search_opENSA_16wrapped_functionINS9_7greaterIS5_EEbEEEE10hipError_tPvRmT1_T2_T3_mmT4_T5_P12ihipStream_tbEUlRKS5_E_EEST_SX_SY_mSZ_S12_bEUlT_E_NS1_11comp_targetILNS1_3genE3ELNS1_11target_archE908ELNS1_3gpuE7ELNS1_3repE0EEENS1_30default_config_static_selectorELNS0_4arch9wavefront6targetE0EEEvSW_,comdat
	.protected	_ZN7rocprim17ROCPRIM_400000_NS6detail17trampoline_kernelINS0_14default_configENS1_29binary_search_config_selectorI14custom_numericiEEZNS1_14transform_implILb0ES3_S6_N6thrust23THRUST_200600_302600_NS6detail15normal_iteratorINS9_7pointerIS5_NS9_11hip_rocprim3tagENS9_11use_defaultESF_EEEENSB_INSC_IiSE_SF_SF_EEEEZNS1_13binary_searchIS3_S6_NSB_INS9_10device_ptrIS5_EEEESH_SJ_NS1_16binary_search_opENSA_16wrapped_functionINS9_7greaterIS5_EEbEEEE10hipError_tPvRmT1_T2_T3_mmT4_T5_P12ihipStream_tbEUlRKS5_E_EEST_SX_SY_mSZ_S12_bEUlT_E_NS1_11comp_targetILNS1_3genE3ELNS1_11target_archE908ELNS1_3gpuE7ELNS1_3repE0EEENS1_30default_config_static_selectorELNS0_4arch9wavefront6targetE0EEEvSW_ ; -- Begin function _ZN7rocprim17ROCPRIM_400000_NS6detail17trampoline_kernelINS0_14default_configENS1_29binary_search_config_selectorI14custom_numericiEEZNS1_14transform_implILb0ES3_S6_N6thrust23THRUST_200600_302600_NS6detail15normal_iteratorINS9_7pointerIS5_NS9_11hip_rocprim3tagENS9_11use_defaultESF_EEEENSB_INSC_IiSE_SF_SF_EEEEZNS1_13binary_searchIS3_S6_NSB_INS9_10device_ptrIS5_EEEESH_SJ_NS1_16binary_search_opENSA_16wrapped_functionINS9_7greaterIS5_EEbEEEE10hipError_tPvRmT1_T2_T3_mmT4_T5_P12ihipStream_tbEUlRKS5_E_EEST_SX_SY_mSZ_S12_bEUlT_E_NS1_11comp_targetILNS1_3genE3ELNS1_11target_archE908ELNS1_3gpuE7ELNS1_3repE0EEENS1_30default_config_static_selectorELNS0_4arch9wavefront6targetE0EEEvSW_
	.globl	_ZN7rocprim17ROCPRIM_400000_NS6detail17trampoline_kernelINS0_14default_configENS1_29binary_search_config_selectorI14custom_numericiEEZNS1_14transform_implILb0ES3_S6_N6thrust23THRUST_200600_302600_NS6detail15normal_iteratorINS9_7pointerIS5_NS9_11hip_rocprim3tagENS9_11use_defaultESF_EEEENSB_INSC_IiSE_SF_SF_EEEEZNS1_13binary_searchIS3_S6_NSB_INS9_10device_ptrIS5_EEEESH_SJ_NS1_16binary_search_opENSA_16wrapped_functionINS9_7greaterIS5_EEbEEEE10hipError_tPvRmT1_T2_T3_mmT4_T5_P12ihipStream_tbEUlRKS5_E_EEST_SX_SY_mSZ_S12_bEUlT_E_NS1_11comp_targetILNS1_3genE3ELNS1_11target_archE908ELNS1_3gpuE7ELNS1_3repE0EEENS1_30default_config_static_selectorELNS0_4arch9wavefront6targetE0EEEvSW_
	.p2align	8
	.type	_ZN7rocprim17ROCPRIM_400000_NS6detail17trampoline_kernelINS0_14default_configENS1_29binary_search_config_selectorI14custom_numericiEEZNS1_14transform_implILb0ES3_S6_N6thrust23THRUST_200600_302600_NS6detail15normal_iteratorINS9_7pointerIS5_NS9_11hip_rocprim3tagENS9_11use_defaultESF_EEEENSB_INSC_IiSE_SF_SF_EEEEZNS1_13binary_searchIS3_S6_NSB_INS9_10device_ptrIS5_EEEESH_SJ_NS1_16binary_search_opENSA_16wrapped_functionINS9_7greaterIS5_EEbEEEE10hipError_tPvRmT1_T2_T3_mmT4_T5_P12ihipStream_tbEUlRKS5_E_EEST_SX_SY_mSZ_S12_bEUlT_E_NS1_11comp_targetILNS1_3genE3ELNS1_11target_archE908ELNS1_3gpuE7ELNS1_3repE0EEENS1_30default_config_static_selectorELNS0_4arch9wavefront6targetE0EEEvSW_,@function
_ZN7rocprim17ROCPRIM_400000_NS6detail17trampoline_kernelINS0_14default_configENS1_29binary_search_config_selectorI14custom_numericiEEZNS1_14transform_implILb0ES3_S6_N6thrust23THRUST_200600_302600_NS6detail15normal_iteratorINS9_7pointerIS5_NS9_11hip_rocprim3tagENS9_11use_defaultESF_EEEENSB_INSC_IiSE_SF_SF_EEEEZNS1_13binary_searchIS3_S6_NSB_INS9_10device_ptrIS5_EEEESH_SJ_NS1_16binary_search_opENSA_16wrapped_functionINS9_7greaterIS5_EEbEEEE10hipError_tPvRmT1_T2_T3_mmT4_T5_P12ihipStream_tbEUlRKS5_E_EEST_SX_SY_mSZ_S12_bEUlT_E_NS1_11comp_targetILNS1_3genE3ELNS1_11target_archE908ELNS1_3gpuE7ELNS1_3repE0EEENS1_30default_config_static_selectorELNS0_4arch9wavefront6targetE0EEEvSW_: ; @_ZN7rocprim17ROCPRIM_400000_NS6detail17trampoline_kernelINS0_14default_configENS1_29binary_search_config_selectorI14custom_numericiEEZNS1_14transform_implILb0ES3_S6_N6thrust23THRUST_200600_302600_NS6detail15normal_iteratorINS9_7pointerIS5_NS9_11hip_rocprim3tagENS9_11use_defaultESF_EEEENSB_INSC_IiSE_SF_SF_EEEEZNS1_13binary_searchIS3_S6_NSB_INS9_10device_ptrIS5_EEEESH_SJ_NS1_16binary_search_opENSA_16wrapped_functionINS9_7greaterIS5_EEbEEEE10hipError_tPvRmT1_T2_T3_mmT4_T5_P12ihipStream_tbEUlRKS5_E_EEST_SX_SY_mSZ_S12_bEUlT_E_NS1_11comp_targetILNS1_3genE3ELNS1_11target_archE908ELNS1_3gpuE7ELNS1_3repE0EEENS1_30default_config_static_selectorELNS0_4arch9wavefront6targetE0EEEvSW_
; %bb.0:
	.section	.rodata,"a",@progbits
	.p2align	6, 0x0
	.amdhsa_kernel _ZN7rocprim17ROCPRIM_400000_NS6detail17trampoline_kernelINS0_14default_configENS1_29binary_search_config_selectorI14custom_numericiEEZNS1_14transform_implILb0ES3_S6_N6thrust23THRUST_200600_302600_NS6detail15normal_iteratorINS9_7pointerIS5_NS9_11hip_rocprim3tagENS9_11use_defaultESF_EEEENSB_INSC_IiSE_SF_SF_EEEEZNS1_13binary_searchIS3_S6_NSB_INS9_10device_ptrIS5_EEEESH_SJ_NS1_16binary_search_opENSA_16wrapped_functionINS9_7greaterIS5_EEbEEEE10hipError_tPvRmT1_T2_T3_mmT4_T5_P12ihipStream_tbEUlRKS5_E_EEST_SX_SY_mSZ_S12_bEUlT_E_NS1_11comp_targetILNS1_3genE3ELNS1_11target_archE908ELNS1_3gpuE7ELNS1_3repE0EEENS1_30default_config_static_selectorELNS0_4arch9wavefront6targetE0EEEvSW_
		.amdhsa_group_segment_fixed_size 0
		.amdhsa_private_segment_fixed_size 0
		.amdhsa_kernarg_size 56
		.amdhsa_user_sgpr_count 2
		.amdhsa_user_sgpr_dispatch_ptr 0
		.amdhsa_user_sgpr_queue_ptr 0
		.amdhsa_user_sgpr_kernarg_segment_ptr 1
		.amdhsa_user_sgpr_dispatch_id 0
		.amdhsa_user_sgpr_kernarg_preload_length 0
		.amdhsa_user_sgpr_kernarg_preload_offset 0
		.amdhsa_user_sgpr_private_segment_size 0
		.amdhsa_wavefront_size32 1
		.amdhsa_uses_dynamic_stack 0
		.amdhsa_enable_private_segment 0
		.amdhsa_system_sgpr_workgroup_id_x 1
		.amdhsa_system_sgpr_workgroup_id_y 0
		.amdhsa_system_sgpr_workgroup_id_z 0
		.amdhsa_system_sgpr_workgroup_info 0
		.amdhsa_system_vgpr_workitem_id 0
		.amdhsa_next_free_vgpr 1
		.amdhsa_next_free_sgpr 1
		.amdhsa_named_barrier_count 0
		.amdhsa_reserve_vcc 0
		.amdhsa_float_round_mode_32 0
		.amdhsa_float_round_mode_16_64 0
		.amdhsa_float_denorm_mode_32 3
		.amdhsa_float_denorm_mode_16_64 3
		.amdhsa_fp16_overflow 0
		.amdhsa_memory_ordered 1
		.amdhsa_forward_progress 1
		.amdhsa_inst_pref_size 0
		.amdhsa_round_robin_scheduling 0
		.amdhsa_exception_fp_ieee_invalid_op 0
		.amdhsa_exception_fp_denorm_src 0
		.amdhsa_exception_fp_ieee_div_zero 0
		.amdhsa_exception_fp_ieee_overflow 0
		.amdhsa_exception_fp_ieee_underflow 0
		.amdhsa_exception_fp_ieee_inexact 0
		.amdhsa_exception_int_div_zero 0
	.end_amdhsa_kernel
	.section	.text._ZN7rocprim17ROCPRIM_400000_NS6detail17trampoline_kernelINS0_14default_configENS1_29binary_search_config_selectorI14custom_numericiEEZNS1_14transform_implILb0ES3_S6_N6thrust23THRUST_200600_302600_NS6detail15normal_iteratorINS9_7pointerIS5_NS9_11hip_rocprim3tagENS9_11use_defaultESF_EEEENSB_INSC_IiSE_SF_SF_EEEEZNS1_13binary_searchIS3_S6_NSB_INS9_10device_ptrIS5_EEEESH_SJ_NS1_16binary_search_opENSA_16wrapped_functionINS9_7greaterIS5_EEbEEEE10hipError_tPvRmT1_T2_T3_mmT4_T5_P12ihipStream_tbEUlRKS5_E_EEST_SX_SY_mSZ_S12_bEUlT_E_NS1_11comp_targetILNS1_3genE3ELNS1_11target_archE908ELNS1_3gpuE7ELNS1_3repE0EEENS1_30default_config_static_selectorELNS0_4arch9wavefront6targetE0EEEvSW_,"axG",@progbits,_ZN7rocprim17ROCPRIM_400000_NS6detail17trampoline_kernelINS0_14default_configENS1_29binary_search_config_selectorI14custom_numericiEEZNS1_14transform_implILb0ES3_S6_N6thrust23THRUST_200600_302600_NS6detail15normal_iteratorINS9_7pointerIS5_NS9_11hip_rocprim3tagENS9_11use_defaultESF_EEEENSB_INSC_IiSE_SF_SF_EEEEZNS1_13binary_searchIS3_S6_NSB_INS9_10device_ptrIS5_EEEESH_SJ_NS1_16binary_search_opENSA_16wrapped_functionINS9_7greaterIS5_EEbEEEE10hipError_tPvRmT1_T2_T3_mmT4_T5_P12ihipStream_tbEUlRKS5_E_EEST_SX_SY_mSZ_S12_bEUlT_E_NS1_11comp_targetILNS1_3genE3ELNS1_11target_archE908ELNS1_3gpuE7ELNS1_3repE0EEENS1_30default_config_static_selectorELNS0_4arch9wavefront6targetE0EEEvSW_,comdat
.Lfunc_end179:
	.size	_ZN7rocprim17ROCPRIM_400000_NS6detail17trampoline_kernelINS0_14default_configENS1_29binary_search_config_selectorI14custom_numericiEEZNS1_14transform_implILb0ES3_S6_N6thrust23THRUST_200600_302600_NS6detail15normal_iteratorINS9_7pointerIS5_NS9_11hip_rocprim3tagENS9_11use_defaultESF_EEEENSB_INSC_IiSE_SF_SF_EEEEZNS1_13binary_searchIS3_S6_NSB_INS9_10device_ptrIS5_EEEESH_SJ_NS1_16binary_search_opENSA_16wrapped_functionINS9_7greaterIS5_EEbEEEE10hipError_tPvRmT1_T2_T3_mmT4_T5_P12ihipStream_tbEUlRKS5_E_EEST_SX_SY_mSZ_S12_bEUlT_E_NS1_11comp_targetILNS1_3genE3ELNS1_11target_archE908ELNS1_3gpuE7ELNS1_3repE0EEENS1_30default_config_static_selectorELNS0_4arch9wavefront6targetE0EEEvSW_, .Lfunc_end179-_ZN7rocprim17ROCPRIM_400000_NS6detail17trampoline_kernelINS0_14default_configENS1_29binary_search_config_selectorI14custom_numericiEEZNS1_14transform_implILb0ES3_S6_N6thrust23THRUST_200600_302600_NS6detail15normal_iteratorINS9_7pointerIS5_NS9_11hip_rocprim3tagENS9_11use_defaultESF_EEEENSB_INSC_IiSE_SF_SF_EEEEZNS1_13binary_searchIS3_S6_NSB_INS9_10device_ptrIS5_EEEESH_SJ_NS1_16binary_search_opENSA_16wrapped_functionINS9_7greaterIS5_EEbEEEE10hipError_tPvRmT1_T2_T3_mmT4_T5_P12ihipStream_tbEUlRKS5_E_EEST_SX_SY_mSZ_S12_bEUlT_E_NS1_11comp_targetILNS1_3genE3ELNS1_11target_archE908ELNS1_3gpuE7ELNS1_3repE0EEENS1_30default_config_static_selectorELNS0_4arch9wavefront6targetE0EEEvSW_
                                        ; -- End function
	.set _ZN7rocprim17ROCPRIM_400000_NS6detail17trampoline_kernelINS0_14default_configENS1_29binary_search_config_selectorI14custom_numericiEEZNS1_14transform_implILb0ES3_S6_N6thrust23THRUST_200600_302600_NS6detail15normal_iteratorINS9_7pointerIS5_NS9_11hip_rocprim3tagENS9_11use_defaultESF_EEEENSB_INSC_IiSE_SF_SF_EEEEZNS1_13binary_searchIS3_S6_NSB_INS9_10device_ptrIS5_EEEESH_SJ_NS1_16binary_search_opENSA_16wrapped_functionINS9_7greaterIS5_EEbEEEE10hipError_tPvRmT1_T2_T3_mmT4_T5_P12ihipStream_tbEUlRKS5_E_EEST_SX_SY_mSZ_S12_bEUlT_E_NS1_11comp_targetILNS1_3genE3ELNS1_11target_archE908ELNS1_3gpuE7ELNS1_3repE0EEENS1_30default_config_static_selectorELNS0_4arch9wavefront6targetE0EEEvSW_.num_vgpr, 0
	.set _ZN7rocprim17ROCPRIM_400000_NS6detail17trampoline_kernelINS0_14default_configENS1_29binary_search_config_selectorI14custom_numericiEEZNS1_14transform_implILb0ES3_S6_N6thrust23THRUST_200600_302600_NS6detail15normal_iteratorINS9_7pointerIS5_NS9_11hip_rocprim3tagENS9_11use_defaultESF_EEEENSB_INSC_IiSE_SF_SF_EEEEZNS1_13binary_searchIS3_S6_NSB_INS9_10device_ptrIS5_EEEESH_SJ_NS1_16binary_search_opENSA_16wrapped_functionINS9_7greaterIS5_EEbEEEE10hipError_tPvRmT1_T2_T3_mmT4_T5_P12ihipStream_tbEUlRKS5_E_EEST_SX_SY_mSZ_S12_bEUlT_E_NS1_11comp_targetILNS1_3genE3ELNS1_11target_archE908ELNS1_3gpuE7ELNS1_3repE0EEENS1_30default_config_static_selectorELNS0_4arch9wavefront6targetE0EEEvSW_.num_agpr, 0
	.set _ZN7rocprim17ROCPRIM_400000_NS6detail17trampoline_kernelINS0_14default_configENS1_29binary_search_config_selectorI14custom_numericiEEZNS1_14transform_implILb0ES3_S6_N6thrust23THRUST_200600_302600_NS6detail15normal_iteratorINS9_7pointerIS5_NS9_11hip_rocprim3tagENS9_11use_defaultESF_EEEENSB_INSC_IiSE_SF_SF_EEEEZNS1_13binary_searchIS3_S6_NSB_INS9_10device_ptrIS5_EEEESH_SJ_NS1_16binary_search_opENSA_16wrapped_functionINS9_7greaterIS5_EEbEEEE10hipError_tPvRmT1_T2_T3_mmT4_T5_P12ihipStream_tbEUlRKS5_E_EEST_SX_SY_mSZ_S12_bEUlT_E_NS1_11comp_targetILNS1_3genE3ELNS1_11target_archE908ELNS1_3gpuE7ELNS1_3repE0EEENS1_30default_config_static_selectorELNS0_4arch9wavefront6targetE0EEEvSW_.numbered_sgpr, 0
	.set _ZN7rocprim17ROCPRIM_400000_NS6detail17trampoline_kernelINS0_14default_configENS1_29binary_search_config_selectorI14custom_numericiEEZNS1_14transform_implILb0ES3_S6_N6thrust23THRUST_200600_302600_NS6detail15normal_iteratorINS9_7pointerIS5_NS9_11hip_rocprim3tagENS9_11use_defaultESF_EEEENSB_INSC_IiSE_SF_SF_EEEEZNS1_13binary_searchIS3_S6_NSB_INS9_10device_ptrIS5_EEEESH_SJ_NS1_16binary_search_opENSA_16wrapped_functionINS9_7greaterIS5_EEbEEEE10hipError_tPvRmT1_T2_T3_mmT4_T5_P12ihipStream_tbEUlRKS5_E_EEST_SX_SY_mSZ_S12_bEUlT_E_NS1_11comp_targetILNS1_3genE3ELNS1_11target_archE908ELNS1_3gpuE7ELNS1_3repE0EEENS1_30default_config_static_selectorELNS0_4arch9wavefront6targetE0EEEvSW_.num_named_barrier, 0
	.set _ZN7rocprim17ROCPRIM_400000_NS6detail17trampoline_kernelINS0_14default_configENS1_29binary_search_config_selectorI14custom_numericiEEZNS1_14transform_implILb0ES3_S6_N6thrust23THRUST_200600_302600_NS6detail15normal_iteratorINS9_7pointerIS5_NS9_11hip_rocprim3tagENS9_11use_defaultESF_EEEENSB_INSC_IiSE_SF_SF_EEEEZNS1_13binary_searchIS3_S6_NSB_INS9_10device_ptrIS5_EEEESH_SJ_NS1_16binary_search_opENSA_16wrapped_functionINS9_7greaterIS5_EEbEEEE10hipError_tPvRmT1_T2_T3_mmT4_T5_P12ihipStream_tbEUlRKS5_E_EEST_SX_SY_mSZ_S12_bEUlT_E_NS1_11comp_targetILNS1_3genE3ELNS1_11target_archE908ELNS1_3gpuE7ELNS1_3repE0EEENS1_30default_config_static_selectorELNS0_4arch9wavefront6targetE0EEEvSW_.private_seg_size, 0
	.set _ZN7rocprim17ROCPRIM_400000_NS6detail17trampoline_kernelINS0_14default_configENS1_29binary_search_config_selectorI14custom_numericiEEZNS1_14transform_implILb0ES3_S6_N6thrust23THRUST_200600_302600_NS6detail15normal_iteratorINS9_7pointerIS5_NS9_11hip_rocprim3tagENS9_11use_defaultESF_EEEENSB_INSC_IiSE_SF_SF_EEEEZNS1_13binary_searchIS3_S6_NSB_INS9_10device_ptrIS5_EEEESH_SJ_NS1_16binary_search_opENSA_16wrapped_functionINS9_7greaterIS5_EEbEEEE10hipError_tPvRmT1_T2_T3_mmT4_T5_P12ihipStream_tbEUlRKS5_E_EEST_SX_SY_mSZ_S12_bEUlT_E_NS1_11comp_targetILNS1_3genE3ELNS1_11target_archE908ELNS1_3gpuE7ELNS1_3repE0EEENS1_30default_config_static_selectorELNS0_4arch9wavefront6targetE0EEEvSW_.uses_vcc, 0
	.set _ZN7rocprim17ROCPRIM_400000_NS6detail17trampoline_kernelINS0_14default_configENS1_29binary_search_config_selectorI14custom_numericiEEZNS1_14transform_implILb0ES3_S6_N6thrust23THRUST_200600_302600_NS6detail15normal_iteratorINS9_7pointerIS5_NS9_11hip_rocprim3tagENS9_11use_defaultESF_EEEENSB_INSC_IiSE_SF_SF_EEEEZNS1_13binary_searchIS3_S6_NSB_INS9_10device_ptrIS5_EEEESH_SJ_NS1_16binary_search_opENSA_16wrapped_functionINS9_7greaterIS5_EEbEEEE10hipError_tPvRmT1_T2_T3_mmT4_T5_P12ihipStream_tbEUlRKS5_E_EEST_SX_SY_mSZ_S12_bEUlT_E_NS1_11comp_targetILNS1_3genE3ELNS1_11target_archE908ELNS1_3gpuE7ELNS1_3repE0EEENS1_30default_config_static_selectorELNS0_4arch9wavefront6targetE0EEEvSW_.uses_flat_scratch, 0
	.set _ZN7rocprim17ROCPRIM_400000_NS6detail17trampoline_kernelINS0_14default_configENS1_29binary_search_config_selectorI14custom_numericiEEZNS1_14transform_implILb0ES3_S6_N6thrust23THRUST_200600_302600_NS6detail15normal_iteratorINS9_7pointerIS5_NS9_11hip_rocprim3tagENS9_11use_defaultESF_EEEENSB_INSC_IiSE_SF_SF_EEEEZNS1_13binary_searchIS3_S6_NSB_INS9_10device_ptrIS5_EEEESH_SJ_NS1_16binary_search_opENSA_16wrapped_functionINS9_7greaterIS5_EEbEEEE10hipError_tPvRmT1_T2_T3_mmT4_T5_P12ihipStream_tbEUlRKS5_E_EEST_SX_SY_mSZ_S12_bEUlT_E_NS1_11comp_targetILNS1_3genE3ELNS1_11target_archE908ELNS1_3gpuE7ELNS1_3repE0EEENS1_30default_config_static_selectorELNS0_4arch9wavefront6targetE0EEEvSW_.has_dyn_sized_stack, 0
	.set _ZN7rocprim17ROCPRIM_400000_NS6detail17trampoline_kernelINS0_14default_configENS1_29binary_search_config_selectorI14custom_numericiEEZNS1_14transform_implILb0ES3_S6_N6thrust23THRUST_200600_302600_NS6detail15normal_iteratorINS9_7pointerIS5_NS9_11hip_rocprim3tagENS9_11use_defaultESF_EEEENSB_INSC_IiSE_SF_SF_EEEEZNS1_13binary_searchIS3_S6_NSB_INS9_10device_ptrIS5_EEEESH_SJ_NS1_16binary_search_opENSA_16wrapped_functionINS9_7greaterIS5_EEbEEEE10hipError_tPvRmT1_T2_T3_mmT4_T5_P12ihipStream_tbEUlRKS5_E_EEST_SX_SY_mSZ_S12_bEUlT_E_NS1_11comp_targetILNS1_3genE3ELNS1_11target_archE908ELNS1_3gpuE7ELNS1_3repE0EEENS1_30default_config_static_selectorELNS0_4arch9wavefront6targetE0EEEvSW_.has_recursion, 0
	.set _ZN7rocprim17ROCPRIM_400000_NS6detail17trampoline_kernelINS0_14default_configENS1_29binary_search_config_selectorI14custom_numericiEEZNS1_14transform_implILb0ES3_S6_N6thrust23THRUST_200600_302600_NS6detail15normal_iteratorINS9_7pointerIS5_NS9_11hip_rocprim3tagENS9_11use_defaultESF_EEEENSB_INSC_IiSE_SF_SF_EEEEZNS1_13binary_searchIS3_S6_NSB_INS9_10device_ptrIS5_EEEESH_SJ_NS1_16binary_search_opENSA_16wrapped_functionINS9_7greaterIS5_EEbEEEE10hipError_tPvRmT1_T2_T3_mmT4_T5_P12ihipStream_tbEUlRKS5_E_EEST_SX_SY_mSZ_S12_bEUlT_E_NS1_11comp_targetILNS1_3genE3ELNS1_11target_archE908ELNS1_3gpuE7ELNS1_3repE0EEENS1_30default_config_static_selectorELNS0_4arch9wavefront6targetE0EEEvSW_.has_indirect_call, 0
	.section	.AMDGPU.csdata,"",@progbits
; Kernel info:
; codeLenInByte = 0
; TotalNumSgprs: 0
; NumVgprs: 0
; ScratchSize: 0
; MemoryBound: 0
; FloatMode: 240
; IeeeMode: 1
; LDSByteSize: 0 bytes/workgroup (compile time only)
; SGPRBlocks: 0
; VGPRBlocks: 0
; NumSGPRsForWavesPerEU: 1
; NumVGPRsForWavesPerEU: 1
; NamedBarCnt: 0
; Occupancy: 16
; WaveLimiterHint : 0
; COMPUTE_PGM_RSRC2:SCRATCH_EN: 0
; COMPUTE_PGM_RSRC2:USER_SGPR: 2
; COMPUTE_PGM_RSRC2:TRAP_HANDLER: 0
; COMPUTE_PGM_RSRC2:TGID_X_EN: 1
; COMPUTE_PGM_RSRC2:TGID_Y_EN: 0
; COMPUTE_PGM_RSRC2:TGID_Z_EN: 0
; COMPUTE_PGM_RSRC2:TIDIG_COMP_CNT: 0
	.section	.text._ZN7rocprim17ROCPRIM_400000_NS6detail17trampoline_kernelINS0_14default_configENS1_29binary_search_config_selectorI14custom_numericiEEZNS1_14transform_implILb0ES3_S6_N6thrust23THRUST_200600_302600_NS6detail15normal_iteratorINS9_7pointerIS5_NS9_11hip_rocprim3tagENS9_11use_defaultESF_EEEENSB_INSC_IiSE_SF_SF_EEEEZNS1_13binary_searchIS3_S6_NSB_INS9_10device_ptrIS5_EEEESH_SJ_NS1_16binary_search_opENSA_16wrapped_functionINS9_7greaterIS5_EEbEEEE10hipError_tPvRmT1_T2_T3_mmT4_T5_P12ihipStream_tbEUlRKS5_E_EEST_SX_SY_mSZ_S12_bEUlT_E_NS1_11comp_targetILNS1_3genE2ELNS1_11target_archE906ELNS1_3gpuE6ELNS1_3repE0EEENS1_30default_config_static_selectorELNS0_4arch9wavefront6targetE0EEEvSW_,"axG",@progbits,_ZN7rocprim17ROCPRIM_400000_NS6detail17trampoline_kernelINS0_14default_configENS1_29binary_search_config_selectorI14custom_numericiEEZNS1_14transform_implILb0ES3_S6_N6thrust23THRUST_200600_302600_NS6detail15normal_iteratorINS9_7pointerIS5_NS9_11hip_rocprim3tagENS9_11use_defaultESF_EEEENSB_INSC_IiSE_SF_SF_EEEEZNS1_13binary_searchIS3_S6_NSB_INS9_10device_ptrIS5_EEEESH_SJ_NS1_16binary_search_opENSA_16wrapped_functionINS9_7greaterIS5_EEbEEEE10hipError_tPvRmT1_T2_T3_mmT4_T5_P12ihipStream_tbEUlRKS5_E_EEST_SX_SY_mSZ_S12_bEUlT_E_NS1_11comp_targetILNS1_3genE2ELNS1_11target_archE906ELNS1_3gpuE6ELNS1_3repE0EEENS1_30default_config_static_selectorELNS0_4arch9wavefront6targetE0EEEvSW_,comdat
	.protected	_ZN7rocprim17ROCPRIM_400000_NS6detail17trampoline_kernelINS0_14default_configENS1_29binary_search_config_selectorI14custom_numericiEEZNS1_14transform_implILb0ES3_S6_N6thrust23THRUST_200600_302600_NS6detail15normal_iteratorINS9_7pointerIS5_NS9_11hip_rocprim3tagENS9_11use_defaultESF_EEEENSB_INSC_IiSE_SF_SF_EEEEZNS1_13binary_searchIS3_S6_NSB_INS9_10device_ptrIS5_EEEESH_SJ_NS1_16binary_search_opENSA_16wrapped_functionINS9_7greaterIS5_EEbEEEE10hipError_tPvRmT1_T2_T3_mmT4_T5_P12ihipStream_tbEUlRKS5_E_EEST_SX_SY_mSZ_S12_bEUlT_E_NS1_11comp_targetILNS1_3genE2ELNS1_11target_archE906ELNS1_3gpuE6ELNS1_3repE0EEENS1_30default_config_static_selectorELNS0_4arch9wavefront6targetE0EEEvSW_ ; -- Begin function _ZN7rocprim17ROCPRIM_400000_NS6detail17trampoline_kernelINS0_14default_configENS1_29binary_search_config_selectorI14custom_numericiEEZNS1_14transform_implILb0ES3_S6_N6thrust23THRUST_200600_302600_NS6detail15normal_iteratorINS9_7pointerIS5_NS9_11hip_rocprim3tagENS9_11use_defaultESF_EEEENSB_INSC_IiSE_SF_SF_EEEEZNS1_13binary_searchIS3_S6_NSB_INS9_10device_ptrIS5_EEEESH_SJ_NS1_16binary_search_opENSA_16wrapped_functionINS9_7greaterIS5_EEbEEEE10hipError_tPvRmT1_T2_T3_mmT4_T5_P12ihipStream_tbEUlRKS5_E_EEST_SX_SY_mSZ_S12_bEUlT_E_NS1_11comp_targetILNS1_3genE2ELNS1_11target_archE906ELNS1_3gpuE6ELNS1_3repE0EEENS1_30default_config_static_selectorELNS0_4arch9wavefront6targetE0EEEvSW_
	.globl	_ZN7rocprim17ROCPRIM_400000_NS6detail17trampoline_kernelINS0_14default_configENS1_29binary_search_config_selectorI14custom_numericiEEZNS1_14transform_implILb0ES3_S6_N6thrust23THRUST_200600_302600_NS6detail15normal_iteratorINS9_7pointerIS5_NS9_11hip_rocprim3tagENS9_11use_defaultESF_EEEENSB_INSC_IiSE_SF_SF_EEEEZNS1_13binary_searchIS3_S6_NSB_INS9_10device_ptrIS5_EEEESH_SJ_NS1_16binary_search_opENSA_16wrapped_functionINS9_7greaterIS5_EEbEEEE10hipError_tPvRmT1_T2_T3_mmT4_T5_P12ihipStream_tbEUlRKS5_E_EEST_SX_SY_mSZ_S12_bEUlT_E_NS1_11comp_targetILNS1_3genE2ELNS1_11target_archE906ELNS1_3gpuE6ELNS1_3repE0EEENS1_30default_config_static_selectorELNS0_4arch9wavefront6targetE0EEEvSW_
	.p2align	8
	.type	_ZN7rocprim17ROCPRIM_400000_NS6detail17trampoline_kernelINS0_14default_configENS1_29binary_search_config_selectorI14custom_numericiEEZNS1_14transform_implILb0ES3_S6_N6thrust23THRUST_200600_302600_NS6detail15normal_iteratorINS9_7pointerIS5_NS9_11hip_rocprim3tagENS9_11use_defaultESF_EEEENSB_INSC_IiSE_SF_SF_EEEEZNS1_13binary_searchIS3_S6_NSB_INS9_10device_ptrIS5_EEEESH_SJ_NS1_16binary_search_opENSA_16wrapped_functionINS9_7greaterIS5_EEbEEEE10hipError_tPvRmT1_T2_T3_mmT4_T5_P12ihipStream_tbEUlRKS5_E_EEST_SX_SY_mSZ_S12_bEUlT_E_NS1_11comp_targetILNS1_3genE2ELNS1_11target_archE906ELNS1_3gpuE6ELNS1_3repE0EEENS1_30default_config_static_selectorELNS0_4arch9wavefront6targetE0EEEvSW_,@function
_ZN7rocprim17ROCPRIM_400000_NS6detail17trampoline_kernelINS0_14default_configENS1_29binary_search_config_selectorI14custom_numericiEEZNS1_14transform_implILb0ES3_S6_N6thrust23THRUST_200600_302600_NS6detail15normal_iteratorINS9_7pointerIS5_NS9_11hip_rocprim3tagENS9_11use_defaultESF_EEEENSB_INSC_IiSE_SF_SF_EEEEZNS1_13binary_searchIS3_S6_NSB_INS9_10device_ptrIS5_EEEESH_SJ_NS1_16binary_search_opENSA_16wrapped_functionINS9_7greaterIS5_EEbEEEE10hipError_tPvRmT1_T2_T3_mmT4_T5_P12ihipStream_tbEUlRKS5_E_EEST_SX_SY_mSZ_S12_bEUlT_E_NS1_11comp_targetILNS1_3genE2ELNS1_11target_archE906ELNS1_3gpuE6ELNS1_3repE0EEENS1_30default_config_static_selectorELNS0_4arch9wavefront6targetE0EEEvSW_: ; @_ZN7rocprim17ROCPRIM_400000_NS6detail17trampoline_kernelINS0_14default_configENS1_29binary_search_config_selectorI14custom_numericiEEZNS1_14transform_implILb0ES3_S6_N6thrust23THRUST_200600_302600_NS6detail15normal_iteratorINS9_7pointerIS5_NS9_11hip_rocprim3tagENS9_11use_defaultESF_EEEENSB_INSC_IiSE_SF_SF_EEEEZNS1_13binary_searchIS3_S6_NSB_INS9_10device_ptrIS5_EEEESH_SJ_NS1_16binary_search_opENSA_16wrapped_functionINS9_7greaterIS5_EEbEEEE10hipError_tPvRmT1_T2_T3_mmT4_T5_P12ihipStream_tbEUlRKS5_E_EEST_SX_SY_mSZ_S12_bEUlT_E_NS1_11comp_targetILNS1_3genE2ELNS1_11target_archE906ELNS1_3gpuE6ELNS1_3repE0EEENS1_30default_config_static_selectorELNS0_4arch9wavefront6targetE0EEEvSW_
; %bb.0:
	.section	.rodata,"a",@progbits
	.p2align	6, 0x0
	.amdhsa_kernel _ZN7rocprim17ROCPRIM_400000_NS6detail17trampoline_kernelINS0_14default_configENS1_29binary_search_config_selectorI14custom_numericiEEZNS1_14transform_implILb0ES3_S6_N6thrust23THRUST_200600_302600_NS6detail15normal_iteratorINS9_7pointerIS5_NS9_11hip_rocprim3tagENS9_11use_defaultESF_EEEENSB_INSC_IiSE_SF_SF_EEEEZNS1_13binary_searchIS3_S6_NSB_INS9_10device_ptrIS5_EEEESH_SJ_NS1_16binary_search_opENSA_16wrapped_functionINS9_7greaterIS5_EEbEEEE10hipError_tPvRmT1_T2_T3_mmT4_T5_P12ihipStream_tbEUlRKS5_E_EEST_SX_SY_mSZ_S12_bEUlT_E_NS1_11comp_targetILNS1_3genE2ELNS1_11target_archE906ELNS1_3gpuE6ELNS1_3repE0EEENS1_30default_config_static_selectorELNS0_4arch9wavefront6targetE0EEEvSW_
		.amdhsa_group_segment_fixed_size 0
		.amdhsa_private_segment_fixed_size 0
		.amdhsa_kernarg_size 56
		.amdhsa_user_sgpr_count 2
		.amdhsa_user_sgpr_dispatch_ptr 0
		.amdhsa_user_sgpr_queue_ptr 0
		.amdhsa_user_sgpr_kernarg_segment_ptr 1
		.amdhsa_user_sgpr_dispatch_id 0
		.amdhsa_user_sgpr_kernarg_preload_length 0
		.amdhsa_user_sgpr_kernarg_preload_offset 0
		.amdhsa_user_sgpr_private_segment_size 0
		.amdhsa_wavefront_size32 1
		.amdhsa_uses_dynamic_stack 0
		.amdhsa_enable_private_segment 0
		.amdhsa_system_sgpr_workgroup_id_x 1
		.amdhsa_system_sgpr_workgroup_id_y 0
		.amdhsa_system_sgpr_workgroup_id_z 0
		.amdhsa_system_sgpr_workgroup_info 0
		.amdhsa_system_vgpr_workitem_id 0
		.amdhsa_next_free_vgpr 1
		.amdhsa_next_free_sgpr 1
		.amdhsa_named_barrier_count 0
		.amdhsa_reserve_vcc 0
		.amdhsa_float_round_mode_32 0
		.amdhsa_float_round_mode_16_64 0
		.amdhsa_float_denorm_mode_32 3
		.amdhsa_float_denorm_mode_16_64 3
		.amdhsa_fp16_overflow 0
		.amdhsa_memory_ordered 1
		.amdhsa_forward_progress 1
		.amdhsa_inst_pref_size 0
		.amdhsa_round_robin_scheduling 0
		.amdhsa_exception_fp_ieee_invalid_op 0
		.amdhsa_exception_fp_denorm_src 0
		.amdhsa_exception_fp_ieee_div_zero 0
		.amdhsa_exception_fp_ieee_overflow 0
		.amdhsa_exception_fp_ieee_underflow 0
		.amdhsa_exception_fp_ieee_inexact 0
		.amdhsa_exception_int_div_zero 0
	.end_amdhsa_kernel
	.section	.text._ZN7rocprim17ROCPRIM_400000_NS6detail17trampoline_kernelINS0_14default_configENS1_29binary_search_config_selectorI14custom_numericiEEZNS1_14transform_implILb0ES3_S6_N6thrust23THRUST_200600_302600_NS6detail15normal_iteratorINS9_7pointerIS5_NS9_11hip_rocprim3tagENS9_11use_defaultESF_EEEENSB_INSC_IiSE_SF_SF_EEEEZNS1_13binary_searchIS3_S6_NSB_INS9_10device_ptrIS5_EEEESH_SJ_NS1_16binary_search_opENSA_16wrapped_functionINS9_7greaterIS5_EEbEEEE10hipError_tPvRmT1_T2_T3_mmT4_T5_P12ihipStream_tbEUlRKS5_E_EEST_SX_SY_mSZ_S12_bEUlT_E_NS1_11comp_targetILNS1_3genE2ELNS1_11target_archE906ELNS1_3gpuE6ELNS1_3repE0EEENS1_30default_config_static_selectorELNS0_4arch9wavefront6targetE0EEEvSW_,"axG",@progbits,_ZN7rocprim17ROCPRIM_400000_NS6detail17trampoline_kernelINS0_14default_configENS1_29binary_search_config_selectorI14custom_numericiEEZNS1_14transform_implILb0ES3_S6_N6thrust23THRUST_200600_302600_NS6detail15normal_iteratorINS9_7pointerIS5_NS9_11hip_rocprim3tagENS9_11use_defaultESF_EEEENSB_INSC_IiSE_SF_SF_EEEEZNS1_13binary_searchIS3_S6_NSB_INS9_10device_ptrIS5_EEEESH_SJ_NS1_16binary_search_opENSA_16wrapped_functionINS9_7greaterIS5_EEbEEEE10hipError_tPvRmT1_T2_T3_mmT4_T5_P12ihipStream_tbEUlRKS5_E_EEST_SX_SY_mSZ_S12_bEUlT_E_NS1_11comp_targetILNS1_3genE2ELNS1_11target_archE906ELNS1_3gpuE6ELNS1_3repE0EEENS1_30default_config_static_selectorELNS0_4arch9wavefront6targetE0EEEvSW_,comdat
.Lfunc_end180:
	.size	_ZN7rocprim17ROCPRIM_400000_NS6detail17trampoline_kernelINS0_14default_configENS1_29binary_search_config_selectorI14custom_numericiEEZNS1_14transform_implILb0ES3_S6_N6thrust23THRUST_200600_302600_NS6detail15normal_iteratorINS9_7pointerIS5_NS9_11hip_rocprim3tagENS9_11use_defaultESF_EEEENSB_INSC_IiSE_SF_SF_EEEEZNS1_13binary_searchIS3_S6_NSB_INS9_10device_ptrIS5_EEEESH_SJ_NS1_16binary_search_opENSA_16wrapped_functionINS9_7greaterIS5_EEbEEEE10hipError_tPvRmT1_T2_T3_mmT4_T5_P12ihipStream_tbEUlRKS5_E_EEST_SX_SY_mSZ_S12_bEUlT_E_NS1_11comp_targetILNS1_3genE2ELNS1_11target_archE906ELNS1_3gpuE6ELNS1_3repE0EEENS1_30default_config_static_selectorELNS0_4arch9wavefront6targetE0EEEvSW_, .Lfunc_end180-_ZN7rocprim17ROCPRIM_400000_NS6detail17trampoline_kernelINS0_14default_configENS1_29binary_search_config_selectorI14custom_numericiEEZNS1_14transform_implILb0ES3_S6_N6thrust23THRUST_200600_302600_NS6detail15normal_iteratorINS9_7pointerIS5_NS9_11hip_rocprim3tagENS9_11use_defaultESF_EEEENSB_INSC_IiSE_SF_SF_EEEEZNS1_13binary_searchIS3_S6_NSB_INS9_10device_ptrIS5_EEEESH_SJ_NS1_16binary_search_opENSA_16wrapped_functionINS9_7greaterIS5_EEbEEEE10hipError_tPvRmT1_T2_T3_mmT4_T5_P12ihipStream_tbEUlRKS5_E_EEST_SX_SY_mSZ_S12_bEUlT_E_NS1_11comp_targetILNS1_3genE2ELNS1_11target_archE906ELNS1_3gpuE6ELNS1_3repE0EEENS1_30default_config_static_selectorELNS0_4arch9wavefront6targetE0EEEvSW_
                                        ; -- End function
	.set _ZN7rocprim17ROCPRIM_400000_NS6detail17trampoline_kernelINS0_14default_configENS1_29binary_search_config_selectorI14custom_numericiEEZNS1_14transform_implILb0ES3_S6_N6thrust23THRUST_200600_302600_NS6detail15normal_iteratorINS9_7pointerIS5_NS9_11hip_rocprim3tagENS9_11use_defaultESF_EEEENSB_INSC_IiSE_SF_SF_EEEEZNS1_13binary_searchIS3_S6_NSB_INS9_10device_ptrIS5_EEEESH_SJ_NS1_16binary_search_opENSA_16wrapped_functionINS9_7greaterIS5_EEbEEEE10hipError_tPvRmT1_T2_T3_mmT4_T5_P12ihipStream_tbEUlRKS5_E_EEST_SX_SY_mSZ_S12_bEUlT_E_NS1_11comp_targetILNS1_3genE2ELNS1_11target_archE906ELNS1_3gpuE6ELNS1_3repE0EEENS1_30default_config_static_selectorELNS0_4arch9wavefront6targetE0EEEvSW_.num_vgpr, 0
	.set _ZN7rocprim17ROCPRIM_400000_NS6detail17trampoline_kernelINS0_14default_configENS1_29binary_search_config_selectorI14custom_numericiEEZNS1_14transform_implILb0ES3_S6_N6thrust23THRUST_200600_302600_NS6detail15normal_iteratorINS9_7pointerIS5_NS9_11hip_rocprim3tagENS9_11use_defaultESF_EEEENSB_INSC_IiSE_SF_SF_EEEEZNS1_13binary_searchIS3_S6_NSB_INS9_10device_ptrIS5_EEEESH_SJ_NS1_16binary_search_opENSA_16wrapped_functionINS9_7greaterIS5_EEbEEEE10hipError_tPvRmT1_T2_T3_mmT4_T5_P12ihipStream_tbEUlRKS5_E_EEST_SX_SY_mSZ_S12_bEUlT_E_NS1_11comp_targetILNS1_3genE2ELNS1_11target_archE906ELNS1_3gpuE6ELNS1_3repE0EEENS1_30default_config_static_selectorELNS0_4arch9wavefront6targetE0EEEvSW_.num_agpr, 0
	.set _ZN7rocprim17ROCPRIM_400000_NS6detail17trampoline_kernelINS0_14default_configENS1_29binary_search_config_selectorI14custom_numericiEEZNS1_14transform_implILb0ES3_S6_N6thrust23THRUST_200600_302600_NS6detail15normal_iteratorINS9_7pointerIS5_NS9_11hip_rocprim3tagENS9_11use_defaultESF_EEEENSB_INSC_IiSE_SF_SF_EEEEZNS1_13binary_searchIS3_S6_NSB_INS9_10device_ptrIS5_EEEESH_SJ_NS1_16binary_search_opENSA_16wrapped_functionINS9_7greaterIS5_EEbEEEE10hipError_tPvRmT1_T2_T3_mmT4_T5_P12ihipStream_tbEUlRKS5_E_EEST_SX_SY_mSZ_S12_bEUlT_E_NS1_11comp_targetILNS1_3genE2ELNS1_11target_archE906ELNS1_3gpuE6ELNS1_3repE0EEENS1_30default_config_static_selectorELNS0_4arch9wavefront6targetE0EEEvSW_.numbered_sgpr, 0
	.set _ZN7rocprim17ROCPRIM_400000_NS6detail17trampoline_kernelINS0_14default_configENS1_29binary_search_config_selectorI14custom_numericiEEZNS1_14transform_implILb0ES3_S6_N6thrust23THRUST_200600_302600_NS6detail15normal_iteratorINS9_7pointerIS5_NS9_11hip_rocprim3tagENS9_11use_defaultESF_EEEENSB_INSC_IiSE_SF_SF_EEEEZNS1_13binary_searchIS3_S6_NSB_INS9_10device_ptrIS5_EEEESH_SJ_NS1_16binary_search_opENSA_16wrapped_functionINS9_7greaterIS5_EEbEEEE10hipError_tPvRmT1_T2_T3_mmT4_T5_P12ihipStream_tbEUlRKS5_E_EEST_SX_SY_mSZ_S12_bEUlT_E_NS1_11comp_targetILNS1_3genE2ELNS1_11target_archE906ELNS1_3gpuE6ELNS1_3repE0EEENS1_30default_config_static_selectorELNS0_4arch9wavefront6targetE0EEEvSW_.num_named_barrier, 0
	.set _ZN7rocprim17ROCPRIM_400000_NS6detail17trampoline_kernelINS0_14default_configENS1_29binary_search_config_selectorI14custom_numericiEEZNS1_14transform_implILb0ES3_S6_N6thrust23THRUST_200600_302600_NS6detail15normal_iteratorINS9_7pointerIS5_NS9_11hip_rocprim3tagENS9_11use_defaultESF_EEEENSB_INSC_IiSE_SF_SF_EEEEZNS1_13binary_searchIS3_S6_NSB_INS9_10device_ptrIS5_EEEESH_SJ_NS1_16binary_search_opENSA_16wrapped_functionINS9_7greaterIS5_EEbEEEE10hipError_tPvRmT1_T2_T3_mmT4_T5_P12ihipStream_tbEUlRKS5_E_EEST_SX_SY_mSZ_S12_bEUlT_E_NS1_11comp_targetILNS1_3genE2ELNS1_11target_archE906ELNS1_3gpuE6ELNS1_3repE0EEENS1_30default_config_static_selectorELNS0_4arch9wavefront6targetE0EEEvSW_.private_seg_size, 0
	.set _ZN7rocprim17ROCPRIM_400000_NS6detail17trampoline_kernelINS0_14default_configENS1_29binary_search_config_selectorI14custom_numericiEEZNS1_14transform_implILb0ES3_S6_N6thrust23THRUST_200600_302600_NS6detail15normal_iteratorINS9_7pointerIS5_NS9_11hip_rocprim3tagENS9_11use_defaultESF_EEEENSB_INSC_IiSE_SF_SF_EEEEZNS1_13binary_searchIS3_S6_NSB_INS9_10device_ptrIS5_EEEESH_SJ_NS1_16binary_search_opENSA_16wrapped_functionINS9_7greaterIS5_EEbEEEE10hipError_tPvRmT1_T2_T3_mmT4_T5_P12ihipStream_tbEUlRKS5_E_EEST_SX_SY_mSZ_S12_bEUlT_E_NS1_11comp_targetILNS1_3genE2ELNS1_11target_archE906ELNS1_3gpuE6ELNS1_3repE0EEENS1_30default_config_static_selectorELNS0_4arch9wavefront6targetE0EEEvSW_.uses_vcc, 0
	.set _ZN7rocprim17ROCPRIM_400000_NS6detail17trampoline_kernelINS0_14default_configENS1_29binary_search_config_selectorI14custom_numericiEEZNS1_14transform_implILb0ES3_S6_N6thrust23THRUST_200600_302600_NS6detail15normal_iteratorINS9_7pointerIS5_NS9_11hip_rocprim3tagENS9_11use_defaultESF_EEEENSB_INSC_IiSE_SF_SF_EEEEZNS1_13binary_searchIS3_S6_NSB_INS9_10device_ptrIS5_EEEESH_SJ_NS1_16binary_search_opENSA_16wrapped_functionINS9_7greaterIS5_EEbEEEE10hipError_tPvRmT1_T2_T3_mmT4_T5_P12ihipStream_tbEUlRKS5_E_EEST_SX_SY_mSZ_S12_bEUlT_E_NS1_11comp_targetILNS1_3genE2ELNS1_11target_archE906ELNS1_3gpuE6ELNS1_3repE0EEENS1_30default_config_static_selectorELNS0_4arch9wavefront6targetE0EEEvSW_.uses_flat_scratch, 0
	.set _ZN7rocprim17ROCPRIM_400000_NS6detail17trampoline_kernelINS0_14default_configENS1_29binary_search_config_selectorI14custom_numericiEEZNS1_14transform_implILb0ES3_S6_N6thrust23THRUST_200600_302600_NS6detail15normal_iteratorINS9_7pointerIS5_NS9_11hip_rocprim3tagENS9_11use_defaultESF_EEEENSB_INSC_IiSE_SF_SF_EEEEZNS1_13binary_searchIS3_S6_NSB_INS9_10device_ptrIS5_EEEESH_SJ_NS1_16binary_search_opENSA_16wrapped_functionINS9_7greaterIS5_EEbEEEE10hipError_tPvRmT1_T2_T3_mmT4_T5_P12ihipStream_tbEUlRKS5_E_EEST_SX_SY_mSZ_S12_bEUlT_E_NS1_11comp_targetILNS1_3genE2ELNS1_11target_archE906ELNS1_3gpuE6ELNS1_3repE0EEENS1_30default_config_static_selectorELNS0_4arch9wavefront6targetE0EEEvSW_.has_dyn_sized_stack, 0
	.set _ZN7rocprim17ROCPRIM_400000_NS6detail17trampoline_kernelINS0_14default_configENS1_29binary_search_config_selectorI14custom_numericiEEZNS1_14transform_implILb0ES3_S6_N6thrust23THRUST_200600_302600_NS6detail15normal_iteratorINS9_7pointerIS5_NS9_11hip_rocprim3tagENS9_11use_defaultESF_EEEENSB_INSC_IiSE_SF_SF_EEEEZNS1_13binary_searchIS3_S6_NSB_INS9_10device_ptrIS5_EEEESH_SJ_NS1_16binary_search_opENSA_16wrapped_functionINS9_7greaterIS5_EEbEEEE10hipError_tPvRmT1_T2_T3_mmT4_T5_P12ihipStream_tbEUlRKS5_E_EEST_SX_SY_mSZ_S12_bEUlT_E_NS1_11comp_targetILNS1_3genE2ELNS1_11target_archE906ELNS1_3gpuE6ELNS1_3repE0EEENS1_30default_config_static_selectorELNS0_4arch9wavefront6targetE0EEEvSW_.has_recursion, 0
	.set _ZN7rocprim17ROCPRIM_400000_NS6detail17trampoline_kernelINS0_14default_configENS1_29binary_search_config_selectorI14custom_numericiEEZNS1_14transform_implILb0ES3_S6_N6thrust23THRUST_200600_302600_NS6detail15normal_iteratorINS9_7pointerIS5_NS9_11hip_rocprim3tagENS9_11use_defaultESF_EEEENSB_INSC_IiSE_SF_SF_EEEEZNS1_13binary_searchIS3_S6_NSB_INS9_10device_ptrIS5_EEEESH_SJ_NS1_16binary_search_opENSA_16wrapped_functionINS9_7greaterIS5_EEbEEEE10hipError_tPvRmT1_T2_T3_mmT4_T5_P12ihipStream_tbEUlRKS5_E_EEST_SX_SY_mSZ_S12_bEUlT_E_NS1_11comp_targetILNS1_3genE2ELNS1_11target_archE906ELNS1_3gpuE6ELNS1_3repE0EEENS1_30default_config_static_selectorELNS0_4arch9wavefront6targetE0EEEvSW_.has_indirect_call, 0
	.section	.AMDGPU.csdata,"",@progbits
; Kernel info:
; codeLenInByte = 0
; TotalNumSgprs: 0
; NumVgprs: 0
; ScratchSize: 0
; MemoryBound: 0
; FloatMode: 240
; IeeeMode: 1
; LDSByteSize: 0 bytes/workgroup (compile time only)
; SGPRBlocks: 0
; VGPRBlocks: 0
; NumSGPRsForWavesPerEU: 1
; NumVGPRsForWavesPerEU: 1
; NamedBarCnt: 0
; Occupancy: 16
; WaveLimiterHint : 0
; COMPUTE_PGM_RSRC2:SCRATCH_EN: 0
; COMPUTE_PGM_RSRC2:USER_SGPR: 2
; COMPUTE_PGM_RSRC2:TRAP_HANDLER: 0
; COMPUTE_PGM_RSRC2:TGID_X_EN: 1
; COMPUTE_PGM_RSRC2:TGID_Y_EN: 0
; COMPUTE_PGM_RSRC2:TGID_Z_EN: 0
; COMPUTE_PGM_RSRC2:TIDIG_COMP_CNT: 0
	.section	.text._ZN7rocprim17ROCPRIM_400000_NS6detail17trampoline_kernelINS0_14default_configENS1_29binary_search_config_selectorI14custom_numericiEEZNS1_14transform_implILb0ES3_S6_N6thrust23THRUST_200600_302600_NS6detail15normal_iteratorINS9_7pointerIS5_NS9_11hip_rocprim3tagENS9_11use_defaultESF_EEEENSB_INSC_IiSE_SF_SF_EEEEZNS1_13binary_searchIS3_S6_NSB_INS9_10device_ptrIS5_EEEESH_SJ_NS1_16binary_search_opENSA_16wrapped_functionINS9_7greaterIS5_EEbEEEE10hipError_tPvRmT1_T2_T3_mmT4_T5_P12ihipStream_tbEUlRKS5_E_EEST_SX_SY_mSZ_S12_bEUlT_E_NS1_11comp_targetILNS1_3genE10ELNS1_11target_archE1201ELNS1_3gpuE5ELNS1_3repE0EEENS1_30default_config_static_selectorELNS0_4arch9wavefront6targetE0EEEvSW_,"axG",@progbits,_ZN7rocprim17ROCPRIM_400000_NS6detail17trampoline_kernelINS0_14default_configENS1_29binary_search_config_selectorI14custom_numericiEEZNS1_14transform_implILb0ES3_S6_N6thrust23THRUST_200600_302600_NS6detail15normal_iteratorINS9_7pointerIS5_NS9_11hip_rocprim3tagENS9_11use_defaultESF_EEEENSB_INSC_IiSE_SF_SF_EEEEZNS1_13binary_searchIS3_S6_NSB_INS9_10device_ptrIS5_EEEESH_SJ_NS1_16binary_search_opENSA_16wrapped_functionINS9_7greaterIS5_EEbEEEE10hipError_tPvRmT1_T2_T3_mmT4_T5_P12ihipStream_tbEUlRKS5_E_EEST_SX_SY_mSZ_S12_bEUlT_E_NS1_11comp_targetILNS1_3genE10ELNS1_11target_archE1201ELNS1_3gpuE5ELNS1_3repE0EEENS1_30default_config_static_selectorELNS0_4arch9wavefront6targetE0EEEvSW_,comdat
	.protected	_ZN7rocprim17ROCPRIM_400000_NS6detail17trampoline_kernelINS0_14default_configENS1_29binary_search_config_selectorI14custom_numericiEEZNS1_14transform_implILb0ES3_S6_N6thrust23THRUST_200600_302600_NS6detail15normal_iteratorINS9_7pointerIS5_NS9_11hip_rocprim3tagENS9_11use_defaultESF_EEEENSB_INSC_IiSE_SF_SF_EEEEZNS1_13binary_searchIS3_S6_NSB_INS9_10device_ptrIS5_EEEESH_SJ_NS1_16binary_search_opENSA_16wrapped_functionINS9_7greaterIS5_EEbEEEE10hipError_tPvRmT1_T2_T3_mmT4_T5_P12ihipStream_tbEUlRKS5_E_EEST_SX_SY_mSZ_S12_bEUlT_E_NS1_11comp_targetILNS1_3genE10ELNS1_11target_archE1201ELNS1_3gpuE5ELNS1_3repE0EEENS1_30default_config_static_selectorELNS0_4arch9wavefront6targetE0EEEvSW_ ; -- Begin function _ZN7rocprim17ROCPRIM_400000_NS6detail17trampoline_kernelINS0_14default_configENS1_29binary_search_config_selectorI14custom_numericiEEZNS1_14transform_implILb0ES3_S6_N6thrust23THRUST_200600_302600_NS6detail15normal_iteratorINS9_7pointerIS5_NS9_11hip_rocprim3tagENS9_11use_defaultESF_EEEENSB_INSC_IiSE_SF_SF_EEEEZNS1_13binary_searchIS3_S6_NSB_INS9_10device_ptrIS5_EEEESH_SJ_NS1_16binary_search_opENSA_16wrapped_functionINS9_7greaterIS5_EEbEEEE10hipError_tPvRmT1_T2_T3_mmT4_T5_P12ihipStream_tbEUlRKS5_E_EEST_SX_SY_mSZ_S12_bEUlT_E_NS1_11comp_targetILNS1_3genE10ELNS1_11target_archE1201ELNS1_3gpuE5ELNS1_3repE0EEENS1_30default_config_static_selectorELNS0_4arch9wavefront6targetE0EEEvSW_
	.globl	_ZN7rocprim17ROCPRIM_400000_NS6detail17trampoline_kernelINS0_14default_configENS1_29binary_search_config_selectorI14custom_numericiEEZNS1_14transform_implILb0ES3_S6_N6thrust23THRUST_200600_302600_NS6detail15normal_iteratorINS9_7pointerIS5_NS9_11hip_rocprim3tagENS9_11use_defaultESF_EEEENSB_INSC_IiSE_SF_SF_EEEEZNS1_13binary_searchIS3_S6_NSB_INS9_10device_ptrIS5_EEEESH_SJ_NS1_16binary_search_opENSA_16wrapped_functionINS9_7greaterIS5_EEbEEEE10hipError_tPvRmT1_T2_T3_mmT4_T5_P12ihipStream_tbEUlRKS5_E_EEST_SX_SY_mSZ_S12_bEUlT_E_NS1_11comp_targetILNS1_3genE10ELNS1_11target_archE1201ELNS1_3gpuE5ELNS1_3repE0EEENS1_30default_config_static_selectorELNS0_4arch9wavefront6targetE0EEEvSW_
	.p2align	8
	.type	_ZN7rocprim17ROCPRIM_400000_NS6detail17trampoline_kernelINS0_14default_configENS1_29binary_search_config_selectorI14custom_numericiEEZNS1_14transform_implILb0ES3_S6_N6thrust23THRUST_200600_302600_NS6detail15normal_iteratorINS9_7pointerIS5_NS9_11hip_rocprim3tagENS9_11use_defaultESF_EEEENSB_INSC_IiSE_SF_SF_EEEEZNS1_13binary_searchIS3_S6_NSB_INS9_10device_ptrIS5_EEEESH_SJ_NS1_16binary_search_opENSA_16wrapped_functionINS9_7greaterIS5_EEbEEEE10hipError_tPvRmT1_T2_T3_mmT4_T5_P12ihipStream_tbEUlRKS5_E_EEST_SX_SY_mSZ_S12_bEUlT_E_NS1_11comp_targetILNS1_3genE10ELNS1_11target_archE1201ELNS1_3gpuE5ELNS1_3repE0EEENS1_30default_config_static_selectorELNS0_4arch9wavefront6targetE0EEEvSW_,@function
_ZN7rocprim17ROCPRIM_400000_NS6detail17trampoline_kernelINS0_14default_configENS1_29binary_search_config_selectorI14custom_numericiEEZNS1_14transform_implILb0ES3_S6_N6thrust23THRUST_200600_302600_NS6detail15normal_iteratorINS9_7pointerIS5_NS9_11hip_rocprim3tagENS9_11use_defaultESF_EEEENSB_INSC_IiSE_SF_SF_EEEEZNS1_13binary_searchIS3_S6_NSB_INS9_10device_ptrIS5_EEEESH_SJ_NS1_16binary_search_opENSA_16wrapped_functionINS9_7greaterIS5_EEbEEEE10hipError_tPvRmT1_T2_T3_mmT4_T5_P12ihipStream_tbEUlRKS5_E_EEST_SX_SY_mSZ_S12_bEUlT_E_NS1_11comp_targetILNS1_3genE10ELNS1_11target_archE1201ELNS1_3gpuE5ELNS1_3repE0EEENS1_30default_config_static_selectorELNS0_4arch9wavefront6targetE0EEEvSW_: ; @_ZN7rocprim17ROCPRIM_400000_NS6detail17trampoline_kernelINS0_14default_configENS1_29binary_search_config_selectorI14custom_numericiEEZNS1_14transform_implILb0ES3_S6_N6thrust23THRUST_200600_302600_NS6detail15normal_iteratorINS9_7pointerIS5_NS9_11hip_rocprim3tagENS9_11use_defaultESF_EEEENSB_INSC_IiSE_SF_SF_EEEEZNS1_13binary_searchIS3_S6_NSB_INS9_10device_ptrIS5_EEEESH_SJ_NS1_16binary_search_opENSA_16wrapped_functionINS9_7greaterIS5_EEbEEEE10hipError_tPvRmT1_T2_T3_mmT4_T5_P12ihipStream_tbEUlRKS5_E_EEST_SX_SY_mSZ_S12_bEUlT_E_NS1_11comp_targetILNS1_3genE10ELNS1_11target_archE1201ELNS1_3gpuE5ELNS1_3repE0EEENS1_30default_config_static_selectorELNS0_4arch9wavefront6targetE0EEEvSW_
; %bb.0:
	.section	.rodata,"a",@progbits
	.p2align	6, 0x0
	.amdhsa_kernel _ZN7rocprim17ROCPRIM_400000_NS6detail17trampoline_kernelINS0_14default_configENS1_29binary_search_config_selectorI14custom_numericiEEZNS1_14transform_implILb0ES3_S6_N6thrust23THRUST_200600_302600_NS6detail15normal_iteratorINS9_7pointerIS5_NS9_11hip_rocprim3tagENS9_11use_defaultESF_EEEENSB_INSC_IiSE_SF_SF_EEEEZNS1_13binary_searchIS3_S6_NSB_INS9_10device_ptrIS5_EEEESH_SJ_NS1_16binary_search_opENSA_16wrapped_functionINS9_7greaterIS5_EEbEEEE10hipError_tPvRmT1_T2_T3_mmT4_T5_P12ihipStream_tbEUlRKS5_E_EEST_SX_SY_mSZ_S12_bEUlT_E_NS1_11comp_targetILNS1_3genE10ELNS1_11target_archE1201ELNS1_3gpuE5ELNS1_3repE0EEENS1_30default_config_static_selectorELNS0_4arch9wavefront6targetE0EEEvSW_
		.amdhsa_group_segment_fixed_size 0
		.amdhsa_private_segment_fixed_size 0
		.amdhsa_kernarg_size 56
		.amdhsa_user_sgpr_count 2
		.amdhsa_user_sgpr_dispatch_ptr 0
		.amdhsa_user_sgpr_queue_ptr 0
		.amdhsa_user_sgpr_kernarg_segment_ptr 1
		.amdhsa_user_sgpr_dispatch_id 0
		.amdhsa_user_sgpr_kernarg_preload_length 0
		.amdhsa_user_sgpr_kernarg_preload_offset 0
		.amdhsa_user_sgpr_private_segment_size 0
		.amdhsa_wavefront_size32 1
		.amdhsa_uses_dynamic_stack 0
		.amdhsa_enable_private_segment 0
		.amdhsa_system_sgpr_workgroup_id_x 1
		.amdhsa_system_sgpr_workgroup_id_y 0
		.amdhsa_system_sgpr_workgroup_id_z 0
		.amdhsa_system_sgpr_workgroup_info 0
		.amdhsa_system_vgpr_workitem_id 0
		.amdhsa_next_free_vgpr 1
		.amdhsa_next_free_sgpr 1
		.amdhsa_named_barrier_count 0
		.amdhsa_reserve_vcc 0
		.amdhsa_float_round_mode_32 0
		.amdhsa_float_round_mode_16_64 0
		.amdhsa_float_denorm_mode_32 3
		.amdhsa_float_denorm_mode_16_64 3
		.amdhsa_fp16_overflow 0
		.amdhsa_memory_ordered 1
		.amdhsa_forward_progress 1
		.amdhsa_inst_pref_size 0
		.amdhsa_round_robin_scheduling 0
		.amdhsa_exception_fp_ieee_invalid_op 0
		.amdhsa_exception_fp_denorm_src 0
		.amdhsa_exception_fp_ieee_div_zero 0
		.amdhsa_exception_fp_ieee_overflow 0
		.amdhsa_exception_fp_ieee_underflow 0
		.amdhsa_exception_fp_ieee_inexact 0
		.amdhsa_exception_int_div_zero 0
	.end_amdhsa_kernel
	.section	.text._ZN7rocprim17ROCPRIM_400000_NS6detail17trampoline_kernelINS0_14default_configENS1_29binary_search_config_selectorI14custom_numericiEEZNS1_14transform_implILb0ES3_S6_N6thrust23THRUST_200600_302600_NS6detail15normal_iteratorINS9_7pointerIS5_NS9_11hip_rocprim3tagENS9_11use_defaultESF_EEEENSB_INSC_IiSE_SF_SF_EEEEZNS1_13binary_searchIS3_S6_NSB_INS9_10device_ptrIS5_EEEESH_SJ_NS1_16binary_search_opENSA_16wrapped_functionINS9_7greaterIS5_EEbEEEE10hipError_tPvRmT1_T2_T3_mmT4_T5_P12ihipStream_tbEUlRKS5_E_EEST_SX_SY_mSZ_S12_bEUlT_E_NS1_11comp_targetILNS1_3genE10ELNS1_11target_archE1201ELNS1_3gpuE5ELNS1_3repE0EEENS1_30default_config_static_selectorELNS0_4arch9wavefront6targetE0EEEvSW_,"axG",@progbits,_ZN7rocprim17ROCPRIM_400000_NS6detail17trampoline_kernelINS0_14default_configENS1_29binary_search_config_selectorI14custom_numericiEEZNS1_14transform_implILb0ES3_S6_N6thrust23THRUST_200600_302600_NS6detail15normal_iteratorINS9_7pointerIS5_NS9_11hip_rocprim3tagENS9_11use_defaultESF_EEEENSB_INSC_IiSE_SF_SF_EEEEZNS1_13binary_searchIS3_S6_NSB_INS9_10device_ptrIS5_EEEESH_SJ_NS1_16binary_search_opENSA_16wrapped_functionINS9_7greaterIS5_EEbEEEE10hipError_tPvRmT1_T2_T3_mmT4_T5_P12ihipStream_tbEUlRKS5_E_EEST_SX_SY_mSZ_S12_bEUlT_E_NS1_11comp_targetILNS1_3genE10ELNS1_11target_archE1201ELNS1_3gpuE5ELNS1_3repE0EEENS1_30default_config_static_selectorELNS0_4arch9wavefront6targetE0EEEvSW_,comdat
.Lfunc_end181:
	.size	_ZN7rocprim17ROCPRIM_400000_NS6detail17trampoline_kernelINS0_14default_configENS1_29binary_search_config_selectorI14custom_numericiEEZNS1_14transform_implILb0ES3_S6_N6thrust23THRUST_200600_302600_NS6detail15normal_iteratorINS9_7pointerIS5_NS9_11hip_rocprim3tagENS9_11use_defaultESF_EEEENSB_INSC_IiSE_SF_SF_EEEEZNS1_13binary_searchIS3_S6_NSB_INS9_10device_ptrIS5_EEEESH_SJ_NS1_16binary_search_opENSA_16wrapped_functionINS9_7greaterIS5_EEbEEEE10hipError_tPvRmT1_T2_T3_mmT4_T5_P12ihipStream_tbEUlRKS5_E_EEST_SX_SY_mSZ_S12_bEUlT_E_NS1_11comp_targetILNS1_3genE10ELNS1_11target_archE1201ELNS1_3gpuE5ELNS1_3repE0EEENS1_30default_config_static_selectorELNS0_4arch9wavefront6targetE0EEEvSW_, .Lfunc_end181-_ZN7rocprim17ROCPRIM_400000_NS6detail17trampoline_kernelINS0_14default_configENS1_29binary_search_config_selectorI14custom_numericiEEZNS1_14transform_implILb0ES3_S6_N6thrust23THRUST_200600_302600_NS6detail15normal_iteratorINS9_7pointerIS5_NS9_11hip_rocprim3tagENS9_11use_defaultESF_EEEENSB_INSC_IiSE_SF_SF_EEEEZNS1_13binary_searchIS3_S6_NSB_INS9_10device_ptrIS5_EEEESH_SJ_NS1_16binary_search_opENSA_16wrapped_functionINS9_7greaterIS5_EEbEEEE10hipError_tPvRmT1_T2_T3_mmT4_T5_P12ihipStream_tbEUlRKS5_E_EEST_SX_SY_mSZ_S12_bEUlT_E_NS1_11comp_targetILNS1_3genE10ELNS1_11target_archE1201ELNS1_3gpuE5ELNS1_3repE0EEENS1_30default_config_static_selectorELNS0_4arch9wavefront6targetE0EEEvSW_
                                        ; -- End function
	.set _ZN7rocprim17ROCPRIM_400000_NS6detail17trampoline_kernelINS0_14default_configENS1_29binary_search_config_selectorI14custom_numericiEEZNS1_14transform_implILb0ES3_S6_N6thrust23THRUST_200600_302600_NS6detail15normal_iteratorINS9_7pointerIS5_NS9_11hip_rocprim3tagENS9_11use_defaultESF_EEEENSB_INSC_IiSE_SF_SF_EEEEZNS1_13binary_searchIS3_S6_NSB_INS9_10device_ptrIS5_EEEESH_SJ_NS1_16binary_search_opENSA_16wrapped_functionINS9_7greaterIS5_EEbEEEE10hipError_tPvRmT1_T2_T3_mmT4_T5_P12ihipStream_tbEUlRKS5_E_EEST_SX_SY_mSZ_S12_bEUlT_E_NS1_11comp_targetILNS1_3genE10ELNS1_11target_archE1201ELNS1_3gpuE5ELNS1_3repE0EEENS1_30default_config_static_selectorELNS0_4arch9wavefront6targetE0EEEvSW_.num_vgpr, 0
	.set _ZN7rocprim17ROCPRIM_400000_NS6detail17trampoline_kernelINS0_14default_configENS1_29binary_search_config_selectorI14custom_numericiEEZNS1_14transform_implILb0ES3_S6_N6thrust23THRUST_200600_302600_NS6detail15normal_iteratorINS9_7pointerIS5_NS9_11hip_rocprim3tagENS9_11use_defaultESF_EEEENSB_INSC_IiSE_SF_SF_EEEEZNS1_13binary_searchIS3_S6_NSB_INS9_10device_ptrIS5_EEEESH_SJ_NS1_16binary_search_opENSA_16wrapped_functionINS9_7greaterIS5_EEbEEEE10hipError_tPvRmT1_T2_T3_mmT4_T5_P12ihipStream_tbEUlRKS5_E_EEST_SX_SY_mSZ_S12_bEUlT_E_NS1_11comp_targetILNS1_3genE10ELNS1_11target_archE1201ELNS1_3gpuE5ELNS1_3repE0EEENS1_30default_config_static_selectorELNS0_4arch9wavefront6targetE0EEEvSW_.num_agpr, 0
	.set _ZN7rocprim17ROCPRIM_400000_NS6detail17trampoline_kernelINS0_14default_configENS1_29binary_search_config_selectorI14custom_numericiEEZNS1_14transform_implILb0ES3_S6_N6thrust23THRUST_200600_302600_NS6detail15normal_iteratorINS9_7pointerIS5_NS9_11hip_rocprim3tagENS9_11use_defaultESF_EEEENSB_INSC_IiSE_SF_SF_EEEEZNS1_13binary_searchIS3_S6_NSB_INS9_10device_ptrIS5_EEEESH_SJ_NS1_16binary_search_opENSA_16wrapped_functionINS9_7greaterIS5_EEbEEEE10hipError_tPvRmT1_T2_T3_mmT4_T5_P12ihipStream_tbEUlRKS5_E_EEST_SX_SY_mSZ_S12_bEUlT_E_NS1_11comp_targetILNS1_3genE10ELNS1_11target_archE1201ELNS1_3gpuE5ELNS1_3repE0EEENS1_30default_config_static_selectorELNS0_4arch9wavefront6targetE0EEEvSW_.numbered_sgpr, 0
	.set _ZN7rocprim17ROCPRIM_400000_NS6detail17trampoline_kernelINS0_14default_configENS1_29binary_search_config_selectorI14custom_numericiEEZNS1_14transform_implILb0ES3_S6_N6thrust23THRUST_200600_302600_NS6detail15normal_iteratorINS9_7pointerIS5_NS9_11hip_rocprim3tagENS9_11use_defaultESF_EEEENSB_INSC_IiSE_SF_SF_EEEEZNS1_13binary_searchIS3_S6_NSB_INS9_10device_ptrIS5_EEEESH_SJ_NS1_16binary_search_opENSA_16wrapped_functionINS9_7greaterIS5_EEbEEEE10hipError_tPvRmT1_T2_T3_mmT4_T5_P12ihipStream_tbEUlRKS5_E_EEST_SX_SY_mSZ_S12_bEUlT_E_NS1_11comp_targetILNS1_3genE10ELNS1_11target_archE1201ELNS1_3gpuE5ELNS1_3repE0EEENS1_30default_config_static_selectorELNS0_4arch9wavefront6targetE0EEEvSW_.num_named_barrier, 0
	.set _ZN7rocprim17ROCPRIM_400000_NS6detail17trampoline_kernelINS0_14default_configENS1_29binary_search_config_selectorI14custom_numericiEEZNS1_14transform_implILb0ES3_S6_N6thrust23THRUST_200600_302600_NS6detail15normal_iteratorINS9_7pointerIS5_NS9_11hip_rocprim3tagENS9_11use_defaultESF_EEEENSB_INSC_IiSE_SF_SF_EEEEZNS1_13binary_searchIS3_S6_NSB_INS9_10device_ptrIS5_EEEESH_SJ_NS1_16binary_search_opENSA_16wrapped_functionINS9_7greaterIS5_EEbEEEE10hipError_tPvRmT1_T2_T3_mmT4_T5_P12ihipStream_tbEUlRKS5_E_EEST_SX_SY_mSZ_S12_bEUlT_E_NS1_11comp_targetILNS1_3genE10ELNS1_11target_archE1201ELNS1_3gpuE5ELNS1_3repE0EEENS1_30default_config_static_selectorELNS0_4arch9wavefront6targetE0EEEvSW_.private_seg_size, 0
	.set _ZN7rocprim17ROCPRIM_400000_NS6detail17trampoline_kernelINS0_14default_configENS1_29binary_search_config_selectorI14custom_numericiEEZNS1_14transform_implILb0ES3_S6_N6thrust23THRUST_200600_302600_NS6detail15normal_iteratorINS9_7pointerIS5_NS9_11hip_rocprim3tagENS9_11use_defaultESF_EEEENSB_INSC_IiSE_SF_SF_EEEEZNS1_13binary_searchIS3_S6_NSB_INS9_10device_ptrIS5_EEEESH_SJ_NS1_16binary_search_opENSA_16wrapped_functionINS9_7greaterIS5_EEbEEEE10hipError_tPvRmT1_T2_T3_mmT4_T5_P12ihipStream_tbEUlRKS5_E_EEST_SX_SY_mSZ_S12_bEUlT_E_NS1_11comp_targetILNS1_3genE10ELNS1_11target_archE1201ELNS1_3gpuE5ELNS1_3repE0EEENS1_30default_config_static_selectorELNS0_4arch9wavefront6targetE0EEEvSW_.uses_vcc, 0
	.set _ZN7rocprim17ROCPRIM_400000_NS6detail17trampoline_kernelINS0_14default_configENS1_29binary_search_config_selectorI14custom_numericiEEZNS1_14transform_implILb0ES3_S6_N6thrust23THRUST_200600_302600_NS6detail15normal_iteratorINS9_7pointerIS5_NS9_11hip_rocprim3tagENS9_11use_defaultESF_EEEENSB_INSC_IiSE_SF_SF_EEEEZNS1_13binary_searchIS3_S6_NSB_INS9_10device_ptrIS5_EEEESH_SJ_NS1_16binary_search_opENSA_16wrapped_functionINS9_7greaterIS5_EEbEEEE10hipError_tPvRmT1_T2_T3_mmT4_T5_P12ihipStream_tbEUlRKS5_E_EEST_SX_SY_mSZ_S12_bEUlT_E_NS1_11comp_targetILNS1_3genE10ELNS1_11target_archE1201ELNS1_3gpuE5ELNS1_3repE0EEENS1_30default_config_static_selectorELNS0_4arch9wavefront6targetE0EEEvSW_.uses_flat_scratch, 0
	.set _ZN7rocprim17ROCPRIM_400000_NS6detail17trampoline_kernelINS0_14default_configENS1_29binary_search_config_selectorI14custom_numericiEEZNS1_14transform_implILb0ES3_S6_N6thrust23THRUST_200600_302600_NS6detail15normal_iteratorINS9_7pointerIS5_NS9_11hip_rocprim3tagENS9_11use_defaultESF_EEEENSB_INSC_IiSE_SF_SF_EEEEZNS1_13binary_searchIS3_S6_NSB_INS9_10device_ptrIS5_EEEESH_SJ_NS1_16binary_search_opENSA_16wrapped_functionINS9_7greaterIS5_EEbEEEE10hipError_tPvRmT1_T2_T3_mmT4_T5_P12ihipStream_tbEUlRKS5_E_EEST_SX_SY_mSZ_S12_bEUlT_E_NS1_11comp_targetILNS1_3genE10ELNS1_11target_archE1201ELNS1_3gpuE5ELNS1_3repE0EEENS1_30default_config_static_selectorELNS0_4arch9wavefront6targetE0EEEvSW_.has_dyn_sized_stack, 0
	.set _ZN7rocprim17ROCPRIM_400000_NS6detail17trampoline_kernelINS0_14default_configENS1_29binary_search_config_selectorI14custom_numericiEEZNS1_14transform_implILb0ES3_S6_N6thrust23THRUST_200600_302600_NS6detail15normal_iteratorINS9_7pointerIS5_NS9_11hip_rocprim3tagENS9_11use_defaultESF_EEEENSB_INSC_IiSE_SF_SF_EEEEZNS1_13binary_searchIS3_S6_NSB_INS9_10device_ptrIS5_EEEESH_SJ_NS1_16binary_search_opENSA_16wrapped_functionINS9_7greaterIS5_EEbEEEE10hipError_tPvRmT1_T2_T3_mmT4_T5_P12ihipStream_tbEUlRKS5_E_EEST_SX_SY_mSZ_S12_bEUlT_E_NS1_11comp_targetILNS1_3genE10ELNS1_11target_archE1201ELNS1_3gpuE5ELNS1_3repE0EEENS1_30default_config_static_selectorELNS0_4arch9wavefront6targetE0EEEvSW_.has_recursion, 0
	.set _ZN7rocprim17ROCPRIM_400000_NS6detail17trampoline_kernelINS0_14default_configENS1_29binary_search_config_selectorI14custom_numericiEEZNS1_14transform_implILb0ES3_S6_N6thrust23THRUST_200600_302600_NS6detail15normal_iteratorINS9_7pointerIS5_NS9_11hip_rocprim3tagENS9_11use_defaultESF_EEEENSB_INSC_IiSE_SF_SF_EEEEZNS1_13binary_searchIS3_S6_NSB_INS9_10device_ptrIS5_EEEESH_SJ_NS1_16binary_search_opENSA_16wrapped_functionINS9_7greaterIS5_EEbEEEE10hipError_tPvRmT1_T2_T3_mmT4_T5_P12ihipStream_tbEUlRKS5_E_EEST_SX_SY_mSZ_S12_bEUlT_E_NS1_11comp_targetILNS1_3genE10ELNS1_11target_archE1201ELNS1_3gpuE5ELNS1_3repE0EEENS1_30default_config_static_selectorELNS0_4arch9wavefront6targetE0EEEvSW_.has_indirect_call, 0
	.section	.AMDGPU.csdata,"",@progbits
; Kernel info:
; codeLenInByte = 0
; TotalNumSgprs: 0
; NumVgprs: 0
; ScratchSize: 0
; MemoryBound: 0
; FloatMode: 240
; IeeeMode: 1
; LDSByteSize: 0 bytes/workgroup (compile time only)
; SGPRBlocks: 0
; VGPRBlocks: 0
; NumSGPRsForWavesPerEU: 1
; NumVGPRsForWavesPerEU: 1
; NamedBarCnt: 0
; Occupancy: 16
; WaveLimiterHint : 0
; COMPUTE_PGM_RSRC2:SCRATCH_EN: 0
; COMPUTE_PGM_RSRC2:USER_SGPR: 2
; COMPUTE_PGM_RSRC2:TRAP_HANDLER: 0
; COMPUTE_PGM_RSRC2:TGID_X_EN: 1
; COMPUTE_PGM_RSRC2:TGID_Y_EN: 0
; COMPUTE_PGM_RSRC2:TGID_Z_EN: 0
; COMPUTE_PGM_RSRC2:TIDIG_COMP_CNT: 0
	.section	.text._ZN7rocprim17ROCPRIM_400000_NS6detail17trampoline_kernelINS0_14default_configENS1_29binary_search_config_selectorI14custom_numericiEEZNS1_14transform_implILb0ES3_S6_N6thrust23THRUST_200600_302600_NS6detail15normal_iteratorINS9_7pointerIS5_NS9_11hip_rocprim3tagENS9_11use_defaultESF_EEEENSB_INSC_IiSE_SF_SF_EEEEZNS1_13binary_searchIS3_S6_NSB_INS9_10device_ptrIS5_EEEESH_SJ_NS1_16binary_search_opENSA_16wrapped_functionINS9_7greaterIS5_EEbEEEE10hipError_tPvRmT1_T2_T3_mmT4_T5_P12ihipStream_tbEUlRKS5_E_EEST_SX_SY_mSZ_S12_bEUlT_E_NS1_11comp_targetILNS1_3genE10ELNS1_11target_archE1200ELNS1_3gpuE4ELNS1_3repE0EEENS1_30default_config_static_selectorELNS0_4arch9wavefront6targetE0EEEvSW_,"axG",@progbits,_ZN7rocprim17ROCPRIM_400000_NS6detail17trampoline_kernelINS0_14default_configENS1_29binary_search_config_selectorI14custom_numericiEEZNS1_14transform_implILb0ES3_S6_N6thrust23THRUST_200600_302600_NS6detail15normal_iteratorINS9_7pointerIS5_NS9_11hip_rocprim3tagENS9_11use_defaultESF_EEEENSB_INSC_IiSE_SF_SF_EEEEZNS1_13binary_searchIS3_S6_NSB_INS9_10device_ptrIS5_EEEESH_SJ_NS1_16binary_search_opENSA_16wrapped_functionINS9_7greaterIS5_EEbEEEE10hipError_tPvRmT1_T2_T3_mmT4_T5_P12ihipStream_tbEUlRKS5_E_EEST_SX_SY_mSZ_S12_bEUlT_E_NS1_11comp_targetILNS1_3genE10ELNS1_11target_archE1200ELNS1_3gpuE4ELNS1_3repE0EEENS1_30default_config_static_selectorELNS0_4arch9wavefront6targetE0EEEvSW_,comdat
	.protected	_ZN7rocprim17ROCPRIM_400000_NS6detail17trampoline_kernelINS0_14default_configENS1_29binary_search_config_selectorI14custom_numericiEEZNS1_14transform_implILb0ES3_S6_N6thrust23THRUST_200600_302600_NS6detail15normal_iteratorINS9_7pointerIS5_NS9_11hip_rocprim3tagENS9_11use_defaultESF_EEEENSB_INSC_IiSE_SF_SF_EEEEZNS1_13binary_searchIS3_S6_NSB_INS9_10device_ptrIS5_EEEESH_SJ_NS1_16binary_search_opENSA_16wrapped_functionINS9_7greaterIS5_EEbEEEE10hipError_tPvRmT1_T2_T3_mmT4_T5_P12ihipStream_tbEUlRKS5_E_EEST_SX_SY_mSZ_S12_bEUlT_E_NS1_11comp_targetILNS1_3genE10ELNS1_11target_archE1200ELNS1_3gpuE4ELNS1_3repE0EEENS1_30default_config_static_selectorELNS0_4arch9wavefront6targetE0EEEvSW_ ; -- Begin function _ZN7rocprim17ROCPRIM_400000_NS6detail17trampoline_kernelINS0_14default_configENS1_29binary_search_config_selectorI14custom_numericiEEZNS1_14transform_implILb0ES3_S6_N6thrust23THRUST_200600_302600_NS6detail15normal_iteratorINS9_7pointerIS5_NS9_11hip_rocprim3tagENS9_11use_defaultESF_EEEENSB_INSC_IiSE_SF_SF_EEEEZNS1_13binary_searchIS3_S6_NSB_INS9_10device_ptrIS5_EEEESH_SJ_NS1_16binary_search_opENSA_16wrapped_functionINS9_7greaterIS5_EEbEEEE10hipError_tPvRmT1_T2_T3_mmT4_T5_P12ihipStream_tbEUlRKS5_E_EEST_SX_SY_mSZ_S12_bEUlT_E_NS1_11comp_targetILNS1_3genE10ELNS1_11target_archE1200ELNS1_3gpuE4ELNS1_3repE0EEENS1_30default_config_static_selectorELNS0_4arch9wavefront6targetE0EEEvSW_
	.globl	_ZN7rocprim17ROCPRIM_400000_NS6detail17trampoline_kernelINS0_14default_configENS1_29binary_search_config_selectorI14custom_numericiEEZNS1_14transform_implILb0ES3_S6_N6thrust23THRUST_200600_302600_NS6detail15normal_iteratorINS9_7pointerIS5_NS9_11hip_rocprim3tagENS9_11use_defaultESF_EEEENSB_INSC_IiSE_SF_SF_EEEEZNS1_13binary_searchIS3_S6_NSB_INS9_10device_ptrIS5_EEEESH_SJ_NS1_16binary_search_opENSA_16wrapped_functionINS9_7greaterIS5_EEbEEEE10hipError_tPvRmT1_T2_T3_mmT4_T5_P12ihipStream_tbEUlRKS5_E_EEST_SX_SY_mSZ_S12_bEUlT_E_NS1_11comp_targetILNS1_3genE10ELNS1_11target_archE1200ELNS1_3gpuE4ELNS1_3repE0EEENS1_30default_config_static_selectorELNS0_4arch9wavefront6targetE0EEEvSW_
	.p2align	8
	.type	_ZN7rocprim17ROCPRIM_400000_NS6detail17trampoline_kernelINS0_14default_configENS1_29binary_search_config_selectorI14custom_numericiEEZNS1_14transform_implILb0ES3_S6_N6thrust23THRUST_200600_302600_NS6detail15normal_iteratorINS9_7pointerIS5_NS9_11hip_rocprim3tagENS9_11use_defaultESF_EEEENSB_INSC_IiSE_SF_SF_EEEEZNS1_13binary_searchIS3_S6_NSB_INS9_10device_ptrIS5_EEEESH_SJ_NS1_16binary_search_opENSA_16wrapped_functionINS9_7greaterIS5_EEbEEEE10hipError_tPvRmT1_T2_T3_mmT4_T5_P12ihipStream_tbEUlRKS5_E_EEST_SX_SY_mSZ_S12_bEUlT_E_NS1_11comp_targetILNS1_3genE10ELNS1_11target_archE1200ELNS1_3gpuE4ELNS1_3repE0EEENS1_30default_config_static_selectorELNS0_4arch9wavefront6targetE0EEEvSW_,@function
_ZN7rocprim17ROCPRIM_400000_NS6detail17trampoline_kernelINS0_14default_configENS1_29binary_search_config_selectorI14custom_numericiEEZNS1_14transform_implILb0ES3_S6_N6thrust23THRUST_200600_302600_NS6detail15normal_iteratorINS9_7pointerIS5_NS9_11hip_rocprim3tagENS9_11use_defaultESF_EEEENSB_INSC_IiSE_SF_SF_EEEEZNS1_13binary_searchIS3_S6_NSB_INS9_10device_ptrIS5_EEEESH_SJ_NS1_16binary_search_opENSA_16wrapped_functionINS9_7greaterIS5_EEbEEEE10hipError_tPvRmT1_T2_T3_mmT4_T5_P12ihipStream_tbEUlRKS5_E_EEST_SX_SY_mSZ_S12_bEUlT_E_NS1_11comp_targetILNS1_3genE10ELNS1_11target_archE1200ELNS1_3gpuE4ELNS1_3repE0EEENS1_30default_config_static_selectorELNS0_4arch9wavefront6targetE0EEEvSW_: ; @_ZN7rocprim17ROCPRIM_400000_NS6detail17trampoline_kernelINS0_14default_configENS1_29binary_search_config_selectorI14custom_numericiEEZNS1_14transform_implILb0ES3_S6_N6thrust23THRUST_200600_302600_NS6detail15normal_iteratorINS9_7pointerIS5_NS9_11hip_rocprim3tagENS9_11use_defaultESF_EEEENSB_INSC_IiSE_SF_SF_EEEEZNS1_13binary_searchIS3_S6_NSB_INS9_10device_ptrIS5_EEEESH_SJ_NS1_16binary_search_opENSA_16wrapped_functionINS9_7greaterIS5_EEbEEEE10hipError_tPvRmT1_T2_T3_mmT4_T5_P12ihipStream_tbEUlRKS5_E_EEST_SX_SY_mSZ_S12_bEUlT_E_NS1_11comp_targetILNS1_3genE10ELNS1_11target_archE1200ELNS1_3gpuE4ELNS1_3repE0EEENS1_30default_config_static_selectorELNS0_4arch9wavefront6targetE0EEEvSW_
; %bb.0:
	.section	.rodata,"a",@progbits
	.p2align	6, 0x0
	.amdhsa_kernel _ZN7rocprim17ROCPRIM_400000_NS6detail17trampoline_kernelINS0_14default_configENS1_29binary_search_config_selectorI14custom_numericiEEZNS1_14transform_implILb0ES3_S6_N6thrust23THRUST_200600_302600_NS6detail15normal_iteratorINS9_7pointerIS5_NS9_11hip_rocprim3tagENS9_11use_defaultESF_EEEENSB_INSC_IiSE_SF_SF_EEEEZNS1_13binary_searchIS3_S6_NSB_INS9_10device_ptrIS5_EEEESH_SJ_NS1_16binary_search_opENSA_16wrapped_functionINS9_7greaterIS5_EEbEEEE10hipError_tPvRmT1_T2_T3_mmT4_T5_P12ihipStream_tbEUlRKS5_E_EEST_SX_SY_mSZ_S12_bEUlT_E_NS1_11comp_targetILNS1_3genE10ELNS1_11target_archE1200ELNS1_3gpuE4ELNS1_3repE0EEENS1_30default_config_static_selectorELNS0_4arch9wavefront6targetE0EEEvSW_
		.amdhsa_group_segment_fixed_size 0
		.amdhsa_private_segment_fixed_size 0
		.amdhsa_kernarg_size 56
		.amdhsa_user_sgpr_count 2
		.amdhsa_user_sgpr_dispatch_ptr 0
		.amdhsa_user_sgpr_queue_ptr 0
		.amdhsa_user_sgpr_kernarg_segment_ptr 1
		.amdhsa_user_sgpr_dispatch_id 0
		.amdhsa_user_sgpr_kernarg_preload_length 0
		.amdhsa_user_sgpr_kernarg_preload_offset 0
		.amdhsa_user_sgpr_private_segment_size 0
		.amdhsa_wavefront_size32 1
		.amdhsa_uses_dynamic_stack 0
		.amdhsa_enable_private_segment 0
		.amdhsa_system_sgpr_workgroup_id_x 1
		.amdhsa_system_sgpr_workgroup_id_y 0
		.amdhsa_system_sgpr_workgroup_id_z 0
		.amdhsa_system_sgpr_workgroup_info 0
		.amdhsa_system_vgpr_workitem_id 0
		.amdhsa_next_free_vgpr 1
		.amdhsa_next_free_sgpr 1
		.amdhsa_named_barrier_count 0
		.amdhsa_reserve_vcc 0
		.amdhsa_float_round_mode_32 0
		.amdhsa_float_round_mode_16_64 0
		.amdhsa_float_denorm_mode_32 3
		.amdhsa_float_denorm_mode_16_64 3
		.amdhsa_fp16_overflow 0
		.amdhsa_memory_ordered 1
		.amdhsa_forward_progress 1
		.amdhsa_inst_pref_size 0
		.amdhsa_round_robin_scheduling 0
		.amdhsa_exception_fp_ieee_invalid_op 0
		.amdhsa_exception_fp_denorm_src 0
		.amdhsa_exception_fp_ieee_div_zero 0
		.amdhsa_exception_fp_ieee_overflow 0
		.amdhsa_exception_fp_ieee_underflow 0
		.amdhsa_exception_fp_ieee_inexact 0
		.amdhsa_exception_int_div_zero 0
	.end_amdhsa_kernel
	.section	.text._ZN7rocprim17ROCPRIM_400000_NS6detail17trampoline_kernelINS0_14default_configENS1_29binary_search_config_selectorI14custom_numericiEEZNS1_14transform_implILb0ES3_S6_N6thrust23THRUST_200600_302600_NS6detail15normal_iteratorINS9_7pointerIS5_NS9_11hip_rocprim3tagENS9_11use_defaultESF_EEEENSB_INSC_IiSE_SF_SF_EEEEZNS1_13binary_searchIS3_S6_NSB_INS9_10device_ptrIS5_EEEESH_SJ_NS1_16binary_search_opENSA_16wrapped_functionINS9_7greaterIS5_EEbEEEE10hipError_tPvRmT1_T2_T3_mmT4_T5_P12ihipStream_tbEUlRKS5_E_EEST_SX_SY_mSZ_S12_bEUlT_E_NS1_11comp_targetILNS1_3genE10ELNS1_11target_archE1200ELNS1_3gpuE4ELNS1_3repE0EEENS1_30default_config_static_selectorELNS0_4arch9wavefront6targetE0EEEvSW_,"axG",@progbits,_ZN7rocprim17ROCPRIM_400000_NS6detail17trampoline_kernelINS0_14default_configENS1_29binary_search_config_selectorI14custom_numericiEEZNS1_14transform_implILb0ES3_S6_N6thrust23THRUST_200600_302600_NS6detail15normal_iteratorINS9_7pointerIS5_NS9_11hip_rocprim3tagENS9_11use_defaultESF_EEEENSB_INSC_IiSE_SF_SF_EEEEZNS1_13binary_searchIS3_S6_NSB_INS9_10device_ptrIS5_EEEESH_SJ_NS1_16binary_search_opENSA_16wrapped_functionINS9_7greaterIS5_EEbEEEE10hipError_tPvRmT1_T2_T3_mmT4_T5_P12ihipStream_tbEUlRKS5_E_EEST_SX_SY_mSZ_S12_bEUlT_E_NS1_11comp_targetILNS1_3genE10ELNS1_11target_archE1200ELNS1_3gpuE4ELNS1_3repE0EEENS1_30default_config_static_selectorELNS0_4arch9wavefront6targetE0EEEvSW_,comdat
.Lfunc_end182:
	.size	_ZN7rocprim17ROCPRIM_400000_NS6detail17trampoline_kernelINS0_14default_configENS1_29binary_search_config_selectorI14custom_numericiEEZNS1_14transform_implILb0ES3_S6_N6thrust23THRUST_200600_302600_NS6detail15normal_iteratorINS9_7pointerIS5_NS9_11hip_rocprim3tagENS9_11use_defaultESF_EEEENSB_INSC_IiSE_SF_SF_EEEEZNS1_13binary_searchIS3_S6_NSB_INS9_10device_ptrIS5_EEEESH_SJ_NS1_16binary_search_opENSA_16wrapped_functionINS9_7greaterIS5_EEbEEEE10hipError_tPvRmT1_T2_T3_mmT4_T5_P12ihipStream_tbEUlRKS5_E_EEST_SX_SY_mSZ_S12_bEUlT_E_NS1_11comp_targetILNS1_3genE10ELNS1_11target_archE1200ELNS1_3gpuE4ELNS1_3repE0EEENS1_30default_config_static_selectorELNS0_4arch9wavefront6targetE0EEEvSW_, .Lfunc_end182-_ZN7rocprim17ROCPRIM_400000_NS6detail17trampoline_kernelINS0_14default_configENS1_29binary_search_config_selectorI14custom_numericiEEZNS1_14transform_implILb0ES3_S6_N6thrust23THRUST_200600_302600_NS6detail15normal_iteratorINS9_7pointerIS5_NS9_11hip_rocprim3tagENS9_11use_defaultESF_EEEENSB_INSC_IiSE_SF_SF_EEEEZNS1_13binary_searchIS3_S6_NSB_INS9_10device_ptrIS5_EEEESH_SJ_NS1_16binary_search_opENSA_16wrapped_functionINS9_7greaterIS5_EEbEEEE10hipError_tPvRmT1_T2_T3_mmT4_T5_P12ihipStream_tbEUlRKS5_E_EEST_SX_SY_mSZ_S12_bEUlT_E_NS1_11comp_targetILNS1_3genE10ELNS1_11target_archE1200ELNS1_3gpuE4ELNS1_3repE0EEENS1_30default_config_static_selectorELNS0_4arch9wavefront6targetE0EEEvSW_
                                        ; -- End function
	.set _ZN7rocprim17ROCPRIM_400000_NS6detail17trampoline_kernelINS0_14default_configENS1_29binary_search_config_selectorI14custom_numericiEEZNS1_14transform_implILb0ES3_S6_N6thrust23THRUST_200600_302600_NS6detail15normal_iteratorINS9_7pointerIS5_NS9_11hip_rocprim3tagENS9_11use_defaultESF_EEEENSB_INSC_IiSE_SF_SF_EEEEZNS1_13binary_searchIS3_S6_NSB_INS9_10device_ptrIS5_EEEESH_SJ_NS1_16binary_search_opENSA_16wrapped_functionINS9_7greaterIS5_EEbEEEE10hipError_tPvRmT1_T2_T3_mmT4_T5_P12ihipStream_tbEUlRKS5_E_EEST_SX_SY_mSZ_S12_bEUlT_E_NS1_11comp_targetILNS1_3genE10ELNS1_11target_archE1200ELNS1_3gpuE4ELNS1_3repE0EEENS1_30default_config_static_selectorELNS0_4arch9wavefront6targetE0EEEvSW_.num_vgpr, 0
	.set _ZN7rocprim17ROCPRIM_400000_NS6detail17trampoline_kernelINS0_14default_configENS1_29binary_search_config_selectorI14custom_numericiEEZNS1_14transform_implILb0ES3_S6_N6thrust23THRUST_200600_302600_NS6detail15normal_iteratorINS9_7pointerIS5_NS9_11hip_rocprim3tagENS9_11use_defaultESF_EEEENSB_INSC_IiSE_SF_SF_EEEEZNS1_13binary_searchIS3_S6_NSB_INS9_10device_ptrIS5_EEEESH_SJ_NS1_16binary_search_opENSA_16wrapped_functionINS9_7greaterIS5_EEbEEEE10hipError_tPvRmT1_T2_T3_mmT4_T5_P12ihipStream_tbEUlRKS5_E_EEST_SX_SY_mSZ_S12_bEUlT_E_NS1_11comp_targetILNS1_3genE10ELNS1_11target_archE1200ELNS1_3gpuE4ELNS1_3repE0EEENS1_30default_config_static_selectorELNS0_4arch9wavefront6targetE0EEEvSW_.num_agpr, 0
	.set _ZN7rocprim17ROCPRIM_400000_NS6detail17trampoline_kernelINS0_14default_configENS1_29binary_search_config_selectorI14custom_numericiEEZNS1_14transform_implILb0ES3_S6_N6thrust23THRUST_200600_302600_NS6detail15normal_iteratorINS9_7pointerIS5_NS9_11hip_rocprim3tagENS9_11use_defaultESF_EEEENSB_INSC_IiSE_SF_SF_EEEEZNS1_13binary_searchIS3_S6_NSB_INS9_10device_ptrIS5_EEEESH_SJ_NS1_16binary_search_opENSA_16wrapped_functionINS9_7greaterIS5_EEbEEEE10hipError_tPvRmT1_T2_T3_mmT4_T5_P12ihipStream_tbEUlRKS5_E_EEST_SX_SY_mSZ_S12_bEUlT_E_NS1_11comp_targetILNS1_3genE10ELNS1_11target_archE1200ELNS1_3gpuE4ELNS1_3repE0EEENS1_30default_config_static_selectorELNS0_4arch9wavefront6targetE0EEEvSW_.numbered_sgpr, 0
	.set _ZN7rocprim17ROCPRIM_400000_NS6detail17trampoline_kernelINS0_14default_configENS1_29binary_search_config_selectorI14custom_numericiEEZNS1_14transform_implILb0ES3_S6_N6thrust23THRUST_200600_302600_NS6detail15normal_iteratorINS9_7pointerIS5_NS9_11hip_rocprim3tagENS9_11use_defaultESF_EEEENSB_INSC_IiSE_SF_SF_EEEEZNS1_13binary_searchIS3_S6_NSB_INS9_10device_ptrIS5_EEEESH_SJ_NS1_16binary_search_opENSA_16wrapped_functionINS9_7greaterIS5_EEbEEEE10hipError_tPvRmT1_T2_T3_mmT4_T5_P12ihipStream_tbEUlRKS5_E_EEST_SX_SY_mSZ_S12_bEUlT_E_NS1_11comp_targetILNS1_3genE10ELNS1_11target_archE1200ELNS1_3gpuE4ELNS1_3repE0EEENS1_30default_config_static_selectorELNS0_4arch9wavefront6targetE0EEEvSW_.num_named_barrier, 0
	.set _ZN7rocprim17ROCPRIM_400000_NS6detail17trampoline_kernelINS0_14default_configENS1_29binary_search_config_selectorI14custom_numericiEEZNS1_14transform_implILb0ES3_S6_N6thrust23THRUST_200600_302600_NS6detail15normal_iteratorINS9_7pointerIS5_NS9_11hip_rocprim3tagENS9_11use_defaultESF_EEEENSB_INSC_IiSE_SF_SF_EEEEZNS1_13binary_searchIS3_S6_NSB_INS9_10device_ptrIS5_EEEESH_SJ_NS1_16binary_search_opENSA_16wrapped_functionINS9_7greaterIS5_EEbEEEE10hipError_tPvRmT1_T2_T3_mmT4_T5_P12ihipStream_tbEUlRKS5_E_EEST_SX_SY_mSZ_S12_bEUlT_E_NS1_11comp_targetILNS1_3genE10ELNS1_11target_archE1200ELNS1_3gpuE4ELNS1_3repE0EEENS1_30default_config_static_selectorELNS0_4arch9wavefront6targetE0EEEvSW_.private_seg_size, 0
	.set _ZN7rocprim17ROCPRIM_400000_NS6detail17trampoline_kernelINS0_14default_configENS1_29binary_search_config_selectorI14custom_numericiEEZNS1_14transform_implILb0ES3_S6_N6thrust23THRUST_200600_302600_NS6detail15normal_iteratorINS9_7pointerIS5_NS9_11hip_rocprim3tagENS9_11use_defaultESF_EEEENSB_INSC_IiSE_SF_SF_EEEEZNS1_13binary_searchIS3_S6_NSB_INS9_10device_ptrIS5_EEEESH_SJ_NS1_16binary_search_opENSA_16wrapped_functionINS9_7greaterIS5_EEbEEEE10hipError_tPvRmT1_T2_T3_mmT4_T5_P12ihipStream_tbEUlRKS5_E_EEST_SX_SY_mSZ_S12_bEUlT_E_NS1_11comp_targetILNS1_3genE10ELNS1_11target_archE1200ELNS1_3gpuE4ELNS1_3repE0EEENS1_30default_config_static_selectorELNS0_4arch9wavefront6targetE0EEEvSW_.uses_vcc, 0
	.set _ZN7rocprim17ROCPRIM_400000_NS6detail17trampoline_kernelINS0_14default_configENS1_29binary_search_config_selectorI14custom_numericiEEZNS1_14transform_implILb0ES3_S6_N6thrust23THRUST_200600_302600_NS6detail15normal_iteratorINS9_7pointerIS5_NS9_11hip_rocprim3tagENS9_11use_defaultESF_EEEENSB_INSC_IiSE_SF_SF_EEEEZNS1_13binary_searchIS3_S6_NSB_INS9_10device_ptrIS5_EEEESH_SJ_NS1_16binary_search_opENSA_16wrapped_functionINS9_7greaterIS5_EEbEEEE10hipError_tPvRmT1_T2_T3_mmT4_T5_P12ihipStream_tbEUlRKS5_E_EEST_SX_SY_mSZ_S12_bEUlT_E_NS1_11comp_targetILNS1_3genE10ELNS1_11target_archE1200ELNS1_3gpuE4ELNS1_3repE0EEENS1_30default_config_static_selectorELNS0_4arch9wavefront6targetE0EEEvSW_.uses_flat_scratch, 0
	.set _ZN7rocprim17ROCPRIM_400000_NS6detail17trampoline_kernelINS0_14default_configENS1_29binary_search_config_selectorI14custom_numericiEEZNS1_14transform_implILb0ES3_S6_N6thrust23THRUST_200600_302600_NS6detail15normal_iteratorINS9_7pointerIS5_NS9_11hip_rocprim3tagENS9_11use_defaultESF_EEEENSB_INSC_IiSE_SF_SF_EEEEZNS1_13binary_searchIS3_S6_NSB_INS9_10device_ptrIS5_EEEESH_SJ_NS1_16binary_search_opENSA_16wrapped_functionINS9_7greaterIS5_EEbEEEE10hipError_tPvRmT1_T2_T3_mmT4_T5_P12ihipStream_tbEUlRKS5_E_EEST_SX_SY_mSZ_S12_bEUlT_E_NS1_11comp_targetILNS1_3genE10ELNS1_11target_archE1200ELNS1_3gpuE4ELNS1_3repE0EEENS1_30default_config_static_selectorELNS0_4arch9wavefront6targetE0EEEvSW_.has_dyn_sized_stack, 0
	.set _ZN7rocprim17ROCPRIM_400000_NS6detail17trampoline_kernelINS0_14default_configENS1_29binary_search_config_selectorI14custom_numericiEEZNS1_14transform_implILb0ES3_S6_N6thrust23THRUST_200600_302600_NS6detail15normal_iteratorINS9_7pointerIS5_NS9_11hip_rocprim3tagENS9_11use_defaultESF_EEEENSB_INSC_IiSE_SF_SF_EEEEZNS1_13binary_searchIS3_S6_NSB_INS9_10device_ptrIS5_EEEESH_SJ_NS1_16binary_search_opENSA_16wrapped_functionINS9_7greaterIS5_EEbEEEE10hipError_tPvRmT1_T2_T3_mmT4_T5_P12ihipStream_tbEUlRKS5_E_EEST_SX_SY_mSZ_S12_bEUlT_E_NS1_11comp_targetILNS1_3genE10ELNS1_11target_archE1200ELNS1_3gpuE4ELNS1_3repE0EEENS1_30default_config_static_selectorELNS0_4arch9wavefront6targetE0EEEvSW_.has_recursion, 0
	.set _ZN7rocprim17ROCPRIM_400000_NS6detail17trampoline_kernelINS0_14default_configENS1_29binary_search_config_selectorI14custom_numericiEEZNS1_14transform_implILb0ES3_S6_N6thrust23THRUST_200600_302600_NS6detail15normal_iteratorINS9_7pointerIS5_NS9_11hip_rocprim3tagENS9_11use_defaultESF_EEEENSB_INSC_IiSE_SF_SF_EEEEZNS1_13binary_searchIS3_S6_NSB_INS9_10device_ptrIS5_EEEESH_SJ_NS1_16binary_search_opENSA_16wrapped_functionINS9_7greaterIS5_EEbEEEE10hipError_tPvRmT1_T2_T3_mmT4_T5_P12ihipStream_tbEUlRKS5_E_EEST_SX_SY_mSZ_S12_bEUlT_E_NS1_11comp_targetILNS1_3genE10ELNS1_11target_archE1200ELNS1_3gpuE4ELNS1_3repE0EEENS1_30default_config_static_selectorELNS0_4arch9wavefront6targetE0EEEvSW_.has_indirect_call, 0
	.section	.AMDGPU.csdata,"",@progbits
; Kernel info:
; codeLenInByte = 0
; TotalNumSgprs: 0
; NumVgprs: 0
; ScratchSize: 0
; MemoryBound: 0
; FloatMode: 240
; IeeeMode: 1
; LDSByteSize: 0 bytes/workgroup (compile time only)
; SGPRBlocks: 0
; VGPRBlocks: 0
; NumSGPRsForWavesPerEU: 1
; NumVGPRsForWavesPerEU: 1
; NamedBarCnt: 0
; Occupancy: 16
; WaveLimiterHint : 0
; COMPUTE_PGM_RSRC2:SCRATCH_EN: 0
; COMPUTE_PGM_RSRC2:USER_SGPR: 2
; COMPUTE_PGM_RSRC2:TRAP_HANDLER: 0
; COMPUTE_PGM_RSRC2:TGID_X_EN: 1
; COMPUTE_PGM_RSRC2:TGID_Y_EN: 0
; COMPUTE_PGM_RSRC2:TGID_Z_EN: 0
; COMPUTE_PGM_RSRC2:TIDIG_COMP_CNT: 0
	.section	.text._ZN7rocprim17ROCPRIM_400000_NS6detail17trampoline_kernelINS0_14default_configENS1_29binary_search_config_selectorI14custom_numericiEEZNS1_14transform_implILb0ES3_S6_N6thrust23THRUST_200600_302600_NS6detail15normal_iteratorINS9_7pointerIS5_NS9_11hip_rocprim3tagENS9_11use_defaultESF_EEEENSB_INSC_IiSE_SF_SF_EEEEZNS1_13binary_searchIS3_S6_NSB_INS9_10device_ptrIS5_EEEESH_SJ_NS1_16binary_search_opENSA_16wrapped_functionINS9_7greaterIS5_EEbEEEE10hipError_tPvRmT1_T2_T3_mmT4_T5_P12ihipStream_tbEUlRKS5_E_EEST_SX_SY_mSZ_S12_bEUlT_E_NS1_11comp_targetILNS1_3genE9ELNS1_11target_archE1100ELNS1_3gpuE3ELNS1_3repE0EEENS1_30default_config_static_selectorELNS0_4arch9wavefront6targetE0EEEvSW_,"axG",@progbits,_ZN7rocprim17ROCPRIM_400000_NS6detail17trampoline_kernelINS0_14default_configENS1_29binary_search_config_selectorI14custom_numericiEEZNS1_14transform_implILb0ES3_S6_N6thrust23THRUST_200600_302600_NS6detail15normal_iteratorINS9_7pointerIS5_NS9_11hip_rocprim3tagENS9_11use_defaultESF_EEEENSB_INSC_IiSE_SF_SF_EEEEZNS1_13binary_searchIS3_S6_NSB_INS9_10device_ptrIS5_EEEESH_SJ_NS1_16binary_search_opENSA_16wrapped_functionINS9_7greaterIS5_EEbEEEE10hipError_tPvRmT1_T2_T3_mmT4_T5_P12ihipStream_tbEUlRKS5_E_EEST_SX_SY_mSZ_S12_bEUlT_E_NS1_11comp_targetILNS1_3genE9ELNS1_11target_archE1100ELNS1_3gpuE3ELNS1_3repE0EEENS1_30default_config_static_selectorELNS0_4arch9wavefront6targetE0EEEvSW_,comdat
	.protected	_ZN7rocprim17ROCPRIM_400000_NS6detail17trampoline_kernelINS0_14default_configENS1_29binary_search_config_selectorI14custom_numericiEEZNS1_14transform_implILb0ES3_S6_N6thrust23THRUST_200600_302600_NS6detail15normal_iteratorINS9_7pointerIS5_NS9_11hip_rocprim3tagENS9_11use_defaultESF_EEEENSB_INSC_IiSE_SF_SF_EEEEZNS1_13binary_searchIS3_S6_NSB_INS9_10device_ptrIS5_EEEESH_SJ_NS1_16binary_search_opENSA_16wrapped_functionINS9_7greaterIS5_EEbEEEE10hipError_tPvRmT1_T2_T3_mmT4_T5_P12ihipStream_tbEUlRKS5_E_EEST_SX_SY_mSZ_S12_bEUlT_E_NS1_11comp_targetILNS1_3genE9ELNS1_11target_archE1100ELNS1_3gpuE3ELNS1_3repE0EEENS1_30default_config_static_selectorELNS0_4arch9wavefront6targetE0EEEvSW_ ; -- Begin function _ZN7rocprim17ROCPRIM_400000_NS6detail17trampoline_kernelINS0_14default_configENS1_29binary_search_config_selectorI14custom_numericiEEZNS1_14transform_implILb0ES3_S6_N6thrust23THRUST_200600_302600_NS6detail15normal_iteratorINS9_7pointerIS5_NS9_11hip_rocprim3tagENS9_11use_defaultESF_EEEENSB_INSC_IiSE_SF_SF_EEEEZNS1_13binary_searchIS3_S6_NSB_INS9_10device_ptrIS5_EEEESH_SJ_NS1_16binary_search_opENSA_16wrapped_functionINS9_7greaterIS5_EEbEEEE10hipError_tPvRmT1_T2_T3_mmT4_T5_P12ihipStream_tbEUlRKS5_E_EEST_SX_SY_mSZ_S12_bEUlT_E_NS1_11comp_targetILNS1_3genE9ELNS1_11target_archE1100ELNS1_3gpuE3ELNS1_3repE0EEENS1_30default_config_static_selectorELNS0_4arch9wavefront6targetE0EEEvSW_
	.globl	_ZN7rocprim17ROCPRIM_400000_NS6detail17trampoline_kernelINS0_14default_configENS1_29binary_search_config_selectorI14custom_numericiEEZNS1_14transform_implILb0ES3_S6_N6thrust23THRUST_200600_302600_NS6detail15normal_iteratorINS9_7pointerIS5_NS9_11hip_rocprim3tagENS9_11use_defaultESF_EEEENSB_INSC_IiSE_SF_SF_EEEEZNS1_13binary_searchIS3_S6_NSB_INS9_10device_ptrIS5_EEEESH_SJ_NS1_16binary_search_opENSA_16wrapped_functionINS9_7greaterIS5_EEbEEEE10hipError_tPvRmT1_T2_T3_mmT4_T5_P12ihipStream_tbEUlRKS5_E_EEST_SX_SY_mSZ_S12_bEUlT_E_NS1_11comp_targetILNS1_3genE9ELNS1_11target_archE1100ELNS1_3gpuE3ELNS1_3repE0EEENS1_30default_config_static_selectorELNS0_4arch9wavefront6targetE0EEEvSW_
	.p2align	8
	.type	_ZN7rocprim17ROCPRIM_400000_NS6detail17trampoline_kernelINS0_14default_configENS1_29binary_search_config_selectorI14custom_numericiEEZNS1_14transform_implILb0ES3_S6_N6thrust23THRUST_200600_302600_NS6detail15normal_iteratorINS9_7pointerIS5_NS9_11hip_rocprim3tagENS9_11use_defaultESF_EEEENSB_INSC_IiSE_SF_SF_EEEEZNS1_13binary_searchIS3_S6_NSB_INS9_10device_ptrIS5_EEEESH_SJ_NS1_16binary_search_opENSA_16wrapped_functionINS9_7greaterIS5_EEbEEEE10hipError_tPvRmT1_T2_T3_mmT4_T5_P12ihipStream_tbEUlRKS5_E_EEST_SX_SY_mSZ_S12_bEUlT_E_NS1_11comp_targetILNS1_3genE9ELNS1_11target_archE1100ELNS1_3gpuE3ELNS1_3repE0EEENS1_30default_config_static_selectorELNS0_4arch9wavefront6targetE0EEEvSW_,@function
_ZN7rocprim17ROCPRIM_400000_NS6detail17trampoline_kernelINS0_14default_configENS1_29binary_search_config_selectorI14custom_numericiEEZNS1_14transform_implILb0ES3_S6_N6thrust23THRUST_200600_302600_NS6detail15normal_iteratorINS9_7pointerIS5_NS9_11hip_rocprim3tagENS9_11use_defaultESF_EEEENSB_INSC_IiSE_SF_SF_EEEEZNS1_13binary_searchIS3_S6_NSB_INS9_10device_ptrIS5_EEEESH_SJ_NS1_16binary_search_opENSA_16wrapped_functionINS9_7greaterIS5_EEbEEEE10hipError_tPvRmT1_T2_T3_mmT4_T5_P12ihipStream_tbEUlRKS5_E_EEST_SX_SY_mSZ_S12_bEUlT_E_NS1_11comp_targetILNS1_3genE9ELNS1_11target_archE1100ELNS1_3gpuE3ELNS1_3repE0EEENS1_30default_config_static_selectorELNS0_4arch9wavefront6targetE0EEEvSW_: ; @_ZN7rocprim17ROCPRIM_400000_NS6detail17trampoline_kernelINS0_14default_configENS1_29binary_search_config_selectorI14custom_numericiEEZNS1_14transform_implILb0ES3_S6_N6thrust23THRUST_200600_302600_NS6detail15normal_iteratorINS9_7pointerIS5_NS9_11hip_rocprim3tagENS9_11use_defaultESF_EEEENSB_INSC_IiSE_SF_SF_EEEEZNS1_13binary_searchIS3_S6_NSB_INS9_10device_ptrIS5_EEEESH_SJ_NS1_16binary_search_opENSA_16wrapped_functionINS9_7greaterIS5_EEbEEEE10hipError_tPvRmT1_T2_T3_mmT4_T5_P12ihipStream_tbEUlRKS5_E_EEST_SX_SY_mSZ_S12_bEUlT_E_NS1_11comp_targetILNS1_3genE9ELNS1_11target_archE1100ELNS1_3gpuE3ELNS1_3repE0EEENS1_30default_config_static_selectorELNS0_4arch9wavefront6targetE0EEEvSW_
; %bb.0:
	.section	.rodata,"a",@progbits
	.p2align	6, 0x0
	.amdhsa_kernel _ZN7rocprim17ROCPRIM_400000_NS6detail17trampoline_kernelINS0_14default_configENS1_29binary_search_config_selectorI14custom_numericiEEZNS1_14transform_implILb0ES3_S6_N6thrust23THRUST_200600_302600_NS6detail15normal_iteratorINS9_7pointerIS5_NS9_11hip_rocprim3tagENS9_11use_defaultESF_EEEENSB_INSC_IiSE_SF_SF_EEEEZNS1_13binary_searchIS3_S6_NSB_INS9_10device_ptrIS5_EEEESH_SJ_NS1_16binary_search_opENSA_16wrapped_functionINS9_7greaterIS5_EEbEEEE10hipError_tPvRmT1_T2_T3_mmT4_T5_P12ihipStream_tbEUlRKS5_E_EEST_SX_SY_mSZ_S12_bEUlT_E_NS1_11comp_targetILNS1_3genE9ELNS1_11target_archE1100ELNS1_3gpuE3ELNS1_3repE0EEENS1_30default_config_static_selectorELNS0_4arch9wavefront6targetE0EEEvSW_
		.amdhsa_group_segment_fixed_size 0
		.amdhsa_private_segment_fixed_size 0
		.amdhsa_kernarg_size 56
		.amdhsa_user_sgpr_count 2
		.amdhsa_user_sgpr_dispatch_ptr 0
		.amdhsa_user_sgpr_queue_ptr 0
		.amdhsa_user_sgpr_kernarg_segment_ptr 1
		.amdhsa_user_sgpr_dispatch_id 0
		.amdhsa_user_sgpr_kernarg_preload_length 0
		.amdhsa_user_sgpr_kernarg_preload_offset 0
		.amdhsa_user_sgpr_private_segment_size 0
		.amdhsa_wavefront_size32 1
		.amdhsa_uses_dynamic_stack 0
		.amdhsa_enable_private_segment 0
		.amdhsa_system_sgpr_workgroup_id_x 1
		.amdhsa_system_sgpr_workgroup_id_y 0
		.amdhsa_system_sgpr_workgroup_id_z 0
		.amdhsa_system_sgpr_workgroup_info 0
		.amdhsa_system_vgpr_workitem_id 0
		.amdhsa_next_free_vgpr 1
		.amdhsa_next_free_sgpr 1
		.amdhsa_named_barrier_count 0
		.amdhsa_reserve_vcc 0
		.amdhsa_float_round_mode_32 0
		.amdhsa_float_round_mode_16_64 0
		.amdhsa_float_denorm_mode_32 3
		.amdhsa_float_denorm_mode_16_64 3
		.amdhsa_fp16_overflow 0
		.amdhsa_memory_ordered 1
		.amdhsa_forward_progress 1
		.amdhsa_inst_pref_size 0
		.amdhsa_round_robin_scheduling 0
		.amdhsa_exception_fp_ieee_invalid_op 0
		.amdhsa_exception_fp_denorm_src 0
		.amdhsa_exception_fp_ieee_div_zero 0
		.amdhsa_exception_fp_ieee_overflow 0
		.amdhsa_exception_fp_ieee_underflow 0
		.amdhsa_exception_fp_ieee_inexact 0
		.amdhsa_exception_int_div_zero 0
	.end_amdhsa_kernel
	.section	.text._ZN7rocprim17ROCPRIM_400000_NS6detail17trampoline_kernelINS0_14default_configENS1_29binary_search_config_selectorI14custom_numericiEEZNS1_14transform_implILb0ES3_S6_N6thrust23THRUST_200600_302600_NS6detail15normal_iteratorINS9_7pointerIS5_NS9_11hip_rocprim3tagENS9_11use_defaultESF_EEEENSB_INSC_IiSE_SF_SF_EEEEZNS1_13binary_searchIS3_S6_NSB_INS9_10device_ptrIS5_EEEESH_SJ_NS1_16binary_search_opENSA_16wrapped_functionINS9_7greaterIS5_EEbEEEE10hipError_tPvRmT1_T2_T3_mmT4_T5_P12ihipStream_tbEUlRKS5_E_EEST_SX_SY_mSZ_S12_bEUlT_E_NS1_11comp_targetILNS1_3genE9ELNS1_11target_archE1100ELNS1_3gpuE3ELNS1_3repE0EEENS1_30default_config_static_selectorELNS0_4arch9wavefront6targetE0EEEvSW_,"axG",@progbits,_ZN7rocprim17ROCPRIM_400000_NS6detail17trampoline_kernelINS0_14default_configENS1_29binary_search_config_selectorI14custom_numericiEEZNS1_14transform_implILb0ES3_S6_N6thrust23THRUST_200600_302600_NS6detail15normal_iteratorINS9_7pointerIS5_NS9_11hip_rocprim3tagENS9_11use_defaultESF_EEEENSB_INSC_IiSE_SF_SF_EEEEZNS1_13binary_searchIS3_S6_NSB_INS9_10device_ptrIS5_EEEESH_SJ_NS1_16binary_search_opENSA_16wrapped_functionINS9_7greaterIS5_EEbEEEE10hipError_tPvRmT1_T2_T3_mmT4_T5_P12ihipStream_tbEUlRKS5_E_EEST_SX_SY_mSZ_S12_bEUlT_E_NS1_11comp_targetILNS1_3genE9ELNS1_11target_archE1100ELNS1_3gpuE3ELNS1_3repE0EEENS1_30default_config_static_selectorELNS0_4arch9wavefront6targetE0EEEvSW_,comdat
.Lfunc_end183:
	.size	_ZN7rocprim17ROCPRIM_400000_NS6detail17trampoline_kernelINS0_14default_configENS1_29binary_search_config_selectorI14custom_numericiEEZNS1_14transform_implILb0ES3_S6_N6thrust23THRUST_200600_302600_NS6detail15normal_iteratorINS9_7pointerIS5_NS9_11hip_rocprim3tagENS9_11use_defaultESF_EEEENSB_INSC_IiSE_SF_SF_EEEEZNS1_13binary_searchIS3_S6_NSB_INS9_10device_ptrIS5_EEEESH_SJ_NS1_16binary_search_opENSA_16wrapped_functionINS9_7greaterIS5_EEbEEEE10hipError_tPvRmT1_T2_T3_mmT4_T5_P12ihipStream_tbEUlRKS5_E_EEST_SX_SY_mSZ_S12_bEUlT_E_NS1_11comp_targetILNS1_3genE9ELNS1_11target_archE1100ELNS1_3gpuE3ELNS1_3repE0EEENS1_30default_config_static_selectorELNS0_4arch9wavefront6targetE0EEEvSW_, .Lfunc_end183-_ZN7rocprim17ROCPRIM_400000_NS6detail17trampoline_kernelINS0_14default_configENS1_29binary_search_config_selectorI14custom_numericiEEZNS1_14transform_implILb0ES3_S6_N6thrust23THRUST_200600_302600_NS6detail15normal_iteratorINS9_7pointerIS5_NS9_11hip_rocprim3tagENS9_11use_defaultESF_EEEENSB_INSC_IiSE_SF_SF_EEEEZNS1_13binary_searchIS3_S6_NSB_INS9_10device_ptrIS5_EEEESH_SJ_NS1_16binary_search_opENSA_16wrapped_functionINS9_7greaterIS5_EEbEEEE10hipError_tPvRmT1_T2_T3_mmT4_T5_P12ihipStream_tbEUlRKS5_E_EEST_SX_SY_mSZ_S12_bEUlT_E_NS1_11comp_targetILNS1_3genE9ELNS1_11target_archE1100ELNS1_3gpuE3ELNS1_3repE0EEENS1_30default_config_static_selectorELNS0_4arch9wavefront6targetE0EEEvSW_
                                        ; -- End function
	.set _ZN7rocprim17ROCPRIM_400000_NS6detail17trampoline_kernelINS0_14default_configENS1_29binary_search_config_selectorI14custom_numericiEEZNS1_14transform_implILb0ES3_S6_N6thrust23THRUST_200600_302600_NS6detail15normal_iteratorINS9_7pointerIS5_NS9_11hip_rocprim3tagENS9_11use_defaultESF_EEEENSB_INSC_IiSE_SF_SF_EEEEZNS1_13binary_searchIS3_S6_NSB_INS9_10device_ptrIS5_EEEESH_SJ_NS1_16binary_search_opENSA_16wrapped_functionINS9_7greaterIS5_EEbEEEE10hipError_tPvRmT1_T2_T3_mmT4_T5_P12ihipStream_tbEUlRKS5_E_EEST_SX_SY_mSZ_S12_bEUlT_E_NS1_11comp_targetILNS1_3genE9ELNS1_11target_archE1100ELNS1_3gpuE3ELNS1_3repE0EEENS1_30default_config_static_selectorELNS0_4arch9wavefront6targetE0EEEvSW_.num_vgpr, 0
	.set _ZN7rocprim17ROCPRIM_400000_NS6detail17trampoline_kernelINS0_14default_configENS1_29binary_search_config_selectorI14custom_numericiEEZNS1_14transform_implILb0ES3_S6_N6thrust23THRUST_200600_302600_NS6detail15normal_iteratorINS9_7pointerIS5_NS9_11hip_rocprim3tagENS9_11use_defaultESF_EEEENSB_INSC_IiSE_SF_SF_EEEEZNS1_13binary_searchIS3_S6_NSB_INS9_10device_ptrIS5_EEEESH_SJ_NS1_16binary_search_opENSA_16wrapped_functionINS9_7greaterIS5_EEbEEEE10hipError_tPvRmT1_T2_T3_mmT4_T5_P12ihipStream_tbEUlRKS5_E_EEST_SX_SY_mSZ_S12_bEUlT_E_NS1_11comp_targetILNS1_3genE9ELNS1_11target_archE1100ELNS1_3gpuE3ELNS1_3repE0EEENS1_30default_config_static_selectorELNS0_4arch9wavefront6targetE0EEEvSW_.num_agpr, 0
	.set _ZN7rocprim17ROCPRIM_400000_NS6detail17trampoline_kernelINS0_14default_configENS1_29binary_search_config_selectorI14custom_numericiEEZNS1_14transform_implILb0ES3_S6_N6thrust23THRUST_200600_302600_NS6detail15normal_iteratorINS9_7pointerIS5_NS9_11hip_rocprim3tagENS9_11use_defaultESF_EEEENSB_INSC_IiSE_SF_SF_EEEEZNS1_13binary_searchIS3_S6_NSB_INS9_10device_ptrIS5_EEEESH_SJ_NS1_16binary_search_opENSA_16wrapped_functionINS9_7greaterIS5_EEbEEEE10hipError_tPvRmT1_T2_T3_mmT4_T5_P12ihipStream_tbEUlRKS5_E_EEST_SX_SY_mSZ_S12_bEUlT_E_NS1_11comp_targetILNS1_3genE9ELNS1_11target_archE1100ELNS1_3gpuE3ELNS1_3repE0EEENS1_30default_config_static_selectorELNS0_4arch9wavefront6targetE0EEEvSW_.numbered_sgpr, 0
	.set _ZN7rocprim17ROCPRIM_400000_NS6detail17trampoline_kernelINS0_14default_configENS1_29binary_search_config_selectorI14custom_numericiEEZNS1_14transform_implILb0ES3_S6_N6thrust23THRUST_200600_302600_NS6detail15normal_iteratorINS9_7pointerIS5_NS9_11hip_rocprim3tagENS9_11use_defaultESF_EEEENSB_INSC_IiSE_SF_SF_EEEEZNS1_13binary_searchIS3_S6_NSB_INS9_10device_ptrIS5_EEEESH_SJ_NS1_16binary_search_opENSA_16wrapped_functionINS9_7greaterIS5_EEbEEEE10hipError_tPvRmT1_T2_T3_mmT4_T5_P12ihipStream_tbEUlRKS5_E_EEST_SX_SY_mSZ_S12_bEUlT_E_NS1_11comp_targetILNS1_3genE9ELNS1_11target_archE1100ELNS1_3gpuE3ELNS1_3repE0EEENS1_30default_config_static_selectorELNS0_4arch9wavefront6targetE0EEEvSW_.num_named_barrier, 0
	.set _ZN7rocprim17ROCPRIM_400000_NS6detail17trampoline_kernelINS0_14default_configENS1_29binary_search_config_selectorI14custom_numericiEEZNS1_14transform_implILb0ES3_S6_N6thrust23THRUST_200600_302600_NS6detail15normal_iteratorINS9_7pointerIS5_NS9_11hip_rocprim3tagENS9_11use_defaultESF_EEEENSB_INSC_IiSE_SF_SF_EEEEZNS1_13binary_searchIS3_S6_NSB_INS9_10device_ptrIS5_EEEESH_SJ_NS1_16binary_search_opENSA_16wrapped_functionINS9_7greaterIS5_EEbEEEE10hipError_tPvRmT1_T2_T3_mmT4_T5_P12ihipStream_tbEUlRKS5_E_EEST_SX_SY_mSZ_S12_bEUlT_E_NS1_11comp_targetILNS1_3genE9ELNS1_11target_archE1100ELNS1_3gpuE3ELNS1_3repE0EEENS1_30default_config_static_selectorELNS0_4arch9wavefront6targetE0EEEvSW_.private_seg_size, 0
	.set _ZN7rocprim17ROCPRIM_400000_NS6detail17trampoline_kernelINS0_14default_configENS1_29binary_search_config_selectorI14custom_numericiEEZNS1_14transform_implILb0ES3_S6_N6thrust23THRUST_200600_302600_NS6detail15normal_iteratorINS9_7pointerIS5_NS9_11hip_rocprim3tagENS9_11use_defaultESF_EEEENSB_INSC_IiSE_SF_SF_EEEEZNS1_13binary_searchIS3_S6_NSB_INS9_10device_ptrIS5_EEEESH_SJ_NS1_16binary_search_opENSA_16wrapped_functionINS9_7greaterIS5_EEbEEEE10hipError_tPvRmT1_T2_T3_mmT4_T5_P12ihipStream_tbEUlRKS5_E_EEST_SX_SY_mSZ_S12_bEUlT_E_NS1_11comp_targetILNS1_3genE9ELNS1_11target_archE1100ELNS1_3gpuE3ELNS1_3repE0EEENS1_30default_config_static_selectorELNS0_4arch9wavefront6targetE0EEEvSW_.uses_vcc, 0
	.set _ZN7rocprim17ROCPRIM_400000_NS6detail17trampoline_kernelINS0_14default_configENS1_29binary_search_config_selectorI14custom_numericiEEZNS1_14transform_implILb0ES3_S6_N6thrust23THRUST_200600_302600_NS6detail15normal_iteratorINS9_7pointerIS5_NS9_11hip_rocprim3tagENS9_11use_defaultESF_EEEENSB_INSC_IiSE_SF_SF_EEEEZNS1_13binary_searchIS3_S6_NSB_INS9_10device_ptrIS5_EEEESH_SJ_NS1_16binary_search_opENSA_16wrapped_functionINS9_7greaterIS5_EEbEEEE10hipError_tPvRmT1_T2_T3_mmT4_T5_P12ihipStream_tbEUlRKS5_E_EEST_SX_SY_mSZ_S12_bEUlT_E_NS1_11comp_targetILNS1_3genE9ELNS1_11target_archE1100ELNS1_3gpuE3ELNS1_3repE0EEENS1_30default_config_static_selectorELNS0_4arch9wavefront6targetE0EEEvSW_.uses_flat_scratch, 0
	.set _ZN7rocprim17ROCPRIM_400000_NS6detail17trampoline_kernelINS0_14default_configENS1_29binary_search_config_selectorI14custom_numericiEEZNS1_14transform_implILb0ES3_S6_N6thrust23THRUST_200600_302600_NS6detail15normal_iteratorINS9_7pointerIS5_NS9_11hip_rocprim3tagENS9_11use_defaultESF_EEEENSB_INSC_IiSE_SF_SF_EEEEZNS1_13binary_searchIS3_S6_NSB_INS9_10device_ptrIS5_EEEESH_SJ_NS1_16binary_search_opENSA_16wrapped_functionINS9_7greaterIS5_EEbEEEE10hipError_tPvRmT1_T2_T3_mmT4_T5_P12ihipStream_tbEUlRKS5_E_EEST_SX_SY_mSZ_S12_bEUlT_E_NS1_11comp_targetILNS1_3genE9ELNS1_11target_archE1100ELNS1_3gpuE3ELNS1_3repE0EEENS1_30default_config_static_selectorELNS0_4arch9wavefront6targetE0EEEvSW_.has_dyn_sized_stack, 0
	.set _ZN7rocprim17ROCPRIM_400000_NS6detail17trampoline_kernelINS0_14default_configENS1_29binary_search_config_selectorI14custom_numericiEEZNS1_14transform_implILb0ES3_S6_N6thrust23THRUST_200600_302600_NS6detail15normal_iteratorINS9_7pointerIS5_NS9_11hip_rocprim3tagENS9_11use_defaultESF_EEEENSB_INSC_IiSE_SF_SF_EEEEZNS1_13binary_searchIS3_S6_NSB_INS9_10device_ptrIS5_EEEESH_SJ_NS1_16binary_search_opENSA_16wrapped_functionINS9_7greaterIS5_EEbEEEE10hipError_tPvRmT1_T2_T3_mmT4_T5_P12ihipStream_tbEUlRKS5_E_EEST_SX_SY_mSZ_S12_bEUlT_E_NS1_11comp_targetILNS1_3genE9ELNS1_11target_archE1100ELNS1_3gpuE3ELNS1_3repE0EEENS1_30default_config_static_selectorELNS0_4arch9wavefront6targetE0EEEvSW_.has_recursion, 0
	.set _ZN7rocprim17ROCPRIM_400000_NS6detail17trampoline_kernelINS0_14default_configENS1_29binary_search_config_selectorI14custom_numericiEEZNS1_14transform_implILb0ES3_S6_N6thrust23THRUST_200600_302600_NS6detail15normal_iteratorINS9_7pointerIS5_NS9_11hip_rocprim3tagENS9_11use_defaultESF_EEEENSB_INSC_IiSE_SF_SF_EEEEZNS1_13binary_searchIS3_S6_NSB_INS9_10device_ptrIS5_EEEESH_SJ_NS1_16binary_search_opENSA_16wrapped_functionINS9_7greaterIS5_EEbEEEE10hipError_tPvRmT1_T2_T3_mmT4_T5_P12ihipStream_tbEUlRKS5_E_EEST_SX_SY_mSZ_S12_bEUlT_E_NS1_11comp_targetILNS1_3genE9ELNS1_11target_archE1100ELNS1_3gpuE3ELNS1_3repE0EEENS1_30default_config_static_selectorELNS0_4arch9wavefront6targetE0EEEvSW_.has_indirect_call, 0
	.section	.AMDGPU.csdata,"",@progbits
; Kernel info:
; codeLenInByte = 0
; TotalNumSgprs: 0
; NumVgprs: 0
; ScratchSize: 0
; MemoryBound: 0
; FloatMode: 240
; IeeeMode: 1
; LDSByteSize: 0 bytes/workgroup (compile time only)
; SGPRBlocks: 0
; VGPRBlocks: 0
; NumSGPRsForWavesPerEU: 1
; NumVGPRsForWavesPerEU: 1
; NamedBarCnt: 0
; Occupancy: 16
; WaveLimiterHint : 0
; COMPUTE_PGM_RSRC2:SCRATCH_EN: 0
; COMPUTE_PGM_RSRC2:USER_SGPR: 2
; COMPUTE_PGM_RSRC2:TRAP_HANDLER: 0
; COMPUTE_PGM_RSRC2:TGID_X_EN: 1
; COMPUTE_PGM_RSRC2:TGID_Y_EN: 0
; COMPUTE_PGM_RSRC2:TGID_Z_EN: 0
; COMPUTE_PGM_RSRC2:TIDIG_COMP_CNT: 0
	.section	.text._ZN7rocprim17ROCPRIM_400000_NS6detail17trampoline_kernelINS0_14default_configENS1_29binary_search_config_selectorI14custom_numericiEEZNS1_14transform_implILb0ES3_S6_N6thrust23THRUST_200600_302600_NS6detail15normal_iteratorINS9_7pointerIS5_NS9_11hip_rocprim3tagENS9_11use_defaultESF_EEEENSB_INSC_IiSE_SF_SF_EEEEZNS1_13binary_searchIS3_S6_NSB_INS9_10device_ptrIS5_EEEESH_SJ_NS1_16binary_search_opENSA_16wrapped_functionINS9_7greaterIS5_EEbEEEE10hipError_tPvRmT1_T2_T3_mmT4_T5_P12ihipStream_tbEUlRKS5_E_EEST_SX_SY_mSZ_S12_bEUlT_E_NS1_11comp_targetILNS1_3genE8ELNS1_11target_archE1030ELNS1_3gpuE2ELNS1_3repE0EEENS1_30default_config_static_selectorELNS0_4arch9wavefront6targetE0EEEvSW_,"axG",@progbits,_ZN7rocprim17ROCPRIM_400000_NS6detail17trampoline_kernelINS0_14default_configENS1_29binary_search_config_selectorI14custom_numericiEEZNS1_14transform_implILb0ES3_S6_N6thrust23THRUST_200600_302600_NS6detail15normal_iteratorINS9_7pointerIS5_NS9_11hip_rocprim3tagENS9_11use_defaultESF_EEEENSB_INSC_IiSE_SF_SF_EEEEZNS1_13binary_searchIS3_S6_NSB_INS9_10device_ptrIS5_EEEESH_SJ_NS1_16binary_search_opENSA_16wrapped_functionINS9_7greaterIS5_EEbEEEE10hipError_tPvRmT1_T2_T3_mmT4_T5_P12ihipStream_tbEUlRKS5_E_EEST_SX_SY_mSZ_S12_bEUlT_E_NS1_11comp_targetILNS1_3genE8ELNS1_11target_archE1030ELNS1_3gpuE2ELNS1_3repE0EEENS1_30default_config_static_selectorELNS0_4arch9wavefront6targetE0EEEvSW_,comdat
	.protected	_ZN7rocprim17ROCPRIM_400000_NS6detail17trampoline_kernelINS0_14default_configENS1_29binary_search_config_selectorI14custom_numericiEEZNS1_14transform_implILb0ES3_S6_N6thrust23THRUST_200600_302600_NS6detail15normal_iteratorINS9_7pointerIS5_NS9_11hip_rocprim3tagENS9_11use_defaultESF_EEEENSB_INSC_IiSE_SF_SF_EEEEZNS1_13binary_searchIS3_S6_NSB_INS9_10device_ptrIS5_EEEESH_SJ_NS1_16binary_search_opENSA_16wrapped_functionINS9_7greaterIS5_EEbEEEE10hipError_tPvRmT1_T2_T3_mmT4_T5_P12ihipStream_tbEUlRKS5_E_EEST_SX_SY_mSZ_S12_bEUlT_E_NS1_11comp_targetILNS1_3genE8ELNS1_11target_archE1030ELNS1_3gpuE2ELNS1_3repE0EEENS1_30default_config_static_selectorELNS0_4arch9wavefront6targetE0EEEvSW_ ; -- Begin function _ZN7rocprim17ROCPRIM_400000_NS6detail17trampoline_kernelINS0_14default_configENS1_29binary_search_config_selectorI14custom_numericiEEZNS1_14transform_implILb0ES3_S6_N6thrust23THRUST_200600_302600_NS6detail15normal_iteratorINS9_7pointerIS5_NS9_11hip_rocprim3tagENS9_11use_defaultESF_EEEENSB_INSC_IiSE_SF_SF_EEEEZNS1_13binary_searchIS3_S6_NSB_INS9_10device_ptrIS5_EEEESH_SJ_NS1_16binary_search_opENSA_16wrapped_functionINS9_7greaterIS5_EEbEEEE10hipError_tPvRmT1_T2_T3_mmT4_T5_P12ihipStream_tbEUlRKS5_E_EEST_SX_SY_mSZ_S12_bEUlT_E_NS1_11comp_targetILNS1_3genE8ELNS1_11target_archE1030ELNS1_3gpuE2ELNS1_3repE0EEENS1_30default_config_static_selectorELNS0_4arch9wavefront6targetE0EEEvSW_
	.globl	_ZN7rocprim17ROCPRIM_400000_NS6detail17trampoline_kernelINS0_14default_configENS1_29binary_search_config_selectorI14custom_numericiEEZNS1_14transform_implILb0ES3_S6_N6thrust23THRUST_200600_302600_NS6detail15normal_iteratorINS9_7pointerIS5_NS9_11hip_rocprim3tagENS9_11use_defaultESF_EEEENSB_INSC_IiSE_SF_SF_EEEEZNS1_13binary_searchIS3_S6_NSB_INS9_10device_ptrIS5_EEEESH_SJ_NS1_16binary_search_opENSA_16wrapped_functionINS9_7greaterIS5_EEbEEEE10hipError_tPvRmT1_T2_T3_mmT4_T5_P12ihipStream_tbEUlRKS5_E_EEST_SX_SY_mSZ_S12_bEUlT_E_NS1_11comp_targetILNS1_3genE8ELNS1_11target_archE1030ELNS1_3gpuE2ELNS1_3repE0EEENS1_30default_config_static_selectorELNS0_4arch9wavefront6targetE0EEEvSW_
	.p2align	8
	.type	_ZN7rocprim17ROCPRIM_400000_NS6detail17trampoline_kernelINS0_14default_configENS1_29binary_search_config_selectorI14custom_numericiEEZNS1_14transform_implILb0ES3_S6_N6thrust23THRUST_200600_302600_NS6detail15normal_iteratorINS9_7pointerIS5_NS9_11hip_rocprim3tagENS9_11use_defaultESF_EEEENSB_INSC_IiSE_SF_SF_EEEEZNS1_13binary_searchIS3_S6_NSB_INS9_10device_ptrIS5_EEEESH_SJ_NS1_16binary_search_opENSA_16wrapped_functionINS9_7greaterIS5_EEbEEEE10hipError_tPvRmT1_T2_T3_mmT4_T5_P12ihipStream_tbEUlRKS5_E_EEST_SX_SY_mSZ_S12_bEUlT_E_NS1_11comp_targetILNS1_3genE8ELNS1_11target_archE1030ELNS1_3gpuE2ELNS1_3repE0EEENS1_30default_config_static_selectorELNS0_4arch9wavefront6targetE0EEEvSW_,@function
_ZN7rocprim17ROCPRIM_400000_NS6detail17trampoline_kernelINS0_14default_configENS1_29binary_search_config_selectorI14custom_numericiEEZNS1_14transform_implILb0ES3_S6_N6thrust23THRUST_200600_302600_NS6detail15normal_iteratorINS9_7pointerIS5_NS9_11hip_rocprim3tagENS9_11use_defaultESF_EEEENSB_INSC_IiSE_SF_SF_EEEEZNS1_13binary_searchIS3_S6_NSB_INS9_10device_ptrIS5_EEEESH_SJ_NS1_16binary_search_opENSA_16wrapped_functionINS9_7greaterIS5_EEbEEEE10hipError_tPvRmT1_T2_T3_mmT4_T5_P12ihipStream_tbEUlRKS5_E_EEST_SX_SY_mSZ_S12_bEUlT_E_NS1_11comp_targetILNS1_3genE8ELNS1_11target_archE1030ELNS1_3gpuE2ELNS1_3repE0EEENS1_30default_config_static_selectorELNS0_4arch9wavefront6targetE0EEEvSW_: ; @_ZN7rocprim17ROCPRIM_400000_NS6detail17trampoline_kernelINS0_14default_configENS1_29binary_search_config_selectorI14custom_numericiEEZNS1_14transform_implILb0ES3_S6_N6thrust23THRUST_200600_302600_NS6detail15normal_iteratorINS9_7pointerIS5_NS9_11hip_rocprim3tagENS9_11use_defaultESF_EEEENSB_INSC_IiSE_SF_SF_EEEEZNS1_13binary_searchIS3_S6_NSB_INS9_10device_ptrIS5_EEEESH_SJ_NS1_16binary_search_opENSA_16wrapped_functionINS9_7greaterIS5_EEbEEEE10hipError_tPvRmT1_T2_T3_mmT4_T5_P12ihipStream_tbEUlRKS5_E_EEST_SX_SY_mSZ_S12_bEUlT_E_NS1_11comp_targetILNS1_3genE8ELNS1_11target_archE1030ELNS1_3gpuE2ELNS1_3repE0EEENS1_30default_config_static_selectorELNS0_4arch9wavefront6targetE0EEEvSW_
; %bb.0:
	.section	.rodata,"a",@progbits
	.p2align	6, 0x0
	.amdhsa_kernel _ZN7rocprim17ROCPRIM_400000_NS6detail17trampoline_kernelINS0_14default_configENS1_29binary_search_config_selectorI14custom_numericiEEZNS1_14transform_implILb0ES3_S6_N6thrust23THRUST_200600_302600_NS6detail15normal_iteratorINS9_7pointerIS5_NS9_11hip_rocprim3tagENS9_11use_defaultESF_EEEENSB_INSC_IiSE_SF_SF_EEEEZNS1_13binary_searchIS3_S6_NSB_INS9_10device_ptrIS5_EEEESH_SJ_NS1_16binary_search_opENSA_16wrapped_functionINS9_7greaterIS5_EEbEEEE10hipError_tPvRmT1_T2_T3_mmT4_T5_P12ihipStream_tbEUlRKS5_E_EEST_SX_SY_mSZ_S12_bEUlT_E_NS1_11comp_targetILNS1_3genE8ELNS1_11target_archE1030ELNS1_3gpuE2ELNS1_3repE0EEENS1_30default_config_static_selectorELNS0_4arch9wavefront6targetE0EEEvSW_
		.amdhsa_group_segment_fixed_size 0
		.amdhsa_private_segment_fixed_size 0
		.amdhsa_kernarg_size 56
		.amdhsa_user_sgpr_count 2
		.amdhsa_user_sgpr_dispatch_ptr 0
		.amdhsa_user_sgpr_queue_ptr 0
		.amdhsa_user_sgpr_kernarg_segment_ptr 1
		.amdhsa_user_sgpr_dispatch_id 0
		.amdhsa_user_sgpr_kernarg_preload_length 0
		.amdhsa_user_sgpr_kernarg_preload_offset 0
		.amdhsa_user_sgpr_private_segment_size 0
		.amdhsa_wavefront_size32 1
		.amdhsa_uses_dynamic_stack 0
		.amdhsa_enable_private_segment 0
		.amdhsa_system_sgpr_workgroup_id_x 1
		.amdhsa_system_sgpr_workgroup_id_y 0
		.amdhsa_system_sgpr_workgroup_id_z 0
		.amdhsa_system_sgpr_workgroup_info 0
		.amdhsa_system_vgpr_workitem_id 0
		.amdhsa_next_free_vgpr 1
		.amdhsa_next_free_sgpr 1
		.amdhsa_named_barrier_count 0
		.amdhsa_reserve_vcc 0
		.amdhsa_float_round_mode_32 0
		.amdhsa_float_round_mode_16_64 0
		.amdhsa_float_denorm_mode_32 3
		.amdhsa_float_denorm_mode_16_64 3
		.amdhsa_fp16_overflow 0
		.amdhsa_memory_ordered 1
		.amdhsa_forward_progress 1
		.amdhsa_inst_pref_size 0
		.amdhsa_round_robin_scheduling 0
		.amdhsa_exception_fp_ieee_invalid_op 0
		.amdhsa_exception_fp_denorm_src 0
		.amdhsa_exception_fp_ieee_div_zero 0
		.amdhsa_exception_fp_ieee_overflow 0
		.amdhsa_exception_fp_ieee_underflow 0
		.amdhsa_exception_fp_ieee_inexact 0
		.amdhsa_exception_int_div_zero 0
	.end_amdhsa_kernel
	.section	.text._ZN7rocprim17ROCPRIM_400000_NS6detail17trampoline_kernelINS0_14default_configENS1_29binary_search_config_selectorI14custom_numericiEEZNS1_14transform_implILb0ES3_S6_N6thrust23THRUST_200600_302600_NS6detail15normal_iteratorINS9_7pointerIS5_NS9_11hip_rocprim3tagENS9_11use_defaultESF_EEEENSB_INSC_IiSE_SF_SF_EEEEZNS1_13binary_searchIS3_S6_NSB_INS9_10device_ptrIS5_EEEESH_SJ_NS1_16binary_search_opENSA_16wrapped_functionINS9_7greaterIS5_EEbEEEE10hipError_tPvRmT1_T2_T3_mmT4_T5_P12ihipStream_tbEUlRKS5_E_EEST_SX_SY_mSZ_S12_bEUlT_E_NS1_11comp_targetILNS1_3genE8ELNS1_11target_archE1030ELNS1_3gpuE2ELNS1_3repE0EEENS1_30default_config_static_selectorELNS0_4arch9wavefront6targetE0EEEvSW_,"axG",@progbits,_ZN7rocprim17ROCPRIM_400000_NS6detail17trampoline_kernelINS0_14default_configENS1_29binary_search_config_selectorI14custom_numericiEEZNS1_14transform_implILb0ES3_S6_N6thrust23THRUST_200600_302600_NS6detail15normal_iteratorINS9_7pointerIS5_NS9_11hip_rocprim3tagENS9_11use_defaultESF_EEEENSB_INSC_IiSE_SF_SF_EEEEZNS1_13binary_searchIS3_S6_NSB_INS9_10device_ptrIS5_EEEESH_SJ_NS1_16binary_search_opENSA_16wrapped_functionINS9_7greaterIS5_EEbEEEE10hipError_tPvRmT1_T2_T3_mmT4_T5_P12ihipStream_tbEUlRKS5_E_EEST_SX_SY_mSZ_S12_bEUlT_E_NS1_11comp_targetILNS1_3genE8ELNS1_11target_archE1030ELNS1_3gpuE2ELNS1_3repE0EEENS1_30default_config_static_selectorELNS0_4arch9wavefront6targetE0EEEvSW_,comdat
.Lfunc_end184:
	.size	_ZN7rocprim17ROCPRIM_400000_NS6detail17trampoline_kernelINS0_14default_configENS1_29binary_search_config_selectorI14custom_numericiEEZNS1_14transform_implILb0ES3_S6_N6thrust23THRUST_200600_302600_NS6detail15normal_iteratorINS9_7pointerIS5_NS9_11hip_rocprim3tagENS9_11use_defaultESF_EEEENSB_INSC_IiSE_SF_SF_EEEEZNS1_13binary_searchIS3_S6_NSB_INS9_10device_ptrIS5_EEEESH_SJ_NS1_16binary_search_opENSA_16wrapped_functionINS9_7greaterIS5_EEbEEEE10hipError_tPvRmT1_T2_T3_mmT4_T5_P12ihipStream_tbEUlRKS5_E_EEST_SX_SY_mSZ_S12_bEUlT_E_NS1_11comp_targetILNS1_3genE8ELNS1_11target_archE1030ELNS1_3gpuE2ELNS1_3repE0EEENS1_30default_config_static_selectorELNS0_4arch9wavefront6targetE0EEEvSW_, .Lfunc_end184-_ZN7rocprim17ROCPRIM_400000_NS6detail17trampoline_kernelINS0_14default_configENS1_29binary_search_config_selectorI14custom_numericiEEZNS1_14transform_implILb0ES3_S6_N6thrust23THRUST_200600_302600_NS6detail15normal_iteratorINS9_7pointerIS5_NS9_11hip_rocprim3tagENS9_11use_defaultESF_EEEENSB_INSC_IiSE_SF_SF_EEEEZNS1_13binary_searchIS3_S6_NSB_INS9_10device_ptrIS5_EEEESH_SJ_NS1_16binary_search_opENSA_16wrapped_functionINS9_7greaterIS5_EEbEEEE10hipError_tPvRmT1_T2_T3_mmT4_T5_P12ihipStream_tbEUlRKS5_E_EEST_SX_SY_mSZ_S12_bEUlT_E_NS1_11comp_targetILNS1_3genE8ELNS1_11target_archE1030ELNS1_3gpuE2ELNS1_3repE0EEENS1_30default_config_static_selectorELNS0_4arch9wavefront6targetE0EEEvSW_
                                        ; -- End function
	.set _ZN7rocprim17ROCPRIM_400000_NS6detail17trampoline_kernelINS0_14default_configENS1_29binary_search_config_selectorI14custom_numericiEEZNS1_14transform_implILb0ES3_S6_N6thrust23THRUST_200600_302600_NS6detail15normal_iteratorINS9_7pointerIS5_NS9_11hip_rocprim3tagENS9_11use_defaultESF_EEEENSB_INSC_IiSE_SF_SF_EEEEZNS1_13binary_searchIS3_S6_NSB_INS9_10device_ptrIS5_EEEESH_SJ_NS1_16binary_search_opENSA_16wrapped_functionINS9_7greaterIS5_EEbEEEE10hipError_tPvRmT1_T2_T3_mmT4_T5_P12ihipStream_tbEUlRKS5_E_EEST_SX_SY_mSZ_S12_bEUlT_E_NS1_11comp_targetILNS1_3genE8ELNS1_11target_archE1030ELNS1_3gpuE2ELNS1_3repE0EEENS1_30default_config_static_selectorELNS0_4arch9wavefront6targetE0EEEvSW_.num_vgpr, 0
	.set _ZN7rocprim17ROCPRIM_400000_NS6detail17trampoline_kernelINS0_14default_configENS1_29binary_search_config_selectorI14custom_numericiEEZNS1_14transform_implILb0ES3_S6_N6thrust23THRUST_200600_302600_NS6detail15normal_iteratorINS9_7pointerIS5_NS9_11hip_rocprim3tagENS9_11use_defaultESF_EEEENSB_INSC_IiSE_SF_SF_EEEEZNS1_13binary_searchIS3_S6_NSB_INS9_10device_ptrIS5_EEEESH_SJ_NS1_16binary_search_opENSA_16wrapped_functionINS9_7greaterIS5_EEbEEEE10hipError_tPvRmT1_T2_T3_mmT4_T5_P12ihipStream_tbEUlRKS5_E_EEST_SX_SY_mSZ_S12_bEUlT_E_NS1_11comp_targetILNS1_3genE8ELNS1_11target_archE1030ELNS1_3gpuE2ELNS1_3repE0EEENS1_30default_config_static_selectorELNS0_4arch9wavefront6targetE0EEEvSW_.num_agpr, 0
	.set _ZN7rocprim17ROCPRIM_400000_NS6detail17trampoline_kernelINS0_14default_configENS1_29binary_search_config_selectorI14custom_numericiEEZNS1_14transform_implILb0ES3_S6_N6thrust23THRUST_200600_302600_NS6detail15normal_iteratorINS9_7pointerIS5_NS9_11hip_rocprim3tagENS9_11use_defaultESF_EEEENSB_INSC_IiSE_SF_SF_EEEEZNS1_13binary_searchIS3_S6_NSB_INS9_10device_ptrIS5_EEEESH_SJ_NS1_16binary_search_opENSA_16wrapped_functionINS9_7greaterIS5_EEbEEEE10hipError_tPvRmT1_T2_T3_mmT4_T5_P12ihipStream_tbEUlRKS5_E_EEST_SX_SY_mSZ_S12_bEUlT_E_NS1_11comp_targetILNS1_3genE8ELNS1_11target_archE1030ELNS1_3gpuE2ELNS1_3repE0EEENS1_30default_config_static_selectorELNS0_4arch9wavefront6targetE0EEEvSW_.numbered_sgpr, 0
	.set _ZN7rocprim17ROCPRIM_400000_NS6detail17trampoline_kernelINS0_14default_configENS1_29binary_search_config_selectorI14custom_numericiEEZNS1_14transform_implILb0ES3_S6_N6thrust23THRUST_200600_302600_NS6detail15normal_iteratorINS9_7pointerIS5_NS9_11hip_rocprim3tagENS9_11use_defaultESF_EEEENSB_INSC_IiSE_SF_SF_EEEEZNS1_13binary_searchIS3_S6_NSB_INS9_10device_ptrIS5_EEEESH_SJ_NS1_16binary_search_opENSA_16wrapped_functionINS9_7greaterIS5_EEbEEEE10hipError_tPvRmT1_T2_T3_mmT4_T5_P12ihipStream_tbEUlRKS5_E_EEST_SX_SY_mSZ_S12_bEUlT_E_NS1_11comp_targetILNS1_3genE8ELNS1_11target_archE1030ELNS1_3gpuE2ELNS1_3repE0EEENS1_30default_config_static_selectorELNS0_4arch9wavefront6targetE0EEEvSW_.num_named_barrier, 0
	.set _ZN7rocprim17ROCPRIM_400000_NS6detail17trampoline_kernelINS0_14default_configENS1_29binary_search_config_selectorI14custom_numericiEEZNS1_14transform_implILb0ES3_S6_N6thrust23THRUST_200600_302600_NS6detail15normal_iteratorINS9_7pointerIS5_NS9_11hip_rocprim3tagENS9_11use_defaultESF_EEEENSB_INSC_IiSE_SF_SF_EEEEZNS1_13binary_searchIS3_S6_NSB_INS9_10device_ptrIS5_EEEESH_SJ_NS1_16binary_search_opENSA_16wrapped_functionINS9_7greaterIS5_EEbEEEE10hipError_tPvRmT1_T2_T3_mmT4_T5_P12ihipStream_tbEUlRKS5_E_EEST_SX_SY_mSZ_S12_bEUlT_E_NS1_11comp_targetILNS1_3genE8ELNS1_11target_archE1030ELNS1_3gpuE2ELNS1_3repE0EEENS1_30default_config_static_selectorELNS0_4arch9wavefront6targetE0EEEvSW_.private_seg_size, 0
	.set _ZN7rocprim17ROCPRIM_400000_NS6detail17trampoline_kernelINS0_14default_configENS1_29binary_search_config_selectorI14custom_numericiEEZNS1_14transform_implILb0ES3_S6_N6thrust23THRUST_200600_302600_NS6detail15normal_iteratorINS9_7pointerIS5_NS9_11hip_rocprim3tagENS9_11use_defaultESF_EEEENSB_INSC_IiSE_SF_SF_EEEEZNS1_13binary_searchIS3_S6_NSB_INS9_10device_ptrIS5_EEEESH_SJ_NS1_16binary_search_opENSA_16wrapped_functionINS9_7greaterIS5_EEbEEEE10hipError_tPvRmT1_T2_T3_mmT4_T5_P12ihipStream_tbEUlRKS5_E_EEST_SX_SY_mSZ_S12_bEUlT_E_NS1_11comp_targetILNS1_3genE8ELNS1_11target_archE1030ELNS1_3gpuE2ELNS1_3repE0EEENS1_30default_config_static_selectorELNS0_4arch9wavefront6targetE0EEEvSW_.uses_vcc, 0
	.set _ZN7rocprim17ROCPRIM_400000_NS6detail17trampoline_kernelINS0_14default_configENS1_29binary_search_config_selectorI14custom_numericiEEZNS1_14transform_implILb0ES3_S6_N6thrust23THRUST_200600_302600_NS6detail15normal_iteratorINS9_7pointerIS5_NS9_11hip_rocprim3tagENS9_11use_defaultESF_EEEENSB_INSC_IiSE_SF_SF_EEEEZNS1_13binary_searchIS3_S6_NSB_INS9_10device_ptrIS5_EEEESH_SJ_NS1_16binary_search_opENSA_16wrapped_functionINS9_7greaterIS5_EEbEEEE10hipError_tPvRmT1_T2_T3_mmT4_T5_P12ihipStream_tbEUlRKS5_E_EEST_SX_SY_mSZ_S12_bEUlT_E_NS1_11comp_targetILNS1_3genE8ELNS1_11target_archE1030ELNS1_3gpuE2ELNS1_3repE0EEENS1_30default_config_static_selectorELNS0_4arch9wavefront6targetE0EEEvSW_.uses_flat_scratch, 0
	.set _ZN7rocprim17ROCPRIM_400000_NS6detail17trampoline_kernelINS0_14default_configENS1_29binary_search_config_selectorI14custom_numericiEEZNS1_14transform_implILb0ES3_S6_N6thrust23THRUST_200600_302600_NS6detail15normal_iteratorINS9_7pointerIS5_NS9_11hip_rocprim3tagENS9_11use_defaultESF_EEEENSB_INSC_IiSE_SF_SF_EEEEZNS1_13binary_searchIS3_S6_NSB_INS9_10device_ptrIS5_EEEESH_SJ_NS1_16binary_search_opENSA_16wrapped_functionINS9_7greaterIS5_EEbEEEE10hipError_tPvRmT1_T2_T3_mmT4_T5_P12ihipStream_tbEUlRKS5_E_EEST_SX_SY_mSZ_S12_bEUlT_E_NS1_11comp_targetILNS1_3genE8ELNS1_11target_archE1030ELNS1_3gpuE2ELNS1_3repE0EEENS1_30default_config_static_selectorELNS0_4arch9wavefront6targetE0EEEvSW_.has_dyn_sized_stack, 0
	.set _ZN7rocprim17ROCPRIM_400000_NS6detail17trampoline_kernelINS0_14default_configENS1_29binary_search_config_selectorI14custom_numericiEEZNS1_14transform_implILb0ES3_S6_N6thrust23THRUST_200600_302600_NS6detail15normal_iteratorINS9_7pointerIS5_NS9_11hip_rocprim3tagENS9_11use_defaultESF_EEEENSB_INSC_IiSE_SF_SF_EEEEZNS1_13binary_searchIS3_S6_NSB_INS9_10device_ptrIS5_EEEESH_SJ_NS1_16binary_search_opENSA_16wrapped_functionINS9_7greaterIS5_EEbEEEE10hipError_tPvRmT1_T2_T3_mmT4_T5_P12ihipStream_tbEUlRKS5_E_EEST_SX_SY_mSZ_S12_bEUlT_E_NS1_11comp_targetILNS1_3genE8ELNS1_11target_archE1030ELNS1_3gpuE2ELNS1_3repE0EEENS1_30default_config_static_selectorELNS0_4arch9wavefront6targetE0EEEvSW_.has_recursion, 0
	.set _ZN7rocprim17ROCPRIM_400000_NS6detail17trampoline_kernelINS0_14default_configENS1_29binary_search_config_selectorI14custom_numericiEEZNS1_14transform_implILb0ES3_S6_N6thrust23THRUST_200600_302600_NS6detail15normal_iteratorINS9_7pointerIS5_NS9_11hip_rocprim3tagENS9_11use_defaultESF_EEEENSB_INSC_IiSE_SF_SF_EEEEZNS1_13binary_searchIS3_S6_NSB_INS9_10device_ptrIS5_EEEESH_SJ_NS1_16binary_search_opENSA_16wrapped_functionINS9_7greaterIS5_EEbEEEE10hipError_tPvRmT1_T2_T3_mmT4_T5_P12ihipStream_tbEUlRKS5_E_EEST_SX_SY_mSZ_S12_bEUlT_E_NS1_11comp_targetILNS1_3genE8ELNS1_11target_archE1030ELNS1_3gpuE2ELNS1_3repE0EEENS1_30default_config_static_selectorELNS0_4arch9wavefront6targetE0EEEvSW_.has_indirect_call, 0
	.section	.AMDGPU.csdata,"",@progbits
; Kernel info:
; codeLenInByte = 0
; TotalNumSgprs: 0
; NumVgprs: 0
; ScratchSize: 0
; MemoryBound: 0
; FloatMode: 240
; IeeeMode: 1
; LDSByteSize: 0 bytes/workgroup (compile time only)
; SGPRBlocks: 0
; VGPRBlocks: 0
; NumSGPRsForWavesPerEU: 1
; NumVGPRsForWavesPerEU: 1
; NamedBarCnt: 0
; Occupancy: 16
; WaveLimiterHint : 0
; COMPUTE_PGM_RSRC2:SCRATCH_EN: 0
; COMPUTE_PGM_RSRC2:USER_SGPR: 2
; COMPUTE_PGM_RSRC2:TRAP_HANDLER: 0
; COMPUTE_PGM_RSRC2:TGID_X_EN: 1
; COMPUTE_PGM_RSRC2:TGID_Y_EN: 0
; COMPUTE_PGM_RSRC2:TGID_Z_EN: 0
; COMPUTE_PGM_RSRC2:TIDIG_COMP_CNT: 0
	.section	.text._ZN7rocprim17ROCPRIM_400000_NS6detail17trampoline_kernelINS0_14default_configENS1_29binary_search_config_selectorIiiEEZNS1_14transform_implILb0ES3_S5_N6thrust23THRUST_200600_302600_NS6detail15normal_iteratorINS8_7pointerIiNS8_11hip_rocprim3tagENS8_11use_defaultESE_EEEESG_ZNS1_13binary_searchIS3_S5_NSA_INSB_IiSD_NS8_16tagged_referenceIiSD_EESE_EEEESG_SG_NS1_16binary_search_opENS9_16wrapped_functionINS8_7greaterIiEEbEEEE10hipError_tPvRmT1_T2_T3_mmT4_T5_P12ihipStream_tbEUlRKiE_EESR_SV_SW_mSX_S10_bEUlT_E_NS1_11comp_targetILNS1_3genE0ELNS1_11target_archE4294967295ELNS1_3gpuE0ELNS1_3repE0EEENS1_30default_config_static_selectorELNS0_4arch9wavefront6targetE0EEEvSU_,"axG",@progbits,_ZN7rocprim17ROCPRIM_400000_NS6detail17trampoline_kernelINS0_14default_configENS1_29binary_search_config_selectorIiiEEZNS1_14transform_implILb0ES3_S5_N6thrust23THRUST_200600_302600_NS6detail15normal_iteratorINS8_7pointerIiNS8_11hip_rocprim3tagENS8_11use_defaultESE_EEEESG_ZNS1_13binary_searchIS3_S5_NSA_INSB_IiSD_NS8_16tagged_referenceIiSD_EESE_EEEESG_SG_NS1_16binary_search_opENS9_16wrapped_functionINS8_7greaterIiEEbEEEE10hipError_tPvRmT1_T2_T3_mmT4_T5_P12ihipStream_tbEUlRKiE_EESR_SV_SW_mSX_S10_bEUlT_E_NS1_11comp_targetILNS1_3genE0ELNS1_11target_archE4294967295ELNS1_3gpuE0ELNS1_3repE0EEENS1_30default_config_static_selectorELNS0_4arch9wavefront6targetE0EEEvSU_,comdat
	.protected	_ZN7rocprim17ROCPRIM_400000_NS6detail17trampoline_kernelINS0_14default_configENS1_29binary_search_config_selectorIiiEEZNS1_14transform_implILb0ES3_S5_N6thrust23THRUST_200600_302600_NS6detail15normal_iteratorINS8_7pointerIiNS8_11hip_rocprim3tagENS8_11use_defaultESE_EEEESG_ZNS1_13binary_searchIS3_S5_NSA_INSB_IiSD_NS8_16tagged_referenceIiSD_EESE_EEEESG_SG_NS1_16binary_search_opENS9_16wrapped_functionINS8_7greaterIiEEbEEEE10hipError_tPvRmT1_T2_T3_mmT4_T5_P12ihipStream_tbEUlRKiE_EESR_SV_SW_mSX_S10_bEUlT_E_NS1_11comp_targetILNS1_3genE0ELNS1_11target_archE4294967295ELNS1_3gpuE0ELNS1_3repE0EEENS1_30default_config_static_selectorELNS0_4arch9wavefront6targetE0EEEvSU_ ; -- Begin function _ZN7rocprim17ROCPRIM_400000_NS6detail17trampoline_kernelINS0_14default_configENS1_29binary_search_config_selectorIiiEEZNS1_14transform_implILb0ES3_S5_N6thrust23THRUST_200600_302600_NS6detail15normal_iteratorINS8_7pointerIiNS8_11hip_rocprim3tagENS8_11use_defaultESE_EEEESG_ZNS1_13binary_searchIS3_S5_NSA_INSB_IiSD_NS8_16tagged_referenceIiSD_EESE_EEEESG_SG_NS1_16binary_search_opENS9_16wrapped_functionINS8_7greaterIiEEbEEEE10hipError_tPvRmT1_T2_T3_mmT4_T5_P12ihipStream_tbEUlRKiE_EESR_SV_SW_mSX_S10_bEUlT_E_NS1_11comp_targetILNS1_3genE0ELNS1_11target_archE4294967295ELNS1_3gpuE0ELNS1_3repE0EEENS1_30default_config_static_selectorELNS0_4arch9wavefront6targetE0EEEvSU_
	.globl	_ZN7rocprim17ROCPRIM_400000_NS6detail17trampoline_kernelINS0_14default_configENS1_29binary_search_config_selectorIiiEEZNS1_14transform_implILb0ES3_S5_N6thrust23THRUST_200600_302600_NS6detail15normal_iteratorINS8_7pointerIiNS8_11hip_rocprim3tagENS8_11use_defaultESE_EEEESG_ZNS1_13binary_searchIS3_S5_NSA_INSB_IiSD_NS8_16tagged_referenceIiSD_EESE_EEEESG_SG_NS1_16binary_search_opENS9_16wrapped_functionINS8_7greaterIiEEbEEEE10hipError_tPvRmT1_T2_T3_mmT4_T5_P12ihipStream_tbEUlRKiE_EESR_SV_SW_mSX_S10_bEUlT_E_NS1_11comp_targetILNS1_3genE0ELNS1_11target_archE4294967295ELNS1_3gpuE0ELNS1_3repE0EEENS1_30default_config_static_selectorELNS0_4arch9wavefront6targetE0EEEvSU_
	.p2align	8
	.type	_ZN7rocprim17ROCPRIM_400000_NS6detail17trampoline_kernelINS0_14default_configENS1_29binary_search_config_selectorIiiEEZNS1_14transform_implILb0ES3_S5_N6thrust23THRUST_200600_302600_NS6detail15normal_iteratorINS8_7pointerIiNS8_11hip_rocprim3tagENS8_11use_defaultESE_EEEESG_ZNS1_13binary_searchIS3_S5_NSA_INSB_IiSD_NS8_16tagged_referenceIiSD_EESE_EEEESG_SG_NS1_16binary_search_opENS9_16wrapped_functionINS8_7greaterIiEEbEEEE10hipError_tPvRmT1_T2_T3_mmT4_T5_P12ihipStream_tbEUlRKiE_EESR_SV_SW_mSX_S10_bEUlT_E_NS1_11comp_targetILNS1_3genE0ELNS1_11target_archE4294967295ELNS1_3gpuE0ELNS1_3repE0EEENS1_30default_config_static_selectorELNS0_4arch9wavefront6targetE0EEEvSU_,@function
_ZN7rocprim17ROCPRIM_400000_NS6detail17trampoline_kernelINS0_14default_configENS1_29binary_search_config_selectorIiiEEZNS1_14transform_implILb0ES3_S5_N6thrust23THRUST_200600_302600_NS6detail15normal_iteratorINS8_7pointerIiNS8_11hip_rocprim3tagENS8_11use_defaultESE_EEEESG_ZNS1_13binary_searchIS3_S5_NSA_INSB_IiSD_NS8_16tagged_referenceIiSD_EESE_EEEESG_SG_NS1_16binary_search_opENS9_16wrapped_functionINS8_7greaterIiEEbEEEE10hipError_tPvRmT1_T2_T3_mmT4_T5_P12ihipStream_tbEUlRKiE_EESR_SV_SW_mSX_S10_bEUlT_E_NS1_11comp_targetILNS1_3genE0ELNS1_11target_archE4294967295ELNS1_3gpuE0ELNS1_3repE0EEENS1_30default_config_static_selectorELNS0_4arch9wavefront6targetE0EEEvSU_: ; @_ZN7rocprim17ROCPRIM_400000_NS6detail17trampoline_kernelINS0_14default_configENS1_29binary_search_config_selectorIiiEEZNS1_14transform_implILb0ES3_S5_N6thrust23THRUST_200600_302600_NS6detail15normal_iteratorINS8_7pointerIiNS8_11hip_rocprim3tagENS8_11use_defaultESE_EEEESG_ZNS1_13binary_searchIS3_S5_NSA_INSB_IiSD_NS8_16tagged_referenceIiSD_EESE_EEEESG_SG_NS1_16binary_search_opENS9_16wrapped_functionINS8_7greaterIiEEbEEEE10hipError_tPvRmT1_T2_T3_mmT4_T5_P12ihipStream_tbEUlRKiE_EESR_SV_SW_mSX_S10_bEUlT_E_NS1_11comp_targetILNS1_3genE0ELNS1_11target_archE4294967295ELNS1_3gpuE0ELNS1_3repE0EEENS1_30default_config_static_selectorELNS0_4arch9wavefront6targetE0EEEvSU_
; %bb.0:
	s_clause 0x3
	s_load_b128 s[12:15], s[0:1], 0x0
	s_load_b32 s8, s[0:1], 0x38
	s_load_b64 s[10:11], s[0:1], 0x28
	s_load_b128 s[4:7], s[0:1], 0x18
	s_bfe_u32 s2, ttmp6, 0x4000c
	s_and_b32 s3, ttmp6, 15
	s_add_co_i32 s2, s2, 1
	s_getreg_b32 s9, hwreg(HW_REG_IB_STS2, 6, 4)
	s_mul_i32 s2, ttmp9, s2
	s_delay_alu instid0(SALU_CYCLE_1)
	s_add_co_i32 s16, s3, s2
	s_wait_kmcnt 0x0
	s_lshl_b64 s[2:3], s[14:15], 2
	s_cmp_eq_u32 s9, 0
	s_add_nc_u64 s[12:13], s[12:13], s[2:3]
	s_cselect_b32 s14, ttmp9, s16
	s_add_co_i32 s15, s8, -1
	s_lshl_b32 s8, s14, 8
	s_mov_b32 s9, 0
	s_cmp_lg_u32 s14, s15
	s_mov_b32 s16, -1
	s_cbranch_scc0 .LBB185_6
; %bb.1:
	s_lshl_b64 s[14:15], s[8:9], 2
	v_mov_b64_e32 v[2:3], 0
	s_add_nc_u64 s[14:15], s[12:13], s[14:15]
	v_mov_b32_e32 v1, 0
	flat_load_b32 v6, v0, s[14:15] scale_offset
	s_cmp_eq_u64 s[10:11], 0
	s_cbranch_scc1 .LBB185_5
; %bb.2:
	v_mov_b64_e32 v[4:5], s[10:11]
	s_wait_xcnt 0x0
	s_mov_b32 s14, 0
.LBB185_3:                              ; =>This Inner Loop Header: Depth=1
	s_delay_alu instid0(VALU_DEP_1) | instskip(NEXT) | instid1(VALU_DEP_1)
	v_sub_nc_u64_e32 v[8:9], v[4:5], v[2:3]
	v_lshrrev_b64 v[10:11], 1, v[8:9]
	v_lshrrev_b64 v[8:9], 6, v[8:9]
	s_delay_alu instid0(VALU_DEP_2) | instskip(NEXT) | instid1(VALU_DEP_1)
	v_add_nc_u64_e32 v[10:11], v[10:11], v[2:3]
	v_add_nc_u64_e32 v[8:9], v[10:11], v[8:9]
	s_delay_alu instid0(VALU_DEP_1)
	v_lshl_add_u64 v[10:11], v[8:9], 2, s[6:7]
	global_load_b32 v7, v[10:11], off
	s_wait_xcnt 0x0
	v_add_nc_u64_e32 v[10:11], 1, v[8:9]
	s_wait_loadcnt_dscnt 0x0
	v_cmp_gt_i32_e32 vcc_lo, v7, v6
	v_dual_cndmask_b32 v5, v9, v5 :: v_dual_cndmask_b32 v4, v8, v4
	s_delay_alu instid0(VALU_DEP_3) | instskip(NEXT) | instid1(VALU_DEP_1)
	v_dual_cndmask_b32 v3, v3, v11 :: v_dual_cndmask_b32 v2, v2, v10
	v_cmp_ge_u64_e32 vcc_lo, v[2:3], v[4:5]
	s_or_b32 s14, vcc_lo, s14
	s_delay_alu instid0(SALU_CYCLE_1)
	s_and_not1_b32 exec_lo, exec_lo, s14
	s_cbranch_execnz .LBB185_3
; %bb.4:
	s_or_b32 exec_lo, exec_lo, s14
.LBB185_5:
	s_wait_xcnt 0x0
	v_cmp_eq_u64_e64 s14, s[10:11], v[2:3]
	v_cmp_ne_u64_e64 s15, s[10:11], v[2:3]
	s_branch .LBB185_14
.LBB185_6:
	s_mov_b32 s15, s9
	s_mov_b32 s14, s9
                                        ; implicit-def: $vgpr6
                                        ; implicit-def: $vgpr2_vgpr3
	s_and_b32 vcc_lo, exec_lo, s16
	s_cbranch_vccz .LBB185_14
; %bb.7:
	s_load_b32 s0, s[0:1], 0x10
	s_wait_xcnt 0x0
	s_mov_b32 s1, exec_lo
                                        ; implicit-def: $vgpr6
                                        ; implicit-def: $vgpr2_vgpr3
	s_wait_kmcnt 0x0
	s_sub_co_i32 s0, s0, s8
	s_delay_alu instid0(SALU_CYCLE_1)
	v_cmpx_gt_u32_e64 s0, v0
	s_cbranch_execz .LBB185_13
; %bb.8:
	s_lshl_b64 s[16:17], s[8:9], 2
	v_mov_b64_e32 v[2:3], 0
	s_add_nc_u64 s[12:13], s[12:13], s[16:17]
	v_mov_b32_e32 v1, 0
	s_wait_loadcnt_dscnt 0x0
	flat_load_b32 v6, v0, s[12:13] scale_offset
	s_cmp_eq_u64 s[10:11], 0
	s_cbranch_scc1 .LBB185_12
; %bb.9:
	v_mov_b64_e32 v[4:5], s[10:11]
	s_mov_b32 s0, 0
.LBB185_10:                             ; =>This Inner Loop Header: Depth=1
	s_delay_alu instid0(VALU_DEP_1) | instskip(NEXT) | instid1(VALU_DEP_1)
	v_sub_nc_u64_e32 v[8:9], v[4:5], v[2:3]
	v_lshrrev_b64 v[10:11], 1, v[8:9]
	v_lshrrev_b64 v[8:9], 6, v[8:9]
	s_delay_alu instid0(VALU_DEP_2) | instskip(NEXT) | instid1(VALU_DEP_1)
	v_add_nc_u64_e32 v[10:11], v[10:11], v[2:3]
	v_add_nc_u64_e32 v[8:9], v[10:11], v[8:9]
	s_delay_alu instid0(VALU_DEP_1)
	v_lshl_add_u64 v[10:11], v[8:9], 2, s[6:7]
	global_load_b32 v7, v[10:11], off
	s_wait_xcnt 0x0
	v_add_nc_u64_e32 v[10:11], 1, v[8:9]
	s_wait_loadcnt_dscnt 0x0
	v_cmp_gt_i32_e32 vcc_lo, v7, v6
	v_dual_cndmask_b32 v5, v9, v5 :: v_dual_cndmask_b32 v4, v8, v4
	s_delay_alu instid0(VALU_DEP_3) | instskip(NEXT) | instid1(VALU_DEP_1)
	v_dual_cndmask_b32 v3, v3, v11 :: v_dual_cndmask_b32 v2, v2, v10
	v_cmp_ge_u64_e32 vcc_lo, v[2:3], v[4:5]
	s_or_b32 s0, vcc_lo, s0
	s_delay_alu instid0(SALU_CYCLE_1)
	s_and_not1_b32 exec_lo, exec_lo, s0
	s_cbranch_execnz .LBB185_10
; %bb.11:
	s_or_b32 exec_lo, exec_lo, s0
.LBB185_12:
	v_cmp_eq_u64_e32 vcc_lo, s[10:11], v[2:3]
	v_cmp_ne_u64_e64 s0, s[10:11], v[2:3]
	s_and_not1_b32 s10, s14, exec_lo
	s_and_not1_b32 s11, s15, exec_lo
	s_wait_xcnt 0x0
	s_and_b32 s12, vcc_lo, exec_lo
	s_and_b32 s0, s0, exec_lo
	s_or_b32 s14, s10, s12
	s_or_b32 s15, s11, s0
.LBB185_13:
	s_or_b32 exec_lo, exec_lo, s1
.LBB185_14:
	v_mov_b32_e32 v4, 0
	s_delay_alu instid0(VALU_DEP_2)
	s_and_saveexec_b32 s0, s15
	s_cbranch_execnz .LBB185_17
; %bb.15:
	s_or_b32 exec_lo, exec_lo, s0
	s_and_saveexec_b32 s0, s14
	s_cbranch_execnz .LBB185_18
.LBB185_16:
	s_endpgm
.LBB185_17:
	v_lshl_add_u64 v[2:3], v[2:3], 2, s[6:7]
	s_or_b32 s14, s14, exec_lo
	global_load_b32 v2, v[2:3], off
	s_wait_loadcnt_dscnt 0x0
	v_cmp_le_i32_e32 vcc_lo, v6, v2
	v_cndmask_b32_e64 v4, 0, 1, vcc_lo
	s_or_b32 exec_lo, exec_lo, s0
	s_and_saveexec_b32 s0, s14
	s_cbranch_execz .LBB185_16
.LBB185_18:
	s_add_nc_u64 s[0:1], s[4:5], s[2:3]
	s_lshl_b64 s[2:3], s[8:9], 2
	s_delay_alu instid0(SALU_CYCLE_1) | instskip(NEXT) | instid1(SALU_CYCLE_1)
	s_add_nc_u64 s[0:1], s[0:1], s[2:3]
	v_lshl_add_u64 v[0:1], v[0:1], 2, s[0:1]
	flat_store_b32 v[0:1], v4
	s_endpgm
	.section	.rodata,"a",@progbits
	.p2align	6, 0x0
	.amdhsa_kernel _ZN7rocprim17ROCPRIM_400000_NS6detail17trampoline_kernelINS0_14default_configENS1_29binary_search_config_selectorIiiEEZNS1_14transform_implILb0ES3_S5_N6thrust23THRUST_200600_302600_NS6detail15normal_iteratorINS8_7pointerIiNS8_11hip_rocprim3tagENS8_11use_defaultESE_EEEESG_ZNS1_13binary_searchIS3_S5_NSA_INSB_IiSD_NS8_16tagged_referenceIiSD_EESE_EEEESG_SG_NS1_16binary_search_opENS9_16wrapped_functionINS8_7greaterIiEEbEEEE10hipError_tPvRmT1_T2_T3_mmT4_T5_P12ihipStream_tbEUlRKiE_EESR_SV_SW_mSX_S10_bEUlT_E_NS1_11comp_targetILNS1_3genE0ELNS1_11target_archE4294967295ELNS1_3gpuE0ELNS1_3repE0EEENS1_30default_config_static_selectorELNS0_4arch9wavefront6targetE0EEEvSU_
		.amdhsa_group_segment_fixed_size 0
		.amdhsa_private_segment_fixed_size 0
		.amdhsa_kernarg_size 312
		.amdhsa_user_sgpr_count 2
		.amdhsa_user_sgpr_dispatch_ptr 0
		.amdhsa_user_sgpr_queue_ptr 0
		.amdhsa_user_sgpr_kernarg_segment_ptr 1
		.amdhsa_user_sgpr_dispatch_id 0
		.amdhsa_user_sgpr_kernarg_preload_length 0
		.amdhsa_user_sgpr_kernarg_preload_offset 0
		.amdhsa_user_sgpr_private_segment_size 0
		.amdhsa_wavefront_size32 1
		.amdhsa_uses_dynamic_stack 0
		.amdhsa_enable_private_segment 0
		.amdhsa_system_sgpr_workgroup_id_x 1
		.amdhsa_system_sgpr_workgroup_id_y 0
		.amdhsa_system_sgpr_workgroup_id_z 0
		.amdhsa_system_sgpr_workgroup_info 0
		.amdhsa_system_vgpr_workitem_id 0
		.amdhsa_next_free_vgpr 12
		.amdhsa_next_free_sgpr 18
		.amdhsa_named_barrier_count 0
		.amdhsa_reserve_vcc 1
		.amdhsa_float_round_mode_32 0
		.amdhsa_float_round_mode_16_64 0
		.amdhsa_float_denorm_mode_32 3
		.amdhsa_float_denorm_mode_16_64 3
		.amdhsa_fp16_overflow 0
		.amdhsa_memory_ordered 1
		.amdhsa_forward_progress 1
		.amdhsa_inst_pref_size 6
		.amdhsa_round_robin_scheduling 0
		.amdhsa_exception_fp_ieee_invalid_op 0
		.amdhsa_exception_fp_denorm_src 0
		.amdhsa_exception_fp_ieee_div_zero 0
		.amdhsa_exception_fp_ieee_overflow 0
		.amdhsa_exception_fp_ieee_underflow 0
		.amdhsa_exception_fp_ieee_inexact 0
		.amdhsa_exception_int_div_zero 0
	.end_amdhsa_kernel
	.section	.text._ZN7rocprim17ROCPRIM_400000_NS6detail17trampoline_kernelINS0_14default_configENS1_29binary_search_config_selectorIiiEEZNS1_14transform_implILb0ES3_S5_N6thrust23THRUST_200600_302600_NS6detail15normal_iteratorINS8_7pointerIiNS8_11hip_rocprim3tagENS8_11use_defaultESE_EEEESG_ZNS1_13binary_searchIS3_S5_NSA_INSB_IiSD_NS8_16tagged_referenceIiSD_EESE_EEEESG_SG_NS1_16binary_search_opENS9_16wrapped_functionINS8_7greaterIiEEbEEEE10hipError_tPvRmT1_T2_T3_mmT4_T5_P12ihipStream_tbEUlRKiE_EESR_SV_SW_mSX_S10_bEUlT_E_NS1_11comp_targetILNS1_3genE0ELNS1_11target_archE4294967295ELNS1_3gpuE0ELNS1_3repE0EEENS1_30default_config_static_selectorELNS0_4arch9wavefront6targetE0EEEvSU_,"axG",@progbits,_ZN7rocprim17ROCPRIM_400000_NS6detail17trampoline_kernelINS0_14default_configENS1_29binary_search_config_selectorIiiEEZNS1_14transform_implILb0ES3_S5_N6thrust23THRUST_200600_302600_NS6detail15normal_iteratorINS8_7pointerIiNS8_11hip_rocprim3tagENS8_11use_defaultESE_EEEESG_ZNS1_13binary_searchIS3_S5_NSA_INSB_IiSD_NS8_16tagged_referenceIiSD_EESE_EEEESG_SG_NS1_16binary_search_opENS9_16wrapped_functionINS8_7greaterIiEEbEEEE10hipError_tPvRmT1_T2_T3_mmT4_T5_P12ihipStream_tbEUlRKiE_EESR_SV_SW_mSX_S10_bEUlT_E_NS1_11comp_targetILNS1_3genE0ELNS1_11target_archE4294967295ELNS1_3gpuE0ELNS1_3repE0EEENS1_30default_config_static_selectorELNS0_4arch9wavefront6targetE0EEEvSU_,comdat
.Lfunc_end185:
	.size	_ZN7rocprim17ROCPRIM_400000_NS6detail17trampoline_kernelINS0_14default_configENS1_29binary_search_config_selectorIiiEEZNS1_14transform_implILb0ES3_S5_N6thrust23THRUST_200600_302600_NS6detail15normal_iteratorINS8_7pointerIiNS8_11hip_rocprim3tagENS8_11use_defaultESE_EEEESG_ZNS1_13binary_searchIS3_S5_NSA_INSB_IiSD_NS8_16tagged_referenceIiSD_EESE_EEEESG_SG_NS1_16binary_search_opENS9_16wrapped_functionINS8_7greaterIiEEbEEEE10hipError_tPvRmT1_T2_T3_mmT4_T5_P12ihipStream_tbEUlRKiE_EESR_SV_SW_mSX_S10_bEUlT_E_NS1_11comp_targetILNS1_3genE0ELNS1_11target_archE4294967295ELNS1_3gpuE0ELNS1_3repE0EEENS1_30default_config_static_selectorELNS0_4arch9wavefront6targetE0EEEvSU_, .Lfunc_end185-_ZN7rocprim17ROCPRIM_400000_NS6detail17trampoline_kernelINS0_14default_configENS1_29binary_search_config_selectorIiiEEZNS1_14transform_implILb0ES3_S5_N6thrust23THRUST_200600_302600_NS6detail15normal_iteratorINS8_7pointerIiNS8_11hip_rocprim3tagENS8_11use_defaultESE_EEEESG_ZNS1_13binary_searchIS3_S5_NSA_INSB_IiSD_NS8_16tagged_referenceIiSD_EESE_EEEESG_SG_NS1_16binary_search_opENS9_16wrapped_functionINS8_7greaterIiEEbEEEE10hipError_tPvRmT1_T2_T3_mmT4_T5_P12ihipStream_tbEUlRKiE_EESR_SV_SW_mSX_S10_bEUlT_E_NS1_11comp_targetILNS1_3genE0ELNS1_11target_archE4294967295ELNS1_3gpuE0ELNS1_3repE0EEENS1_30default_config_static_selectorELNS0_4arch9wavefront6targetE0EEEvSU_
                                        ; -- End function
	.set _ZN7rocprim17ROCPRIM_400000_NS6detail17trampoline_kernelINS0_14default_configENS1_29binary_search_config_selectorIiiEEZNS1_14transform_implILb0ES3_S5_N6thrust23THRUST_200600_302600_NS6detail15normal_iteratorINS8_7pointerIiNS8_11hip_rocprim3tagENS8_11use_defaultESE_EEEESG_ZNS1_13binary_searchIS3_S5_NSA_INSB_IiSD_NS8_16tagged_referenceIiSD_EESE_EEEESG_SG_NS1_16binary_search_opENS9_16wrapped_functionINS8_7greaterIiEEbEEEE10hipError_tPvRmT1_T2_T3_mmT4_T5_P12ihipStream_tbEUlRKiE_EESR_SV_SW_mSX_S10_bEUlT_E_NS1_11comp_targetILNS1_3genE0ELNS1_11target_archE4294967295ELNS1_3gpuE0ELNS1_3repE0EEENS1_30default_config_static_selectorELNS0_4arch9wavefront6targetE0EEEvSU_.num_vgpr, 12
	.set _ZN7rocprim17ROCPRIM_400000_NS6detail17trampoline_kernelINS0_14default_configENS1_29binary_search_config_selectorIiiEEZNS1_14transform_implILb0ES3_S5_N6thrust23THRUST_200600_302600_NS6detail15normal_iteratorINS8_7pointerIiNS8_11hip_rocprim3tagENS8_11use_defaultESE_EEEESG_ZNS1_13binary_searchIS3_S5_NSA_INSB_IiSD_NS8_16tagged_referenceIiSD_EESE_EEEESG_SG_NS1_16binary_search_opENS9_16wrapped_functionINS8_7greaterIiEEbEEEE10hipError_tPvRmT1_T2_T3_mmT4_T5_P12ihipStream_tbEUlRKiE_EESR_SV_SW_mSX_S10_bEUlT_E_NS1_11comp_targetILNS1_3genE0ELNS1_11target_archE4294967295ELNS1_3gpuE0ELNS1_3repE0EEENS1_30default_config_static_selectorELNS0_4arch9wavefront6targetE0EEEvSU_.num_agpr, 0
	.set _ZN7rocprim17ROCPRIM_400000_NS6detail17trampoline_kernelINS0_14default_configENS1_29binary_search_config_selectorIiiEEZNS1_14transform_implILb0ES3_S5_N6thrust23THRUST_200600_302600_NS6detail15normal_iteratorINS8_7pointerIiNS8_11hip_rocprim3tagENS8_11use_defaultESE_EEEESG_ZNS1_13binary_searchIS3_S5_NSA_INSB_IiSD_NS8_16tagged_referenceIiSD_EESE_EEEESG_SG_NS1_16binary_search_opENS9_16wrapped_functionINS8_7greaterIiEEbEEEE10hipError_tPvRmT1_T2_T3_mmT4_T5_P12ihipStream_tbEUlRKiE_EESR_SV_SW_mSX_S10_bEUlT_E_NS1_11comp_targetILNS1_3genE0ELNS1_11target_archE4294967295ELNS1_3gpuE0ELNS1_3repE0EEENS1_30default_config_static_selectorELNS0_4arch9wavefront6targetE0EEEvSU_.numbered_sgpr, 18
	.set _ZN7rocprim17ROCPRIM_400000_NS6detail17trampoline_kernelINS0_14default_configENS1_29binary_search_config_selectorIiiEEZNS1_14transform_implILb0ES3_S5_N6thrust23THRUST_200600_302600_NS6detail15normal_iteratorINS8_7pointerIiNS8_11hip_rocprim3tagENS8_11use_defaultESE_EEEESG_ZNS1_13binary_searchIS3_S5_NSA_INSB_IiSD_NS8_16tagged_referenceIiSD_EESE_EEEESG_SG_NS1_16binary_search_opENS9_16wrapped_functionINS8_7greaterIiEEbEEEE10hipError_tPvRmT1_T2_T3_mmT4_T5_P12ihipStream_tbEUlRKiE_EESR_SV_SW_mSX_S10_bEUlT_E_NS1_11comp_targetILNS1_3genE0ELNS1_11target_archE4294967295ELNS1_3gpuE0ELNS1_3repE0EEENS1_30default_config_static_selectorELNS0_4arch9wavefront6targetE0EEEvSU_.num_named_barrier, 0
	.set _ZN7rocprim17ROCPRIM_400000_NS6detail17trampoline_kernelINS0_14default_configENS1_29binary_search_config_selectorIiiEEZNS1_14transform_implILb0ES3_S5_N6thrust23THRUST_200600_302600_NS6detail15normal_iteratorINS8_7pointerIiNS8_11hip_rocprim3tagENS8_11use_defaultESE_EEEESG_ZNS1_13binary_searchIS3_S5_NSA_INSB_IiSD_NS8_16tagged_referenceIiSD_EESE_EEEESG_SG_NS1_16binary_search_opENS9_16wrapped_functionINS8_7greaterIiEEbEEEE10hipError_tPvRmT1_T2_T3_mmT4_T5_P12ihipStream_tbEUlRKiE_EESR_SV_SW_mSX_S10_bEUlT_E_NS1_11comp_targetILNS1_3genE0ELNS1_11target_archE4294967295ELNS1_3gpuE0ELNS1_3repE0EEENS1_30default_config_static_selectorELNS0_4arch9wavefront6targetE0EEEvSU_.private_seg_size, 0
	.set _ZN7rocprim17ROCPRIM_400000_NS6detail17trampoline_kernelINS0_14default_configENS1_29binary_search_config_selectorIiiEEZNS1_14transform_implILb0ES3_S5_N6thrust23THRUST_200600_302600_NS6detail15normal_iteratorINS8_7pointerIiNS8_11hip_rocprim3tagENS8_11use_defaultESE_EEEESG_ZNS1_13binary_searchIS3_S5_NSA_INSB_IiSD_NS8_16tagged_referenceIiSD_EESE_EEEESG_SG_NS1_16binary_search_opENS9_16wrapped_functionINS8_7greaterIiEEbEEEE10hipError_tPvRmT1_T2_T3_mmT4_T5_P12ihipStream_tbEUlRKiE_EESR_SV_SW_mSX_S10_bEUlT_E_NS1_11comp_targetILNS1_3genE0ELNS1_11target_archE4294967295ELNS1_3gpuE0ELNS1_3repE0EEENS1_30default_config_static_selectorELNS0_4arch9wavefront6targetE0EEEvSU_.uses_vcc, 1
	.set _ZN7rocprim17ROCPRIM_400000_NS6detail17trampoline_kernelINS0_14default_configENS1_29binary_search_config_selectorIiiEEZNS1_14transform_implILb0ES3_S5_N6thrust23THRUST_200600_302600_NS6detail15normal_iteratorINS8_7pointerIiNS8_11hip_rocprim3tagENS8_11use_defaultESE_EEEESG_ZNS1_13binary_searchIS3_S5_NSA_INSB_IiSD_NS8_16tagged_referenceIiSD_EESE_EEEESG_SG_NS1_16binary_search_opENS9_16wrapped_functionINS8_7greaterIiEEbEEEE10hipError_tPvRmT1_T2_T3_mmT4_T5_P12ihipStream_tbEUlRKiE_EESR_SV_SW_mSX_S10_bEUlT_E_NS1_11comp_targetILNS1_3genE0ELNS1_11target_archE4294967295ELNS1_3gpuE0ELNS1_3repE0EEENS1_30default_config_static_selectorELNS0_4arch9wavefront6targetE0EEEvSU_.uses_flat_scratch, 0
	.set _ZN7rocprim17ROCPRIM_400000_NS6detail17trampoline_kernelINS0_14default_configENS1_29binary_search_config_selectorIiiEEZNS1_14transform_implILb0ES3_S5_N6thrust23THRUST_200600_302600_NS6detail15normal_iteratorINS8_7pointerIiNS8_11hip_rocprim3tagENS8_11use_defaultESE_EEEESG_ZNS1_13binary_searchIS3_S5_NSA_INSB_IiSD_NS8_16tagged_referenceIiSD_EESE_EEEESG_SG_NS1_16binary_search_opENS9_16wrapped_functionINS8_7greaterIiEEbEEEE10hipError_tPvRmT1_T2_T3_mmT4_T5_P12ihipStream_tbEUlRKiE_EESR_SV_SW_mSX_S10_bEUlT_E_NS1_11comp_targetILNS1_3genE0ELNS1_11target_archE4294967295ELNS1_3gpuE0ELNS1_3repE0EEENS1_30default_config_static_selectorELNS0_4arch9wavefront6targetE0EEEvSU_.has_dyn_sized_stack, 0
	.set _ZN7rocprim17ROCPRIM_400000_NS6detail17trampoline_kernelINS0_14default_configENS1_29binary_search_config_selectorIiiEEZNS1_14transform_implILb0ES3_S5_N6thrust23THRUST_200600_302600_NS6detail15normal_iteratorINS8_7pointerIiNS8_11hip_rocprim3tagENS8_11use_defaultESE_EEEESG_ZNS1_13binary_searchIS3_S5_NSA_INSB_IiSD_NS8_16tagged_referenceIiSD_EESE_EEEESG_SG_NS1_16binary_search_opENS9_16wrapped_functionINS8_7greaterIiEEbEEEE10hipError_tPvRmT1_T2_T3_mmT4_T5_P12ihipStream_tbEUlRKiE_EESR_SV_SW_mSX_S10_bEUlT_E_NS1_11comp_targetILNS1_3genE0ELNS1_11target_archE4294967295ELNS1_3gpuE0ELNS1_3repE0EEENS1_30default_config_static_selectorELNS0_4arch9wavefront6targetE0EEEvSU_.has_recursion, 0
	.set _ZN7rocprim17ROCPRIM_400000_NS6detail17trampoline_kernelINS0_14default_configENS1_29binary_search_config_selectorIiiEEZNS1_14transform_implILb0ES3_S5_N6thrust23THRUST_200600_302600_NS6detail15normal_iteratorINS8_7pointerIiNS8_11hip_rocprim3tagENS8_11use_defaultESE_EEEESG_ZNS1_13binary_searchIS3_S5_NSA_INSB_IiSD_NS8_16tagged_referenceIiSD_EESE_EEEESG_SG_NS1_16binary_search_opENS9_16wrapped_functionINS8_7greaterIiEEbEEEE10hipError_tPvRmT1_T2_T3_mmT4_T5_P12ihipStream_tbEUlRKiE_EESR_SV_SW_mSX_S10_bEUlT_E_NS1_11comp_targetILNS1_3genE0ELNS1_11target_archE4294967295ELNS1_3gpuE0ELNS1_3repE0EEENS1_30default_config_static_selectorELNS0_4arch9wavefront6targetE0EEEvSU_.has_indirect_call, 0
	.section	.AMDGPU.csdata,"",@progbits
; Kernel info:
; codeLenInByte = 696
; TotalNumSgprs: 20
; NumVgprs: 12
; ScratchSize: 0
; MemoryBound: 0
; FloatMode: 240
; IeeeMode: 1
; LDSByteSize: 0 bytes/workgroup (compile time only)
; SGPRBlocks: 0
; VGPRBlocks: 0
; NumSGPRsForWavesPerEU: 20
; NumVGPRsForWavesPerEU: 12
; NamedBarCnt: 0
; Occupancy: 16
; WaveLimiterHint : 0
; COMPUTE_PGM_RSRC2:SCRATCH_EN: 0
; COMPUTE_PGM_RSRC2:USER_SGPR: 2
; COMPUTE_PGM_RSRC2:TRAP_HANDLER: 0
; COMPUTE_PGM_RSRC2:TGID_X_EN: 1
; COMPUTE_PGM_RSRC2:TGID_Y_EN: 0
; COMPUTE_PGM_RSRC2:TGID_Z_EN: 0
; COMPUTE_PGM_RSRC2:TIDIG_COMP_CNT: 0
	.section	.text._ZN7rocprim17ROCPRIM_400000_NS6detail17trampoline_kernelINS0_14default_configENS1_29binary_search_config_selectorIiiEEZNS1_14transform_implILb0ES3_S5_N6thrust23THRUST_200600_302600_NS6detail15normal_iteratorINS8_7pointerIiNS8_11hip_rocprim3tagENS8_11use_defaultESE_EEEESG_ZNS1_13binary_searchIS3_S5_NSA_INSB_IiSD_NS8_16tagged_referenceIiSD_EESE_EEEESG_SG_NS1_16binary_search_opENS9_16wrapped_functionINS8_7greaterIiEEbEEEE10hipError_tPvRmT1_T2_T3_mmT4_T5_P12ihipStream_tbEUlRKiE_EESR_SV_SW_mSX_S10_bEUlT_E_NS1_11comp_targetILNS1_3genE5ELNS1_11target_archE942ELNS1_3gpuE9ELNS1_3repE0EEENS1_30default_config_static_selectorELNS0_4arch9wavefront6targetE0EEEvSU_,"axG",@progbits,_ZN7rocprim17ROCPRIM_400000_NS6detail17trampoline_kernelINS0_14default_configENS1_29binary_search_config_selectorIiiEEZNS1_14transform_implILb0ES3_S5_N6thrust23THRUST_200600_302600_NS6detail15normal_iteratorINS8_7pointerIiNS8_11hip_rocprim3tagENS8_11use_defaultESE_EEEESG_ZNS1_13binary_searchIS3_S5_NSA_INSB_IiSD_NS8_16tagged_referenceIiSD_EESE_EEEESG_SG_NS1_16binary_search_opENS9_16wrapped_functionINS8_7greaterIiEEbEEEE10hipError_tPvRmT1_T2_T3_mmT4_T5_P12ihipStream_tbEUlRKiE_EESR_SV_SW_mSX_S10_bEUlT_E_NS1_11comp_targetILNS1_3genE5ELNS1_11target_archE942ELNS1_3gpuE9ELNS1_3repE0EEENS1_30default_config_static_selectorELNS0_4arch9wavefront6targetE0EEEvSU_,comdat
	.protected	_ZN7rocprim17ROCPRIM_400000_NS6detail17trampoline_kernelINS0_14default_configENS1_29binary_search_config_selectorIiiEEZNS1_14transform_implILb0ES3_S5_N6thrust23THRUST_200600_302600_NS6detail15normal_iteratorINS8_7pointerIiNS8_11hip_rocprim3tagENS8_11use_defaultESE_EEEESG_ZNS1_13binary_searchIS3_S5_NSA_INSB_IiSD_NS8_16tagged_referenceIiSD_EESE_EEEESG_SG_NS1_16binary_search_opENS9_16wrapped_functionINS8_7greaterIiEEbEEEE10hipError_tPvRmT1_T2_T3_mmT4_T5_P12ihipStream_tbEUlRKiE_EESR_SV_SW_mSX_S10_bEUlT_E_NS1_11comp_targetILNS1_3genE5ELNS1_11target_archE942ELNS1_3gpuE9ELNS1_3repE0EEENS1_30default_config_static_selectorELNS0_4arch9wavefront6targetE0EEEvSU_ ; -- Begin function _ZN7rocprim17ROCPRIM_400000_NS6detail17trampoline_kernelINS0_14default_configENS1_29binary_search_config_selectorIiiEEZNS1_14transform_implILb0ES3_S5_N6thrust23THRUST_200600_302600_NS6detail15normal_iteratorINS8_7pointerIiNS8_11hip_rocprim3tagENS8_11use_defaultESE_EEEESG_ZNS1_13binary_searchIS3_S5_NSA_INSB_IiSD_NS8_16tagged_referenceIiSD_EESE_EEEESG_SG_NS1_16binary_search_opENS9_16wrapped_functionINS8_7greaterIiEEbEEEE10hipError_tPvRmT1_T2_T3_mmT4_T5_P12ihipStream_tbEUlRKiE_EESR_SV_SW_mSX_S10_bEUlT_E_NS1_11comp_targetILNS1_3genE5ELNS1_11target_archE942ELNS1_3gpuE9ELNS1_3repE0EEENS1_30default_config_static_selectorELNS0_4arch9wavefront6targetE0EEEvSU_
	.globl	_ZN7rocprim17ROCPRIM_400000_NS6detail17trampoline_kernelINS0_14default_configENS1_29binary_search_config_selectorIiiEEZNS1_14transform_implILb0ES3_S5_N6thrust23THRUST_200600_302600_NS6detail15normal_iteratorINS8_7pointerIiNS8_11hip_rocprim3tagENS8_11use_defaultESE_EEEESG_ZNS1_13binary_searchIS3_S5_NSA_INSB_IiSD_NS8_16tagged_referenceIiSD_EESE_EEEESG_SG_NS1_16binary_search_opENS9_16wrapped_functionINS8_7greaterIiEEbEEEE10hipError_tPvRmT1_T2_T3_mmT4_T5_P12ihipStream_tbEUlRKiE_EESR_SV_SW_mSX_S10_bEUlT_E_NS1_11comp_targetILNS1_3genE5ELNS1_11target_archE942ELNS1_3gpuE9ELNS1_3repE0EEENS1_30default_config_static_selectorELNS0_4arch9wavefront6targetE0EEEvSU_
	.p2align	8
	.type	_ZN7rocprim17ROCPRIM_400000_NS6detail17trampoline_kernelINS0_14default_configENS1_29binary_search_config_selectorIiiEEZNS1_14transform_implILb0ES3_S5_N6thrust23THRUST_200600_302600_NS6detail15normal_iteratorINS8_7pointerIiNS8_11hip_rocprim3tagENS8_11use_defaultESE_EEEESG_ZNS1_13binary_searchIS3_S5_NSA_INSB_IiSD_NS8_16tagged_referenceIiSD_EESE_EEEESG_SG_NS1_16binary_search_opENS9_16wrapped_functionINS8_7greaterIiEEbEEEE10hipError_tPvRmT1_T2_T3_mmT4_T5_P12ihipStream_tbEUlRKiE_EESR_SV_SW_mSX_S10_bEUlT_E_NS1_11comp_targetILNS1_3genE5ELNS1_11target_archE942ELNS1_3gpuE9ELNS1_3repE0EEENS1_30default_config_static_selectorELNS0_4arch9wavefront6targetE0EEEvSU_,@function
_ZN7rocprim17ROCPRIM_400000_NS6detail17trampoline_kernelINS0_14default_configENS1_29binary_search_config_selectorIiiEEZNS1_14transform_implILb0ES3_S5_N6thrust23THRUST_200600_302600_NS6detail15normal_iteratorINS8_7pointerIiNS8_11hip_rocprim3tagENS8_11use_defaultESE_EEEESG_ZNS1_13binary_searchIS3_S5_NSA_INSB_IiSD_NS8_16tagged_referenceIiSD_EESE_EEEESG_SG_NS1_16binary_search_opENS9_16wrapped_functionINS8_7greaterIiEEbEEEE10hipError_tPvRmT1_T2_T3_mmT4_T5_P12ihipStream_tbEUlRKiE_EESR_SV_SW_mSX_S10_bEUlT_E_NS1_11comp_targetILNS1_3genE5ELNS1_11target_archE942ELNS1_3gpuE9ELNS1_3repE0EEENS1_30default_config_static_selectorELNS0_4arch9wavefront6targetE0EEEvSU_: ; @_ZN7rocprim17ROCPRIM_400000_NS6detail17trampoline_kernelINS0_14default_configENS1_29binary_search_config_selectorIiiEEZNS1_14transform_implILb0ES3_S5_N6thrust23THRUST_200600_302600_NS6detail15normal_iteratorINS8_7pointerIiNS8_11hip_rocprim3tagENS8_11use_defaultESE_EEEESG_ZNS1_13binary_searchIS3_S5_NSA_INSB_IiSD_NS8_16tagged_referenceIiSD_EESE_EEEESG_SG_NS1_16binary_search_opENS9_16wrapped_functionINS8_7greaterIiEEbEEEE10hipError_tPvRmT1_T2_T3_mmT4_T5_P12ihipStream_tbEUlRKiE_EESR_SV_SW_mSX_S10_bEUlT_E_NS1_11comp_targetILNS1_3genE5ELNS1_11target_archE942ELNS1_3gpuE9ELNS1_3repE0EEENS1_30default_config_static_selectorELNS0_4arch9wavefront6targetE0EEEvSU_
; %bb.0:
	.section	.rodata,"a",@progbits
	.p2align	6, 0x0
	.amdhsa_kernel _ZN7rocprim17ROCPRIM_400000_NS6detail17trampoline_kernelINS0_14default_configENS1_29binary_search_config_selectorIiiEEZNS1_14transform_implILb0ES3_S5_N6thrust23THRUST_200600_302600_NS6detail15normal_iteratorINS8_7pointerIiNS8_11hip_rocprim3tagENS8_11use_defaultESE_EEEESG_ZNS1_13binary_searchIS3_S5_NSA_INSB_IiSD_NS8_16tagged_referenceIiSD_EESE_EEEESG_SG_NS1_16binary_search_opENS9_16wrapped_functionINS8_7greaterIiEEbEEEE10hipError_tPvRmT1_T2_T3_mmT4_T5_P12ihipStream_tbEUlRKiE_EESR_SV_SW_mSX_S10_bEUlT_E_NS1_11comp_targetILNS1_3genE5ELNS1_11target_archE942ELNS1_3gpuE9ELNS1_3repE0EEENS1_30default_config_static_selectorELNS0_4arch9wavefront6targetE0EEEvSU_
		.amdhsa_group_segment_fixed_size 0
		.amdhsa_private_segment_fixed_size 0
		.amdhsa_kernarg_size 56
		.amdhsa_user_sgpr_count 2
		.amdhsa_user_sgpr_dispatch_ptr 0
		.amdhsa_user_sgpr_queue_ptr 0
		.amdhsa_user_sgpr_kernarg_segment_ptr 1
		.amdhsa_user_sgpr_dispatch_id 0
		.amdhsa_user_sgpr_kernarg_preload_length 0
		.amdhsa_user_sgpr_kernarg_preload_offset 0
		.amdhsa_user_sgpr_private_segment_size 0
		.amdhsa_wavefront_size32 1
		.amdhsa_uses_dynamic_stack 0
		.amdhsa_enable_private_segment 0
		.amdhsa_system_sgpr_workgroup_id_x 1
		.amdhsa_system_sgpr_workgroup_id_y 0
		.amdhsa_system_sgpr_workgroup_id_z 0
		.amdhsa_system_sgpr_workgroup_info 0
		.amdhsa_system_vgpr_workitem_id 0
		.amdhsa_next_free_vgpr 1
		.amdhsa_next_free_sgpr 1
		.amdhsa_named_barrier_count 0
		.amdhsa_reserve_vcc 0
		.amdhsa_float_round_mode_32 0
		.amdhsa_float_round_mode_16_64 0
		.amdhsa_float_denorm_mode_32 3
		.amdhsa_float_denorm_mode_16_64 3
		.amdhsa_fp16_overflow 0
		.amdhsa_memory_ordered 1
		.amdhsa_forward_progress 1
		.amdhsa_inst_pref_size 0
		.amdhsa_round_robin_scheduling 0
		.amdhsa_exception_fp_ieee_invalid_op 0
		.amdhsa_exception_fp_denorm_src 0
		.amdhsa_exception_fp_ieee_div_zero 0
		.amdhsa_exception_fp_ieee_overflow 0
		.amdhsa_exception_fp_ieee_underflow 0
		.amdhsa_exception_fp_ieee_inexact 0
		.amdhsa_exception_int_div_zero 0
	.end_amdhsa_kernel
	.section	.text._ZN7rocprim17ROCPRIM_400000_NS6detail17trampoline_kernelINS0_14default_configENS1_29binary_search_config_selectorIiiEEZNS1_14transform_implILb0ES3_S5_N6thrust23THRUST_200600_302600_NS6detail15normal_iteratorINS8_7pointerIiNS8_11hip_rocprim3tagENS8_11use_defaultESE_EEEESG_ZNS1_13binary_searchIS3_S5_NSA_INSB_IiSD_NS8_16tagged_referenceIiSD_EESE_EEEESG_SG_NS1_16binary_search_opENS9_16wrapped_functionINS8_7greaterIiEEbEEEE10hipError_tPvRmT1_T2_T3_mmT4_T5_P12ihipStream_tbEUlRKiE_EESR_SV_SW_mSX_S10_bEUlT_E_NS1_11comp_targetILNS1_3genE5ELNS1_11target_archE942ELNS1_3gpuE9ELNS1_3repE0EEENS1_30default_config_static_selectorELNS0_4arch9wavefront6targetE0EEEvSU_,"axG",@progbits,_ZN7rocprim17ROCPRIM_400000_NS6detail17trampoline_kernelINS0_14default_configENS1_29binary_search_config_selectorIiiEEZNS1_14transform_implILb0ES3_S5_N6thrust23THRUST_200600_302600_NS6detail15normal_iteratorINS8_7pointerIiNS8_11hip_rocprim3tagENS8_11use_defaultESE_EEEESG_ZNS1_13binary_searchIS3_S5_NSA_INSB_IiSD_NS8_16tagged_referenceIiSD_EESE_EEEESG_SG_NS1_16binary_search_opENS9_16wrapped_functionINS8_7greaterIiEEbEEEE10hipError_tPvRmT1_T2_T3_mmT4_T5_P12ihipStream_tbEUlRKiE_EESR_SV_SW_mSX_S10_bEUlT_E_NS1_11comp_targetILNS1_3genE5ELNS1_11target_archE942ELNS1_3gpuE9ELNS1_3repE0EEENS1_30default_config_static_selectorELNS0_4arch9wavefront6targetE0EEEvSU_,comdat
.Lfunc_end186:
	.size	_ZN7rocprim17ROCPRIM_400000_NS6detail17trampoline_kernelINS0_14default_configENS1_29binary_search_config_selectorIiiEEZNS1_14transform_implILb0ES3_S5_N6thrust23THRUST_200600_302600_NS6detail15normal_iteratorINS8_7pointerIiNS8_11hip_rocprim3tagENS8_11use_defaultESE_EEEESG_ZNS1_13binary_searchIS3_S5_NSA_INSB_IiSD_NS8_16tagged_referenceIiSD_EESE_EEEESG_SG_NS1_16binary_search_opENS9_16wrapped_functionINS8_7greaterIiEEbEEEE10hipError_tPvRmT1_T2_T3_mmT4_T5_P12ihipStream_tbEUlRKiE_EESR_SV_SW_mSX_S10_bEUlT_E_NS1_11comp_targetILNS1_3genE5ELNS1_11target_archE942ELNS1_3gpuE9ELNS1_3repE0EEENS1_30default_config_static_selectorELNS0_4arch9wavefront6targetE0EEEvSU_, .Lfunc_end186-_ZN7rocprim17ROCPRIM_400000_NS6detail17trampoline_kernelINS0_14default_configENS1_29binary_search_config_selectorIiiEEZNS1_14transform_implILb0ES3_S5_N6thrust23THRUST_200600_302600_NS6detail15normal_iteratorINS8_7pointerIiNS8_11hip_rocprim3tagENS8_11use_defaultESE_EEEESG_ZNS1_13binary_searchIS3_S5_NSA_INSB_IiSD_NS8_16tagged_referenceIiSD_EESE_EEEESG_SG_NS1_16binary_search_opENS9_16wrapped_functionINS8_7greaterIiEEbEEEE10hipError_tPvRmT1_T2_T3_mmT4_T5_P12ihipStream_tbEUlRKiE_EESR_SV_SW_mSX_S10_bEUlT_E_NS1_11comp_targetILNS1_3genE5ELNS1_11target_archE942ELNS1_3gpuE9ELNS1_3repE0EEENS1_30default_config_static_selectorELNS0_4arch9wavefront6targetE0EEEvSU_
                                        ; -- End function
	.set _ZN7rocprim17ROCPRIM_400000_NS6detail17trampoline_kernelINS0_14default_configENS1_29binary_search_config_selectorIiiEEZNS1_14transform_implILb0ES3_S5_N6thrust23THRUST_200600_302600_NS6detail15normal_iteratorINS8_7pointerIiNS8_11hip_rocprim3tagENS8_11use_defaultESE_EEEESG_ZNS1_13binary_searchIS3_S5_NSA_INSB_IiSD_NS8_16tagged_referenceIiSD_EESE_EEEESG_SG_NS1_16binary_search_opENS9_16wrapped_functionINS8_7greaterIiEEbEEEE10hipError_tPvRmT1_T2_T3_mmT4_T5_P12ihipStream_tbEUlRKiE_EESR_SV_SW_mSX_S10_bEUlT_E_NS1_11comp_targetILNS1_3genE5ELNS1_11target_archE942ELNS1_3gpuE9ELNS1_3repE0EEENS1_30default_config_static_selectorELNS0_4arch9wavefront6targetE0EEEvSU_.num_vgpr, 0
	.set _ZN7rocprim17ROCPRIM_400000_NS6detail17trampoline_kernelINS0_14default_configENS1_29binary_search_config_selectorIiiEEZNS1_14transform_implILb0ES3_S5_N6thrust23THRUST_200600_302600_NS6detail15normal_iteratorINS8_7pointerIiNS8_11hip_rocprim3tagENS8_11use_defaultESE_EEEESG_ZNS1_13binary_searchIS3_S5_NSA_INSB_IiSD_NS8_16tagged_referenceIiSD_EESE_EEEESG_SG_NS1_16binary_search_opENS9_16wrapped_functionINS8_7greaterIiEEbEEEE10hipError_tPvRmT1_T2_T3_mmT4_T5_P12ihipStream_tbEUlRKiE_EESR_SV_SW_mSX_S10_bEUlT_E_NS1_11comp_targetILNS1_3genE5ELNS1_11target_archE942ELNS1_3gpuE9ELNS1_3repE0EEENS1_30default_config_static_selectorELNS0_4arch9wavefront6targetE0EEEvSU_.num_agpr, 0
	.set _ZN7rocprim17ROCPRIM_400000_NS6detail17trampoline_kernelINS0_14default_configENS1_29binary_search_config_selectorIiiEEZNS1_14transform_implILb0ES3_S5_N6thrust23THRUST_200600_302600_NS6detail15normal_iteratorINS8_7pointerIiNS8_11hip_rocprim3tagENS8_11use_defaultESE_EEEESG_ZNS1_13binary_searchIS3_S5_NSA_INSB_IiSD_NS8_16tagged_referenceIiSD_EESE_EEEESG_SG_NS1_16binary_search_opENS9_16wrapped_functionINS8_7greaterIiEEbEEEE10hipError_tPvRmT1_T2_T3_mmT4_T5_P12ihipStream_tbEUlRKiE_EESR_SV_SW_mSX_S10_bEUlT_E_NS1_11comp_targetILNS1_3genE5ELNS1_11target_archE942ELNS1_3gpuE9ELNS1_3repE0EEENS1_30default_config_static_selectorELNS0_4arch9wavefront6targetE0EEEvSU_.numbered_sgpr, 0
	.set _ZN7rocprim17ROCPRIM_400000_NS6detail17trampoline_kernelINS0_14default_configENS1_29binary_search_config_selectorIiiEEZNS1_14transform_implILb0ES3_S5_N6thrust23THRUST_200600_302600_NS6detail15normal_iteratorINS8_7pointerIiNS8_11hip_rocprim3tagENS8_11use_defaultESE_EEEESG_ZNS1_13binary_searchIS3_S5_NSA_INSB_IiSD_NS8_16tagged_referenceIiSD_EESE_EEEESG_SG_NS1_16binary_search_opENS9_16wrapped_functionINS8_7greaterIiEEbEEEE10hipError_tPvRmT1_T2_T3_mmT4_T5_P12ihipStream_tbEUlRKiE_EESR_SV_SW_mSX_S10_bEUlT_E_NS1_11comp_targetILNS1_3genE5ELNS1_11target_archE942ELNS1_3gpuE9ELNS1_3repE0EEENS1_30default_config_static_selectorELNS0_4arch9wavefront6targetE0EEEvSU_.num_named_barrier, 0
	.set _ZN7rocprim17ROCPRIM_400000_NS6detail17trampoline_kernelINS0_14default_configENS1_29binary_search_config_selectorIiiEEZNS1_14transform_implILb0ES3_S5_N6thrust23THRUST_200600_302600_NS6detail15normal_iteratorINS8_7pointerIiNS8_11hip_rocprim3tagENS8_11use_defaultESE_EEEESG_ZNS1_13binary_searchIS3_S5_NSA_INSB_IiSD_NS8_16tagged_referenceIiSD_EESE_EEEESG_SG_NS1_16binary_search_opENS9_16wrapped_functionINS8_7greaterIiEEbEEEE10hipError_tPvRmT1_T2_T3_mmT4_T5_P12ihipStream_tbEUlRKiE_EESR_SV_SW_mSX_S10_bEUlT_E_NS1_11comp_targetILNS1_3genE5ELNS1_11target_archE942ELNS1_3gpuE9ELNS1_3repE0EEENS1_30default_config_static_selectorELNS0_4arch9wavefront6targetE0EEEvSU_.private_seg_size, 0
	.set _ZN7rocprim17ROCPRIM_400000_NS6detail17trampoline_kernelINS0_14default_configENS1_29binary_search_config_selectorIiiEEZNS1_14transform_implILb0ES3_S5_N6thrust23THRUST_200600_302600_NS6detail15normal_iteratorINS8_7pointerIiNS8_11hip_rocprim3tagENS8_11use_defaultESE_EEEESG_ZNS1_13binary_searchIS3_S5_NSA_INSB_IiSD_NS8_16tagged_referenceIiSD_EESE_EEEESG_SG_NS1_16binary_search_opENS9_16wrapped_functionINS8_7greaterIiEEbEEEE10hipError_tPvRmT1_T2_T3_mmT4_T5_P12ihipStream_tbEUlRKiE_EESR_SV_SW_mSX_S10_bEUlT_E_NS1_11comp_targetILNS1_3genE5ELNS1_11target_archE942ELNS1_3gpuE9ELNS1_3repE0EEENS1_30default_config_static_selectorELNS0_4arch9wavefront6targetE0EEEvSU_.uses_vcc, 0
	.set _ZN7rocprim17ROCPRIM_400000_NS6detail17trampoline_kernelINS0_14default_configENS1_29binary_search_config_selectorIiiEEZNS1_14transform_implILb0ES3_S5_N6thrust23THRUST_200600_302600_NS6detail15normal_iteratorINS8_7pointerIiNS8_11hip_rocprim3tagENS8_11use_defaultESE_EEEESG_ZNS1_13binary_searchIS3_S5_NSA_INSB_IiSD_NS8_16tagged_referenceIiSD_EESE_EEEESG_SG_NS1_16binary_search_opENS9_16wrapped_functionINS8_7greaterIiEEbEEEE10hipError_tPvRmT1_T2_T3_mmT4_T5_P12ihipStream_tbEUlRKiE_EESR_SV_SW_mSX_S10_bEUlT_E_NS1_11comp_targetILNS1_3genE5ELNS1_11target_archE942ELNS1_3gpuE9ELNS1_3repE0EEENS1_30default_config_static_selectorELNS0_4arch9wavefront6targetE0EEEvSU_.uses_flat_scratch, 0
	.set _ZN7rocprim17ROCPRIM_400000_NS6detail17trampoline_kernelINS0_14default_configENS1_29binary_search_config_selectorIiiEEZNS1_14transform_implILb0ES3_S5_N6thrust23THRUST_200600_302600_NS6detail15normal_iteratorINS8_7pointerIiNS8_11hip_rocprim3tagENS8_11use_defaultESE_EEEESG_ZNS1_13binary_searchIS3_S5_NSA_INSB_IiSD_NS8_16tagged_referenceIiSD_EESE_EEEESG_SG_NS1_16binary_search_opENS9_16wrapped_functionINS8_7greaterIiEEbEEEE10hipError_tPvRmT1_T2_T3_mmT4_T5_P12ihipStream_tbEUlRKiE_EESR_SV_SW_mSX_S10_bEUlT_E_NS1_11comp_targetILNS1_3genE5ELNS1_11target_archE942ELNS1_3gpuE9ELNS1_3repE0EEENS1_30default_config_static_selectorELNS0_4arch9wavefront6targetE0EEEvSU_.has_dyn_sized_stack, 0
	.set _ZN7rocprim17ROCPRIM_400000_NS6detail17trampoline_kernelINS0_14default_configENS1_29binary_search_config_selectorIiiEEZNS1_14transform_implILb0ES3_S5_N6thrust23THRUST_200600_302600_NS6detail15normal_iteratorINS8_7pointerIiNS8_11hip_rocprim3tagENS8_11use_defaultESE_EEEESG_ZNS1_13binary_searchIS3_S5_NSA_INSB_IiSD_NS8_16tagged_referenceIiSD_EESE_EEEESG_SG_NS1_16binary_search_opENS9_16wrapped_functionINS8_7greaterIiEEbEEEE10hipError_tPvRmT1_T2_T3_mmT4_T5_P12ihipStream_tbEUlRKiE_EESR_SV_SW_mSX_S10_bEUlT_E_NS1_11comp_targetILNS1_3genE5ELNS1_11target_archE942ELNS1_3gpuE9ELNS1_3repE0EEENS1_30default_config_static_selectorELNS0_4arch9wavefront6targetE0EEEvSU_.has_recursion, 0
	.set _ZN7rocprim17ROCPRIM_400000_NS6detail17trampoline_kernelINS0_14default_configENS1_29binary_search_config_selectorIiiEEZNS1_14transform_implILb0ES3_S5_N6thrust23THRUST_200600_302600_NS6detail15normal_iteratorINS8_7pointerIiNS8_11hip_rocprim3tagENS8_11use_defaultESE_EEEESG_ZNS1_13binary_searchIS3_S5_NSA_INSB_IiSD_NS8_16tagged_referenceIiSD_EESE_EEEESG_SG_NS1_16binary_search_opENS9_16wrapped_functionINS8_7greaterIiEEbEEEE10hipError_tPvRmT1_T2_T3_mmT4_T5_P12ihipStream_tbEUlRKiE_EESR_SV_SW_mSX_S10_bEUlT_E_NS1_11comp_targetILNS1_3genE5ELNS1_11target_archE942ELNS1_3gpuE9ELNS1_3repE0EEENS1_30default_config_static_selectorELNS0_4arch9wavefront6targetE0EEEvSU_.has_indirect_call, 0
	.section	.AMDGPU.csdata,"",@progbits
; Kernel info:
; codeLenInByte = 0
; TotalNumSgprs: 0
; NumVgprs: 0
; ScratchSize: 0
; MemoryBound: 0
; FloatMode: 240
; IeeeMode: 1
; LDSByteSize: 0 bytes/workgroup (compile time only)
; SGPRBlocks: 0
; VGPRBlocks: 0
; NumSGPRsForWavesPerEU: 1
; NumVGPRsForWavesPerEU: 1
; NamedBarCnt: 0
; Occupancy: 16
; WaveLimiterHint : 0
; COMPUTE_PGM_RSRC2:SCRATCH_EN: 0
; COMPUTE_PGM_RSRC2:USER_SGPR: 2
; COMPUTE_PGM_RSRC2:TRAP_HANDLER: 0
; COMPUTE_PGM_RSRC2:TGID_X_EN: 1
; COMPUTE_PGM_RSRC2:TGID_Y_EN: 0
; COMPUTE_PGM_RSRC2:TGID_Z_EN: 0
; COMPUTE_PGM_RSRC2:TIDIG_COMP_CNT: 0
	.section	.text._ZN7rocprim17ROCPRIM_400000_NS6detail17trampoline_kernelINS0_14default_configENS1_29binary_search_config_selectorIiiEEZNS1_14transform_implILb0ES3_S5_N6thrust23THRUST_200600_302600_NS6detail15normal_iteratorINS8_7pointerIiNS8_11hip_rocprim3tagENS8_11use_defaultESE_EEEESG_ZNS1_13binary_searchIS3_S5_NSA_INSB_IiSD_NS8_16tagged_referenceIiSD_EESE_EEEESG_SG_NS1_16binary_search_opENS9_16wrapped_functionINS8_7greaterIiEEbEEEE10hipError_tPvRmT1_T2_T3_mmT4_T5_P12ihipStream_tbEUlRKiE_EESR_SV_SW_mSX_S10_bEUlT_E_NS1_11comp_targetILNS1_3genE4ELNS1_11target_archE910ELNS1_3gpuE8ELNS1_3repE0EEENS1_30default_config_static_selectorELNS0_4arch9wavefront6targetE0EEEvSU_,"axG",@progbits,_ZN7rocprim17ROCPRIM_400000_NS6detail17trampoline_kernelINS0_14default_configENS1_29binary_search_config_selectorIiiEEZNS1_14transform_implILb0ES3_S5_N6thrust23THRUST_200600_302600_NS6detail15normal_iteratorINS8_7pointerIiNS8_11hip_rocprim3tagENS8_11use_defaultESE_EEEESG_ZNS1_13binary_searchIS3_S5_NSA_INSB_IiSD_NS8_16tagged_referenceIiSD_EESE_EEEESG_SG_NS1_16binary_search_opENS9_16wrapped_functionINS8_7greaterIiEEbEEEE10hipError_tPvRmT1_T2_T3_mmT4_T5_P12ihipStream_tbEUlRKiE_EESR_SV_SW_mSX_S10_bEUlT_E_NS1_11comp_targetILNS1_3genE4ELNS1_11target_archE910ELNS1_3gpuE8ELNS1_3repE0EEENS1_30default_config_static_selectorELNS0_4arch9wavefront6targetE0EEEvSU_,comdat
	.protected	_ZN7rocprim17ROCPRIM_400000_NS6detail17trampoline_kernelINS0_14default_configENS1_29binary_search_config_selectorIiiEEZNS1_14transform_implILb0ES3_S5_N6thrust23THRUST_200600_302600_NS6detail15normal_iteratorINS8_7pointerIiNS8_11hip_rocprim3tagENS8_11use_defaultESE_EEEESG_ZNS1_13binary_searchIS3_S5_NSA_INSB_IiSD_NS8_16tagged_referenceIiSD_EESE_EEEESG_SG_NS1_16binary_search_opENS9_16wrapped_functionINS8_7greaterIiEEbEEEE10hipError_tPvRmT1_T2_T3_mmT4_T5_P12ihipStream_tbEUlRKiE_EESR_SV_SW_mSX_S10_bEUlT_E_NS1_11comp_targetILNS1_3genE4ELNS1_11target_archE910ELNS1_3gpuE8ELNS1_3repE0EEENS1_30default_config_static_selectorELNS0_4arch9wavefront6targetE0EEEvSU_ ; -- Begin function _ZN7rocprim17ROCPRIM_400000_NS6detail17trampoline_kernelINS0_14default_configENS1_29binary_search_config_selectorIiiEEZNS1_14transform_implILb0ES3_S5_N6thrust23THRUST_200600_302600_NS6detail15normal_iteratorINS8_7pointerIiNS8_11hip_rocprim3tagENS8_11use_defaultESE_EEEESG_ZNS1_13binary_searchIS3_S5_NSA_INSB_IiSD_NS8_16tagged_referenceIiSD_EESE_EEEESG_SG_NS1_16binary_search_opENS9_16wrapped_functionINS8_7greaterIiEEbEEEE10hipError_tPvRmT1_T2_T3_mmT4_T5_P12ihipStream_tbEUlRKiE_EESR_SV_SW_mSX_S10_bEUlT_E_NS1_11comp_targetILNS1_3genE4ELNS1_11target_archE910ELNS1_3gpuE8ELNS1_3repE0EEENS1_30default_config_static_selectorELNS0_4arch9wavefront6targetE0EEEvSU_
	.globl	_ZN7rocprim17ROCPRIM_400000_NS6detail17trampoline_kernelINS0_14default_configENS1_29binary_search_config_selectorIiiEEZNS1_14transform_implILb0ES3_S5_N6thrust23THRUST_200600_302600_NS6detail15normal_iteratorINS8_7pointerIiNS8_11hip_rocprim3tagENS8_11use_defaultESE_EEEESG_ZNS1_13binary_searchIS3_S5_NSA_INSB_IiSD_NS8_16tagged_referenceIiSD_EESE_EEEESG_SG_NS1_16binary_search_opENS9_16wrapped_functionINS8_7greaterIiEEbEEEE10hipError_tPvRmT1_T2_T3_mmT4_T5_P12ihipStream_tbEUlRKiE_EESR_SV_SW_mSX_S10_bEUlT_E_NS1_11comp_targetILNS1_3genE4ELNS1_11target_archE910ELNS1_3gpuE8ELNS1_3repE0EEENS1_30default_config_static_selectorELNS0_4arch9wavefront6targetE0EEEvSU_
	.p2align	8
	.type	_ZN7rocprim17ROCPRIM_400000_NS6detail17trampoline_kernelINS0_14default_configENS1_29binary_search_config_selectorIiiEEZNS1_14transform_implILb0ES3_S5_N6thrust23THRUST_200600_302600_NS6detail15normal_iteratorINS8_7pointerIiNS8_11hip_rocprim3tagENS8_11use_defaultESE_EEEESG_ZNS1_13binary_searchIS3_S5_NSA_INSB_IiSD_NS8_16tagged_referenceIiSD_EESE_EEEESG_SG_NS1_16binary_search_opENS9_16wrapped_functionINS8_7greaterIiEEbEEEE10hipError_tPvRmT1_T2_T3_mmT4_T5_P12ihipStream_tbEUlRKiE_EESR_SV_SW_mSX_S10_bEUlT_E_NS1_11comp_targetILNS1_3genE4ELNS1_11target_archE910ELNS1_3gpuE8ELNS1_3repE0EEENS1_30default_config_static_selectorELNS0_4arch9wavefront6targetE0EEEvSU_,@function
_ZN7rocprim17ROCPRIM_400000_NS6detail17trampoline_kernelINS0_14default_configENS1_29binary_search_config_selectorIiiEEZNS1_14transform_implILb0ES3_S5_N6thrust23THRUST_200600_302600_NS6detail15normal_iteratorINS8_7pointerIiNS8_11hip_rocprim3tagENS8_11use_defaultESE_EEEESG_ZNS1_13binary_searchIS3_S5_NSA_INSB_IiSD_NS8_16tagged_referenceIiSD_EESE_EEEESG_SG_NS1_16binary_search_opENS9_16wrapped_functionINS8_7greaterIiEEbEEEE10hipError_tPvRmT1_T2_T3_mmT4_T5_P12ihipStream_tbEUlRKiE_EESR_SV_SW_mSX_S10_bEUlT_E_NS1_11comp_targetILNS1_3genE4ELNS1_11target_archE910ELNS1_3gpuE8ELNS1_3repE0EEENS1_30default_config_static_selectorELNS0_4arch9wavefront6targetE0EEEvSU_: ; @_ZN7rocprim17ROCPRIM_400000_NS6detail17trampoline_kernelINS0_14default_configENS1_29binary_search_config_selectorIiiEEZNS1_14transform_implILb0ES3_S5_N6thrust23THRUST_200600_302600_NS6detail15normal_iteratorINS8_7pointerIiNS8_11hip_rocprim3tagENS8_11use_defaultESE_EEEESG_ZNS1_13binary_searchIS3_S5_NSA_INSB_IiSD_NS8_16tagged_referenceIiSD_EESE_EEEESG_SG_NS1_16binary_search_opENS9_16wrapped_functionINS8_7greaterIiEEbEEEE10hipError_tPvRmT1_T2_T3_mmT4_T5_P12ihipStream_tbEUlRKiE_EESR_SV_SW_mSX_S10_bEUlT_E_NS1_11comp_targetILNS1_3genE4ELNS1_11target_archE910ELNS1_3gpuE8ELNS1_3repE0EEENS1_30default_config_static_selectorELNS0_4arch9wavefront6targetE0EEEvSU_
; %bb.0:
	.section	.rodata,"a",@progbits
	.p2align	6, 0x0
	.amdhsa_kernel _ZN7rocprim17ROCPRIM_400000_NS6detail17trampoline_kernelINS0_14default_configENS1_29binary_search_config_selectorIiiEEZNS1_14transform_implILb0ES3_S5_N6thrust23THRUST_200600_302600_NS6detail15normal_iteratorINS8_7pointerIiNS8_11hip_rocprim3tagENS8_11use_defaultESE_EEEESG_ZNS1_13binary_searchIS3_S5_NSA_INSB_IiSD_NS8_16tagged_referenceIiSD_EESE_EEEESG_SG_NS1_16binary_search_opENS9_16wrapped_functionINS8_7greaterIiEEbEEEE10hipError_tPvRmT1_T2_T3_mmT4_T5_P12ihipStream_tbEUlRKiE_EESR_SV_SW_mSX_S10_bEUlT_E_NS1_11comp_targetILNS1_3genE4ELNS1_11target_archE910ELNS1_3gpuE8ELNS1_3repE0EEENS1_30default_config_static_selectorELNS0_4arch9wavefront6targetE0EEEvSU_
		.amdhsa_group_segment_fixed_size 0
		.amdhsa_private_segment_fixed_size 0
		.amdhsa_kernarg_size 56
		.amdhsa_user_sgpr_count 2
		.amdhsa_user_sgpr_dispatch_ptr 0
		.amdhsa_user_sgpr_queue_ptr 0
		.amdhsa_user_sgpr_kernarg_segment_ptr 1
		.amdhsa_user_sgpr_dispatch_id 0
		.amdhsa_user_sgpr_kernarg_preload_length 0
		.amdhsa_user_sgpr_kernarg_preload_offset 0
		.amdhsa_user_sgpr_private_segment_size 0
		.amdhsa_wavefront_size32 1
		.amdhsa_uses_dynamic_stack 0
		.amdhsa_enable_private_segment 0
		.amdhsa_system_sgpr_workgroup_id_x 1
		.amdhsa_system_sgpr_workgroup_id_y 0
		.amdhsa_system_sgpr_workgroup_id_z 0
		.amdhsa_system_sgpr_workgroup_info 0
		.amdhsa_system_vgpr_workitem_id 0
		.amdhsa_next_free_vgpr 1
		.amdhsa_next_free_sgpr 1
		.amdhsa_named_barrier_count 0
		.amdhsa_reserve_vcc 0
		.amdhsa_float_round_mode_32 0
		.amdhsa_float_round_mode_16_64 0
		.amdhsa_float_denorm_mode_32 3
		.amdhsa_float_denorm_mode_16_64 3
		.amdhsa_fp16_overflow 0
		.amdhsa_memory_ordered 1
		.amdhsa_forward_progress 1
		.amdhsa_inst_pref_size 0
		.amdhsa_round_robin_scheduling 0
		.amdhsa_exception_fp_ieee_invalid_op 0
		.amdhsa_exception_fp_denorm_src 0
		.amdhsa_exception_fp_ieee_div_zero 0
		.amdhsa_exception_fp_ieee_overflow 0
		.amdhsa_exception_fp_ieee_underflow 0
		.amdhsa_exception_fp_ieee_inexact 0
		.amdhsa_exception_int_div_zero 0
	.end_amdhsa_kernel
	.section	.text._ZN7rocprim17ROCPRIM_400000_NS6detail17trampoline_kernelINS0_14default_configENS1_29binary_search_config_selectorIiiEEZNS1_14transform_implILb0ES3_S5_N6thrust23THRUST_200600_302600_NS6detail15normal_iteratorINS8_7pointerIiNS8_11hip_rocprim3tagENS8_11use_defaultESE_EEEESG_ZNS1_13binary_searchIS3_S5_NSA_INSB_IiSD_NS8_16tagged_referenceIiSD_EESE_EEEESG_SG_NS1_16binary_search_opENS9_16wrapped_functionINS8_7greaterIiEEbEEEE10hipError_tPvRmT1_T2_T3_mmT4_T5_P12ihipStream_tbEUlRKiE_EESR_SV_SW_mSX_S10_bEUlT_E_NS1_11comp_targetILNS1_3genE4ELNS1_11target_archE910ELNS1_3gpuE8ELNS1_3repE0EEENS1_30default_config_static_selectorELNS0_4arch9wavefront6targetE0EEEvSU_,"axG",@progbits,_ZN7rocprim17ROCPRIM_400000_NS6detail17trampoline_kernelINS0_14default_configENS1_29binary_search_config_selectorIiiEEZNS1_14transform_implILb0ES3_S5_N6thrust23THRUST_200600_302600_NS6detail15normal_iteratorINS8_7pointerIiNS8_11hip_rocprim3tagENS8_11use_defaultESE_EEEESG_ZNS1_13binary_searchIS3_S5_NSA_INSB_IiSD_NS8_16tagged_referenceIiSD_EESE_EEEESG_SG_NS1_16binary_search_opENS9_16wrapped_functionINS8_7greaterIiEEbEEEE10hipError_tPvRmT1_T2_T3_mmT4_T5_P12ihipStream_tbEUlRKiE_EESR_SV_SW_mSX_S10_bEUlT_E_NS1_11comp_targetILNS1_3genE4ELNS1_11target_archE910ELNS1_3gpuE8ELNS1_3repE0EEENS1_30default_config_static_selectorELNS0_4arch9wavefront6targetE0EEEvSU_,comdat
.Lfunc_end187:
	.size	_ZN7rocprim17ROCPRIM_400000_NS6detail17trampoline_kernelINS0_14default_configENS1_29binary_search_config_selectorIiiEEZNS1_14transform_implILb0ES3_S5_N6thrust23THRUST_200600_302600_NS6detail15normal_iteratorINS8_7pointerIiNS8_11hip_rocprim3tagENS8_11use_defaultESE_EEEESG_ZNS1_13binary_searchIS3_S5_NSA_INSB_IiSD_NS8_16tagged_referenceIiSD_EESE_EEEESG_SG_NS1_16binary_search_opENS9_16wrapped_functionINS8_7greaterIiEEbEEEE10hipError_tPvRmT1_T2_T3_mmT4_T5_P12ihipStream_tbEUlRKiE_EESR_SV_SW_mSX_S10_bEUlT_E_NS1_11comp_targetILNS1_3genE4ELNS1_11target_archE910ELNS1_3gpuE8ELNS1_3repE0EEENS1_30default_config_static_selectorELNS0_4arch9wavefront6targetE0EEEvSU_, .Lfunc_end187-_ZN7rocprim17ROCPRIM_400000_NS6detail17trampoline_kernelINS0_14default_configENS1_29binary_search_config_selectorIiiEEZNS1_14transform_implILb0ES3_S5_N6thrust23THRUST_200600_302600_NS6detail15normal_iteratorINS8_7pointerIiNS8_11hip_rocprim3tagENS8_11use_defaultESE_EEEESG_ZNS1_13binary_searchIS3_S5_NSA_INSB_IiSD_NS8_16tagged_referenceIiSD_EESE_EEEESG_SG_NS1_16binary_search_opENS9_16wrapped_functionINS8_7greaterIiEEbEEEE10hipError_tPvRmT1_T2_T3_mmT4_T5_P12ihipStream_tbEUlRKiE_EESR_SV_SW_mSX_S10_bEUlT_E_NS1_11comp_targetILNS1_3genE4ELNS1_11target_archE910ELNS1_3gpuE8ELNS1_3repE0EEENS1_30default_config_static_selectorELNS0_4arch9wavefront6targetE0EEEvSU_
                                        ; -- End function
	.set _ZN7rocprim17ROCPRIM_400000_NS6detail17trampoline_kernelINS0_14default_configENS1_29binary_search_config_selectorIiiEEZNS1_14transform_implILb0ES3_S5_N6thrust23THRUST_200600_302600_NS6detail15normal_iteratorINS8_7pointerIiNS8_11hip_rocprim3tagENS8_11use_defaultESE_EEEESG_ZNS1_13binary_searchIS3_S5_NSA_INSB_IiSD_NS8_16tagged_referenceIiSD_EESE_EEEESG_SG_NS1_16binary_search_opENS9_16wrapped_functionINS8_7greaterIiEEbEEEE10hipError_tPvRmT1_T2_T3_mmT4_T5_P12ihipStream_tbEUlRKiE_EESR_SV_SW_mSX_S10_bEUlT_E_NS1_11comp_targetILNS1_3genE4ELNS1_11target_archE910ELNS1_3gpuE8ELNS1_3repE0EEENS1_30default_config_static_selectorELNS0_4arch9wavefront6targetE0EEEvSU_.num_vgpr, 0
	.set _ZN7rocprim17ROCPRIM_400000_NS6detail17trampoline_kernelINS0_14default_configENS1_29binary_search_config_selectorIiiEEZNS1_14transform_implILb0ES3_S5_N6thrust23THRUST_200600_302600_NS6detail15normal_iteratorINS8_7pointerIiNS8_11hip_rocprim3tagENS8_11use_defaultESE_EEEESG_ZNS1_13binary_searchIS3_S5_NSA_INSB_IiSD_NS8_16tagged_referenceIiSD_EESE_EEEESG_SG_NS1_16binary_search_opENS9_16wrapped_functionINS8_7greaterIiEEbEEEE10hipError_tPvRmT1_T2_T3_mmT4_T5_P12ihipStream_tbEUlRKiE_EESR_SV_SW_mSX_S10_bEUlT_E_NS1_11comp_targetILNS1_3genE4ELNS1_11target_archE910ELNS1_3gpuE8ELNS1_3repE0EEENS1_30default_config_static_selectorELNS0_4arch9wavefront6targetE0EEEvSU_.num_agpr, 0
	.set _ZN7rocprim17ROCPRIM_400000_NS6detail17trampoline_kernelINS0_14default_configENS1_29binary_search_config_selectorIiiEEZNS1_14transform_implILb0ES3_S5_N6thrust23THRUST_200600_302600_NS6detail15normal_iteratorINS8_7pointerIiNS8_11hip_rocprim3tagENS8_11use_defaultESE_EEEESG_ZNS1_13binary_searchIS3_S5_NSA_INSB_IiSD_NS8_16tagged_referenceIiSD_EESE_EEEESG_SG_NS1_16binary_search_opENS9_16wrapped_functionINS8_7greaterIiEEbEEEE10hipError_tPvRmT1_T2_T3_mmT4_T5_P12ihipStream_tbEUlRKiE_EESR_SV_SW_mSX_S10_bEUlT_E_NS1_11comp_targetILNS1_3genE4ELNS1_11target_archE910ELNS1_3gpuE8ELNS1_3repE0EEENS1_30default_config_static_selectorELNS0_4arch9wavefront6targetE0EEEvSU_.numbered_sgpr, 0
	.set _ZN7rocprim17ROCPRIM_400000_NS6detail17trampoline_kernelINS0_14default_configENS1_29binary_search_config_selectorIiiEEZNS1_14transform_implILb0ES3_S5_N6thrust23THRUST_200600_302600_NS6detail15normal_iteratorINS8_7pointerIiNS8_11hip_rocprim3tagENS8_11use_defaultESE_EEEESG_ZNS1_13binary_searchIS3_S5_NSA_INSB_IiSD_NS8_16tagged_referenceIiSD_EESE_EEEESG_SG_NS1_16binary_search_opENS9_16wrapped_functionINS8_7greaterIiEEbEEEE10hipError_tPvRmT1_T2_T3_mmT4_T5_P12ihipStream_tbEUlRKiE_EESR_SV_SW_mSX_S10_bEUlT_E_NS1_11comp_targetILNS1_3genE4ELNS1_11target_archE910ELNS1_3gpuE8ELNS1_3repE0EEENS1_30default_config_static_selectorELNS0_4arch9wavefront6targetE0EEEvSU_.num_named_barrier, 0
	.set _ZN7rocprim17ROCPRIM_400000_NS6detail17trampoline_kernelINS0_14default_configENS1_29binary_search_config_selectorIiiEEZNS1_14transform_implILb0ES3_S5_N6thrust23THRUST_200600_302600_NS6detail15normal_iteratorINS8_7pointerIiNS8_11hip_rocprim3tagENS8_11use_defaultESE_EEEESG_ZNS1_13binary_searchIS3_S5_NSA_INSB_IiSD_NS8_16tagged_referenceIiSD_EESE_EEEESG_SG_NS1_16binary_search_opENS9_16wrapped_functionINS8_7greaterIiEEbEEEE10hipError_tPvRmT1_T2_T3_mmT4_T5_P12ihipStream_tbEUlRKiE_EESR_SV_SW_mSX_S10_bEUlT_E_NS1_11comp_targetILNS1_3genE4ELNS1_11target_archE910ELNS1_3gpuE8ELNS1_3repE0EEENS1_30default_config_static_selectorELNS0_4arch9wavefront6targetE0EEEvSU_.private_seg_size, 0
	.set _ZN7rocprim17ROCPRIM_400000_NS6detail17trampoline_kernelINS0_14default_configENS1_29binary_search_config_selectorIiiEEZNS1_14transform_implILb0ES3_S5_N6thrust23THRUST_200600_302600_NS6detail15normal_iteratorINS8_7pointerIiNS8_11hip_rocprim3tagENS8_11use_defaultESE_EEEESG_ZNS1_13binary_searchIS3_S5_NSA_INSB_IiSD_NS8_16tagged_referenceIiSD_EESE_EEEESG_SG_NS1_16binary_search_opENS9_16wrapped_functionINS8_7greaterIiEEbEEEE10hipError_tPvRmT1_T2_T3_mmT4_T5_P12ihipStream_tbEUlRKiE_EESR_SV_SW_mSX_S10_bEUlT_E_NS1_11comp_targetILNS1_3genE4ELNS1_11target_archE910ELNS1_3gpuE8ELNS1_3repE0EEENS1_30default_config_static_selectorELNS0_4arch9wavefront6targetE0EEEvSU_.uses_vcc, 0
	.set _ZN7rocprim17ROCPRIM_400000_NS6detail17trampoline_kernelINS0_14default_configENS1_29binary_search_config_selectorIiiEEZNS1_14transform_implILb0ES3_S5_N6thrust23THRUST_200600_302600_NS6detail15normal_iteratorINS8_7pointerIiNS8_11hip_rocprim3tagENS8_11use_defaultESE_EEEESG_ZNS1_13binary_searchIS3_S5_NSA_INSB_IiSD_NS8_16tagged_referenceIiSD_EESE_EEEESG_SG_NS1_16binary_search_opENS9_16wrapped_functionINS8_7greaterIiEEbEEEE10hipError_tPvRmT1_T2_T3_mmT4_T5_P12ihipStream_tbEUlRKiE_EESR_SV_SW_mSX_S10_bEUlT_E_NS1_11comp_targetILNS1_3genE4ELNS1_11target_archE910ELNS1_3gpuE8ELNS1_3repE0EEENS1_30default_config_static_selectorELNS0_4arch9wavefront6targetE0EEEvSU_.uses_flat_scratch, 0
	.set _ZN7rocprim17ROCPRIM_400000_NS6detail17trampoline_kernelINS0_14default_configENS1_29binary_search_config_selectorIiiEEZNS1_14transform_implILb0ES3_S5_N6thrust23THRUST_200600_302600_NS6detail15normal_iteratorINS8_7pointerIiNS8_11hip_rocprim3tagENS8_11use_defaultESE_EEEESG_ZNS1_13binary_searchIS3_S5_NSA_INSB_IiSD_NS8_16tagged_referenceIiSD_EESE_EEEESG_SG_NS1_16binary_search_opENS9_16wrapped_functionINS8_7greaterIiEEbEEEE10hipError_tPvRmT1_T2_T3_mmT4_T5_P12ihipStream_tbEUlRKiE_EESR_SV_SW_mSX_S10_bEUlT_E_NS1_11comp_targetILNS1_3genE4ELNS1_11target_archE910ELNS1_3gpuE8ELNS1_3repE0EEENS1_30default_config_static_selectorELNS0_4arch9wavefront6targetE0EEEvSU_.has_dyn_sized_stack, 0
	.set _ZN7rocprim17ROCPRIM_400000_NS6detail17trampoline_kernelINS0_14default_configENS1_29binary_search_config_selectorIiiEEZNS1_14transform_implILb0ES3_S5_N6thrust23THRUST_200600_302600_NS6detail15normal_iteratorINS8_7pointerIiNS8_11hip_rocprim3tagENS8_11use_defaultESE_EEEESG_ZNS1_13binary_searchIS3_S5_NSA_INSB_IiSD_NS8_16tagged_referenceIiSD_EESE_EEEESG_SG_NS1_16binary_search_opENS9_16wrapped_functionINS8_7greaterIiEEbEEEE10hipError_tPvRmT1_T2_T3_mmT4_T5_P12ihipStream_tbEUlRKiE_EESR_SV_SW_mSX_S10_bEUlT_E_NS1_11comp_targetILNS1_3genE4ELNS1_11target_archE910ELNS1_3gpuE8ELNS1_3repE0EEENS1_30default_config_static_selectorELNS0_4arch9wavefront6targetE0EEEvSU_.has_recursion, 0
	.set _ZN7rocprim17ROCPRIM_400000_NS6detail17trampoline_kernelINS0_14default_configENS1_29binary_search_config_selectorIiiEEZNS1_14transform_implILb0ES3_S5_N6thrust23THRUST_200600_302600_NS6detail15normal_iteratorINS8_7pointerIiNS8_11hip_rocprim3tagENS8_11use_defaultESE_EEEESG_ZNS1_13binary_searchIS3_S5_NSA_INSB_IiSD_NS8_16tagged_referenceIiSD_EESE_EEEESG_SG_NS1_16binary_search_opENS9_16wrapped_functionINS8_7greaterIiEEbEEEE10hipError_tPvRmT1_T2_T3_mmT4_T5_P12ihipStream_tbEUlRKiE_EESR_SV_SW_mSX_S10_bEUlT_E_NS1_11comp_targetILNS1_3genE4ELNS1_11target_archE910ELNS1_3gpuE8ELNS1_3repE0EEENS1_30default_config_static_selectorELNS0_4arch9wavefront6targetE0EEEvSU_.has_indirect_call, 0
	.section	.AMDGPU.csdata,"",@progbits
; Kernel info:
; codeLenInByte = 0
; TotalNumSgprs: 0
; NumVgprs: 0
; ScratchSize: 0
; MemoryBound: 0
; FloatMode: 240
; IeeeMode: 1
; LDSByteSize: 0 bytes/workgroup (compile time only)
; SGPRBlocks: 0
; VGPRBlocks: 0
; NumSGPRsForWavesPerEU: 1
; NumVGPRsForWavesPerEU: 1
; NamedBarCnt: 0
; Occupancy: 16
; WaveLimiterHint : 0
; COMPUTE_PGM_RSRC2:SCRATCH_EN: 0
; COMPUTE_PGM_RSRC2:USER_SGPR: 2
; COMPUTE_PGM_RSRC2:TRAP_HANDLER: 0
; COMPUTE_PGM_RSRC2:TGID_X_EN: 1
; COMPUTE_PGM_RSRC2:TGID_Y_EN: 0
; COMPUTE_PGM_RSRC2:TGID_Z_EN: 0
; COMPUTE_PGM_RSRC2:TIDIG_COMP_CNT: 0
	.section	.text._ZN7rocprim17ROCPRIM_400000_NS6detail17trampoline_kernelINS0_14default_configENS1_29binary_search_config_selectorIiiEEZNS1_14transform_implILb0ES3_S5_N6thrust23THRUST_200600_302600_NS6detail15normal_iteratorINS8_7pointerIiNS8_11hip_rocprim3tagENS8_11use_defaultESE_EEEESG_ZNS1_13binary_searchIS3_S5_NSA_INSB_IiSD_NS8_16tagged_referenceIiSD_EESE_EEEESG_SG_NS1_16binary_search_opENS9_16wrapped_functionINS8_7greaterIiEEbEEEE10hipError_tPvRmT1_T2_T3_mmT4_T5_P12ihipStream_tbEUlRKiE_EESR_SV_SW_mSX_S10_bEUlT_E_NS1_11comp_targetILNS1_3genE3ELNS1_11target_archE908ELNS1_3gpuE7ELNS1_3repE0EEENS1_30default_config_static_selectorELNS0_4arch9wavefront6targetE0EEEvSU_,"axG",@progbits,_ZN7rocprim17ROCPRIM_400000_NS6detail17trampoline_kernelINS0_14default_configENS1_29binary_search_config_selectorIiiEEZNS1_14transform_implILb0ES3_S5_N6thrust23THRUST_200600_302600_NS6detail15normal_iteratorINS8_7pointerIiNS8_11hip_rocprim3tagENS8_11use_defaultESE_EEEESG_ZNS1_13binary_searchIS3_S5_NSA_INSB_IiSD_NS8_16tagged_referenceIiSD_EESE_EEEESG_SG_NS1_16binary_search_opENS9_16wrapped_functionINS8_7greaterIiEEbEEEE10hipError_tPvRmT1_T2_T3_mmT4_T5_P12ihipStream_tbEUlRKiE_EESR_SV_SW_mSX_S10_bEUlT_E_NS1_11comp_targetILNS1_3genE3ELNS1_11target_archE908ELNS1_3gpuE7ELNS1_3repE0EEENS1_30default_config_static_selectorELNS0_4arch9wavefront6targetE0EEEvSU_,comdat
	.protected	_ZN7rocprim17ROCPRIM_400000_NS6detail17trampoline_kernelINS0_14default_configENS1_29binary_search_config_selectorIiiEEZNS1_14transform_implILb0ES3_S5_N6thrust23THRUST_200600_302600_NS6detail15normal_iteratorINS8_7pointerIiNS8_11hip_rocprim3tagENS8_11use_defaultESE_EEEESG_ZNS1_13binary_searchIS3_S5_NSA_INSB_IiSD_NS8_16tagged_referenceIiSD_EESE_EEEESG_SG_NS1_16binary_search_opENS9_16wrapped_functionINS8_7greaterIiEEbEEEE10hipError_tPvRmT1_T2_T3_mmT4_T5_P12ihipStream_tbEUlRKiE_EESR_SV_SW_mSX_S10_bEUlT_E_NS1_11comp_targetILNS1_3genE3ELNS1_11target_archE908ELNS1_3gpuE7ELNS1_3repE0EEENS1_30default_config_static_selectorELNS0_4arch9wavefront6targetE0EEEvSU_ ; -- Begin function _ZN7rocprim17ROCPRIM_400000_NS6detail17trampoline_kernelINS0_14default_configENS1_29binary_search_config_selectorIiiEEZNS1_14transform_implILb0ES3_S5_N6thrust23THRUST_200600_302600_NS6detail15normal_iteratorINS8_7pointerIiNS8_11hip_rocprim3tagENS8_11use_defaultESE_EEEESG_ZNS1_13binary_searchIS3_S5_NSA_INSB_IiSD_NS8_16tagged_referenceIiSD_EESE_EEEESG_SG_NS1_16binary_search_opENS9_16wrapped_functionINS8_7greaterIiEEbEEEE10hipError_tPvRmT1_T2_T3_mmT4_T5_P12ihipStream_tbEUlRKiE_EESR_SV_SW_mSX_S10_bEUlT_E_NS1_11comp_targetILNS1_3genE3ELNS1_11target_archE908ELNS1_3gpuE7ELNS1_3repE0EEENS1_30default_config_static_selectorELNS0_4arch9wavefront6targetE0EEEvSU_
	.globl	_ZN7rocprim17ROCPRIM_400000_NS6detail17trampoline_kernelINS0_14default_configENS1_29binary_search_config_selectorIiiEEZNS1_14transform_implILb0ES3_S5_N6thrust23THRUST_200600_302600_NS6detail15normal_iteratorINS8_7pointerIiNS8_11hip_rocprim3tagENS8_11use_defaultESE_EEEESG_ZNS1_13binary_searchIS3_S5_NSA_INSB_IiSD_NS8_16tagged_referenceIiSD_EESE_EEEESG_SG_NS1_16binary_search_opENS9_16wrapped_functionINS8_7greaterIiEEbEEEE10hipError_tPvRmT1_T2_T3_mmT4_T5_P12ihipStream_tbEUlRKiE_EESR_SV_SW_mSX_S10_bEUlT_E_NS1_11comp_targetILNS1_3genE3ELNS1_11target_archE908ELNS1_3gpuE7ELNS1_3repE0EEENS1_30default_config_static_selectorELNS0_4arch9wavefront6targetE0EEEvSU_
	.p2align	8
	.type	_ZN7rocprim17ROCPRIM_400000_NS6detail17trampoline_kernelINS0_14default_configENS1_29binary_search_config_selectorIiiEEZNS1_14transform_implILb0ES3_S5_N6thrust23THRUST_200600_302600_NS6detail15normal_iteratorINS8_7pointerIiNS8_11hip_rocprim3tagENS8_11use_defaultESE_EEEESG_ZNS1_13binary_searchIS3_S5_NSA_INSB_IiSD_NS8_16tagged_referenceIiSD_EESE_EEEESG_SG_NS1_16binary_search_opENS9_16wrapped_functionINS8_7greaterIiEEbEEEE10hipError_tPvRmT1_T2_T3_mmT4_T5_P12ihipStream_tbEUlRKiE_EESR_SV_SW_mSX_S10_bEUlT_E_NS1_11comp_targetILNS1_3genE3ELNS1_11target_archE908ELNS1_3gpuE7ELNS1_3repE0EEENS1_30default_config_static_selectorELNS0_4arch9wavefront6targetE0EEEvSU_,@function
_ZN7rocprim17ROCPRIM_400000_NS6detail17trampoline_kernelINS0_14default_configENS1_29binary_search_config_selectorIiiEEZNS1_14transform_implILb0ES3_S5_N6thrust23THRUST_200600_302600_NS6detail15normal_iteratorINS8_7pointerIiNS8_11hip_rocprim3tagENS8_11use_defaultESE_EEEESG_ZNS1_13binary_searchIS3_S5_NSA_INSB_IiSD_NS8_16tagged_referenceIiSD_EESE_EEEESG_SG_NS1_16binary_search_opENS9_16wrapped_functionINS8_7greaterIiEEbEEEE10hipError_tPvRmT1_T2_T3_mmT4_T5_P12ihipStream_tbEUlRKiE_EESR_SV_SW_mSX_S10_bEUlT_E_NS1_11comp_targetILNS1_3genE3ELNS1_11target_archE908ELNS1_3gpuE7ELNS1_3repE0EEENS1_30default_config_static_selectorELNS0_4arch9wavefront6targetE0EEEvSU_: ; @_ZN7rocprim17ROCPRIM_400000_NS6detail17trampoline_kernelINS0_14default_configENS1_29binary_search_config_selectorIiiEEZNS1_14transform_implILb0ES3_S5_N6thrust23THRUST_200600_302600_NS6detail15normal_iteratorINS8_7pointerIiNS8_11hip_rocprim3tagENS8_11use_defaultESE_EEEESG_ZNS1_13binary_searchIS3_S5_NSA_INSB_IiSD_NS8_16tagged_referenceIiSD_EESE_EEEESG_SG_NS1_16binary_search_opENS9_16wrapped_functionINS8_7greaterIiEEbEEEE10hipError_tPvRmT1_T2_T3_mmT4_T5_P12ihipStream_tbEUlRKiE_EESR_SV_SW_mSX_S10_bEUlT_E_NS1_11comp_targetILNS1_3genE3ELNS1_11target_archE908ELNS1_3gpuE7ELNS1_3repE0EEENS1_30default_config_static_selectorELNS0_4arch9wavefront6targetE0EEEvSU_
; %bb.0:
	.section	.rodata,"a",@progbits
	.p2align	6, 0x0
	.amdhsa_kernel _ZN7rocprim17ROCPRIM_400000_NS6detail17trampoline_kernelINS0_14default_configENS1_29binary_search_config_selectorIiiEEZNS1_14transform_implILb0ES3_S5_N6thrust23THRUST_200600_302600_NS6detail15normal_iteratorINS8_7pointerIiNS8_11hip_rocprim3tagENS8_11use_defaultESE_EEEESG_ZNS1_13binary_searchIS3_S5_NSA_INSB_IiSD_NS8_16tagged_referenceIiSD_EESE_EEEESG_SG_NS1_16binary_search_opENS9_16wrapped_functionINS8_7greaterIiEEbEEEE10hipError_tPvRmT1_T2_T3_mmT4_T5_P12ihipStream_tbEUlRKiE_EESR_SV_SW_mSX_S10_bEUlT_E_NS1_11comp_targetILNS1_3genE3ELNS1_11target_archE908ELNS1_3gpuE7ELNS1_3repE0EEENS1_30default_config_static_selectorELNS0_4arch9wavefront6targetE0EEEvSU_
		.amdhsa_group_segment_fixed_size 0
		.amdhsa_private_segment_fixed_size 0
		.amdhsa_kernarg_size 56
		.amdhsa_user_sgpr_count 2
		.amdhsa_user_sgpr_dispatch_ptr 0
		.amdhsa_user_sgpr_queue_ptr 0
		.amdhsa_user_sgpr_kernarg_segment_ptr 1
		.amdhsa_user_sgpr_dispatch_id 0
		.amdhsa_user_sgpr_kernarg_preload_length 0
		.amdhsa_user_sgpr_kernarg_preload_offset 0
		.amdhsa_user_sgpr_private_segment_size 0
		.amdhsa_wavefront_size32 1
		.amdhsa_uses_dynamic_stack 0
		.amdhsa_enable_private_segment 0
		.amdhsa_system_sgpr_workgroup_id_x 1
		.amdhsa_system_sgpr_workgroup_id_y 0
		.amdhsa_system_sgpr_workgroup_id_z 0
		.amdhsa_system_sgpr_workgroup_info 0
		.amdhsa_system_vgpr_workitem_id 0
		.amdhsa_next_free_vgpr 1
		.amdhsa_next_free_sgpr 1
		.amdhsa_named_barrier_count 0
		.amdhsa_reserve_vcc 0
		.amdhsa_float_round_mode_32 0
		.amdhsa_float_round_mode_16_64 0
		.amdhsa_float_denorm_mode_32 3
		.amdhsa_float_denorm_mode_16_64 3
		.amdhsa_fp16_overflow 0
		.amdhsa_memory_ordered 1
		.amdhsa_forward_progress 1
		.amdhsa_inst_pref_size 0
		.amdhsa_round_robin_scheduling 0
		.amdhsa_exception_fp_ieee_invalid_op 0
		.amdhsa_exception_fp_denorm_src 0
		.amdhsa_exception_fp_ieee_div_zero 0
		.amdhsa_exception_fp_ieee_overflow 0
		.amdhsa_exception_fp_ieee_underflow 0
		.amdhsa_exception_fp_ieee_inexact 0
		.amdhsa_exception_int_div_zero 0
	.end_amdhsa_kernel
	.section	.text._ZN7rocprim17ROCPRIM_400000_NS6detail17trampoline_kernelINS0_14default_configENS1_29binary_search_config_selectorIiiEEZNS1_14transform_implILb0ES3_S5_N6thrust23THRUST_200600_302600_NS6detail15normal_iteratorINS8_7pointerIiNS8_11hip_rocprim3tagENS8_11use_defaultESE_EEEESG_ZNS1_13binary_searchIS3_S5_NSA_INSB_IiSD_NS8_16tagged_referenceIiSD_EESE_EEEESG_SG_NS1_16binary_search_opENS9_16wrapped_functionINS8_7greaterIiEEbEEEE10hipError_tPvRmT1_T2_T3_mmT4_T5_P12ihipStream_tbEUlRKiE_EESR_SV_SW_mSX_S10_bEUlT_E_NS1_11comp_targetILNS1_3genE3ELNS1_11target_archE908ELNS1_3gpuE7ELNS1_3repE0EEENS1_30default_config_static_selectorELNS0_4arch9wavefront6targetE0EEEvSU_,"axG",@progbits,_ZN7rocprim17ROCPRIM_400000_NS6detail17trampoline_kernelINS0_14default_configENS1_29binary_search_config_selectorIiiEEZNS1_14transform_implILb0ES3_S5_N6thrust23THRUST_200600_302600_NS6detail15normal_iteratorINS8_7pointerIiNS8_11hip_rocprim3tagENS8_11use_defaultESE_EEEESG_ZNS1_13binary_searchIS3_S5_NSA_INSB_IiSD_NS8_16tagged_referenceIiSD_EESE_EEEESG_SG_NS1_16binary_search_opENS9_16wrapped_functionINS8_7greaterIiEEbEEEE10hipError_tPvRmT1_T2_T3_mmT4_T5_P12ihipStream_tbEUlRKiE_EESR_SV_SW_mSX_S10_bEUlT_E_NS1_11comp_targetILNS1_3genE3ELNS1_11target_archE908ELNS1_3gpuE7ELNS1_3repE0EEENS1_30default_config_static_selectorELNS0_4arch9wavefront6targetE0EEEvSU_,comdat
.Lfunc_end188:
	.size	_ZN7rocprim17ROCPRIM_400000_NS6detail17trampoline_kernelINS0_14default_configENS1_29binary_search_config_selectorIiiEEZNS1_14transform_implILb0ES3_S5_N6thrust23THRUST_200600_302600_NS6detail15normal_iteratorINS8_7pointerIiNS8_11hip_rocprim3tagENS8_11use_defaultESE_EEEESG_ZNS1_13binary_searchIS3_S5_NSA_INSB_IiSD_NS8_16tagged_referenceIiSD_EESE_EEEESG_SG_NS1_16binary_search_opENS9_16wrapped_functionINS8_7greaterIiEEbEEEE10hipError_tPvRmT1_T2_T3_mmT4_T5_P12ihipStream_tbEUlRKiE_EESR_SV_SW_mSX_S10_bEUlT_E_NS1_11comp_targetILNS1_3genE3ELNS1_11target_archE908ELNS1_3gpuE7ELNS1_3repE0EEENS1_30default_config_static_selectorELNS0_4arch9wavefront6targetE0EEEvSU_, .Lfunc_end188-_ZN7rocprim17ROCPRIM_400000_NS6detail17trampoline_kernelINS0_14default_configENS1_29binary_search_config_selectorIiiEEZNS1_14transform_implILb0ES3_S5_N6thrust23THRUST_200600_302600_NS6detail15normal_iteratorINS8_7pointerIiNS8_11hip_rocprim3tagENS8_11use_defaultESE_EEEESG_ZNS1_13binary_searchIS3_S5_NSA_INSB_IiSD_NS8_16tagged_referenceIiSD_EESE_EEEESG_SG_NS1_16binary_search_opENS9_16wrapped_functionINS8_7greaterIiEEbEEEE10hipError_tPvRmT1_T2_T3_mmT4_T5_P12ihipStream_tbEUlRKiE_EESR_SV_SW_mSX_S10_bEUlT_E_NS1_11comp_targetILNS1_3genE3ELNS1_11target_archE908ELNS1_3gpuE7ELNS1_3repE0EEENS1_30default_config_static_selectorELNS0_4arch9wavefront6targetE0EEEvSU_
                                        ; -- End function
	.set _ZN7rocprim17ROCPRIM_400000_NS6detail17trampoline_kernelINS0_14default_configENS1_29binary_search_config_selectorIiiEEZNS1_14transform_implILb0ES3_S5_N6thrust23THRUST_200600_302600_NS6detail15normal_iteratorINS8_7pointerIiNS8_11hip_rocprim3tagENS8_11use_defaultESE_EEEESG_ZNS1_13binary_searchIS3_S5_NSA_INSB_IiSD_NS8_16tagged_referenceIiSD_EESE_EEEESG_SG_NS1_16binary_search_opENS9_16wrapped_functionINS8_7greaterIiEEbEEEE10hipError_tPvRmT1_T2_T3_mmT4_T5_P12ihipStream_tbEUlRKiE_EESR_SV_SW_mSX_S10_bEUlT_E_NS1_11comp_targetILNS1_3genE3ELNS1_11target_archE908ELNS1_3gpuE7ELNS1_3repE0EEENS1_30default_config_static_selectorELNS0_4arch9wavefront6targetE0EEEvSU_.num_vgpr, 0
	.set _ZN7rocprim17ROCPRIM_400000_NS6detail17trampoline_kernelINS0_14default_configENS1_29binary_search_config_selectorIiiEEZNS1_14transform_implILb0ES3_S5_N6thrust23THRUST_200600_302600_NS6detail15normal_iteratorINS8_7pointerIiNS8_11hip_rocprim3tagENS8_11use_defaultESE_EEEESG_ZNS1_13binary_searchIS3_S5_NSA_INSB_IiSD_NS8_16tagged_referenceIiSD_EESE_EEEESG_SG_NS1_16binary_search_opENS9_16wrapped_functionINS8_7greaterIiEEbEEEE10hipError_tPvRmT1_T2_T3_mmT4_T5_P12ihipStream_tbEUlRKiE_EESR_SV_SW_mSX_S10_bEUlT_E_NS1_11comp_targetILNS1_3genE3ELNS1_11target_archE908ELNS1_3gpuE7ELNS1_3repE0EEENS1_30default_config_static_selectorELNS0_4arch9wavefront6targetE0EEEvSU_.num_agpr, 0
	.set _ZN7rocprim17ROCPRIM_400000_NS6detail17trampoline_kernelINS0_14default_configENS1_29binary_search_config_selectorIiiEEZNS1_14transform_implILb0ES3_S5_N6thrust23THRUST_200600_302600_NS6detail15normal_iteratorINS8_7pointerIiNS8_11hip_rocprim3tagENS8_11use_defaultESE_EEEESG_ZNS1_13binary_searchIS3_S5_NSA_INSB_IiSD_NS8_16tagged_referenceIiSD_EESE_EEEESG_SG_NS1_16binary_search_opENS9_16wrapped_functionINS8_7greaterIiEEbEEEE10hipError_tPvRmT1_T2_T3_mmT4_T5_P12ihipStream_tbEUlRKiE_EESR_SV_SW_mSX_S10_bEUlT_E_NS1_11comp_targetILNS1_3genE3ELNS1_11target_archE908ELNS1_3gpuE7ELNS1_3repE0EEENS1_30default_config_static_selectorELNS0_4arch9wavefront6targetE0EEEvSU_.numbered_sgpr, 0
	.set _ZN7rocprim17ROCPRIM_400000_NS6detail17trampoline_kernelINS0_14default_configENS1_29binary_search_config_selectorIiiEEZNS1_14transform_implILb0ES3_S5_N6thrust23THRUST_200600_302600_NS6detail15normal_iteratorINS8_7pointerIiNS8_11hip_rocprim3tagENS8_11use_defaultESE_EEEESG_ZNS1_13binary_searchIS3_S5_NSA_INSB_IiSD_NS8_16tagged_referenceIiSD_EESE_EEEESG_SG_NS1_16binary_search_opENS9_16wrapped_functionINS8_7greaterIiEEbEEEE10hipError_tPvRmT1_T2_T3_mmT4_T5_P12ihipStream_tbEUlRKiE_EESR_SV_SW_mSX_S10_bEUlT_E_NS1_11comp_targetILNS1_3genE3ELNS1_11target_archE908ELNS1_3gpuE7ELNS1_3repE0EEENS1_30default_config_static_selectorELNS0_4arch9wavefront6targetE0EEEvSU_.num_named_barrier, 0
	.set _ZN7rocprim17ROCPRIM_400000_NS6detail17trampoline_kernelINS0_14default_configENS1_29binary_search_config_selectorIiiEEZNS1_14transform_implILb0ES3_S5_N6thrust23THRUST_200600_302600_NS6detail15normal_iteratorINS8_7pointerIiNS8_11hip_rocprim3tagENS8_11use_defaultESE_EEEESG_ZNS1_13binary_searchIS3_S5_NSA_INSB_IiSD_NS8_16tagged_referenceIiSD_EESE_EEEESG_SG_NS1_16binary_search_opENS9_16wrapped_functionINS8_7greaterIiEEbEEEE10hipError_tPvRmT1_T2_T3_mmT4_T5_P12ihipStream_tbEUlRKiE_EESR_SV_SW_mSX_S10_bEUlT_E_NS1_11comp_targetILNS1_3genE3ELNS1_11target_archE908ELNS1_3gpuE7ELNS1_3repE0EEENS1_30default_config_static_selectorELNS0_4arch9wavefront6targetE0EEEvSU_.private_seg_size, 0
	.set _ZN7rocprim17ROCPRIM_400000_NS6detail17trampoline_kernelINS0_14default_configENS1_29binary_search_config_selectorIiiEEZNS1_14transform_implILb0ES3_S5_N6thrust23THRUST_200600_302600_NS6detail15normal_iteratorINS8_7pointerIiNS8_11hip_rocprim3tagENS8_11use_defaultESE_EEEESG_ZNS1_13binary_searchIS3_S5_NSA_INSB_IiSD_NS8_16tagged_referenceIiSD_EESE_EEEESG_SG_NS1_16binary_search_opENS9_16wrapped_functionINS8_7greaterIiEEbEEEE10hipError_tPvRmT1_T2_T3_mmT4_T5_P12ihipStream_tbEUlRKiE_EESR_SV_SW_mSX_S10_bEUlT_E_NS1_11comp_targetILNS1_3genE3ELNS1_11target_archE908ELNS1_3gpuE7ELNS1_3repE0EEENS1_30default_config_static_selectorELNS0_4arch9wavefront6targetE0EEEvSU_.uses_vcc, 0
	.set _ZN7rocprim17ROCPRIM_400000_NS6detail17trampoline_kernelINS0_14default_configENS1_29binary_search_config_selectorIiiEEZNS1_14transform_implILb0ES3_S5_N6thrust23THRUST_200600_302600_NS6detail15normal_iteratorINS8_7pointerIiNS8_11hip_rocprim3tagENS8_11use_defaultESE_EEEESG_ZNS1_13binary_searchIS3_S5_NSA_INSB_IiSD_NS8_16tagged_referenceIiSD_EESE_EEEESG_SG_NS1_16binary_search_opENS9_16wrapped_functionINS8_7greaterIiEEbEEEE10hipError_tPvRmT1_T2_T3_mmT4_T5_P12ihipStream_tbEUlRKiE_EESR_SV_SW_mSX_S10_bEUlT_E_NS1_11comp_targetILNS1_3genE3ELNS1_11target_archE908ELNS1_3gpuE7ELNS1_3repE0EEENS1_30default_config_static_selectorELNS0_4arch9wavefront6targetE0EEEvSU_.uses_flat_scratch, 0
	.set _ZN7rocprim17ROCPRIM_400000_NS6detail17trampoline_kernelINS0_14default_configENS1_29binary_search_config_selectorIiiEEZNS1_14transform_implILb0ES3_S5_N6thrust23THRUST_200600_302600_NS6detail15normal_iteratorINS8_7pointerIiNS8_11hip_rocprim3tagENS8_11use_defaultESE_EEEESG_ZNS1_13binary_searchIS3_S5_NSA_INSB_IiSD_NS8_16tagged_referenceIiSD_EESE_EEEESG_SG_NS1_16binary_search_opENS9_16wrapped_functionINS8_7greaterIiEEbEEEE10hipError_tPvRmT1_T2_T3_mmT4_T5_P12ihipStream_tbEUlRKiE_EESR_SV_SW_mSX_S10_bEUlT_E_NS1_11comp_targetILNS1_3genE3ELNS1_11target_archE908ELNS1_3gpuE7ELNS1_3repE0EEENS1_30default_config_static_selectorELNS0_4arch9wavefront6targetE0EEEvSU_.has_dyn_sized_stack, 0
	.set _ZN7rocprim17ROCPRIM_400000_NS6detail17trampoline_kernelINS0_14default_configENS1_29binary_search_config_selectorIiiEEZNS1_14transform_implILb0ES3_S5_N6thrust23THRUST_200600_302600_NS6detail15normal_iteratorINS8_7pointerIiNS8_11hip_rocprim3tagENS8_11use_defaultESE_EEEESG_ZNS1_13binary_searchIS3_S5_NSA_INSB_IiSD_NS8_16tagged_referenceIiSD_EESE_EEEESG_SG_NS1_16binary_search_opENS9_16wrapped_functionINS8_7greaterIiEEbEEEE10hipError_tPvRmT1_T2_T3_mmT4_T5_P12ihipStream_tbEUlRKiE_EESR_SV_SW_mSX_S10_bEUlT_E_NS1_11comp_targetILNS1_3genE3ELNS1_11target_archE908ELNS1_3gpuE7ELNS1_3repE0EEENS1_30default_config_static_selectorELNS0_4arch9wavefront6targetE0EEEvSU_.has_recursion, 0
	.set _ZN7rocprim17ROCPRIM_400000_NS6detail17trampoline_kernelINS0_14default_configENS1_29binary_search_config_selectorIiiEEZNS1_14transform_implILb0ES3_S5_N6thrust23THRUST_200600_302600_NS6detail15normal_iteratorINS8_7pointerIiNS8_11hip_rocprim3tagENS8_11use_defaultESE_EEEESG_ZNS1_13binary_searchIS3_S5_NSA_INSB_IiSD_NS8_16tagged_referenceIiSD_EESE_EEEESG_SG_NS1_16binary_search_opENS9_16wrapped_functionINS8_7greaterIiEEbEEEE10hipError_tPvRmT1_T2_T3_mmT4_T5_P12ihipStream_tbEUlRKiE_EESR_SV_SW_mSX_S10_bEUlT_E_NS1_11comp_targetILNS1_3genE3ELNS1_11target_archE908ELNS1_3gpuE7ELNS1_3repE0EEENS1_30default_config_static_selectorELNS0_4arch9wavefront6targetE0EEEvSU_.has_indirect_call, 0
	.section	.AMDGPU.csdata,"",@progbits
; Kernel info:
; codeLenInByte = 0
; TotalNumSgprs: 0
; NumVgprs: 0
; ScratchSize: 0
; MemoryBound: 0
; FloatMode: 240
; IeeeMode: 1
; LDSByteSize: 0 bytes/workgroup (compile time only)
; SGPRBlocks: 0
; VGPRBlocks: 0
; NumSGPRsForWavesPerEU: 1
; NumVGPRsForWavesPerEU: 1
; NamedBarCnt: 0
; Occupancy: 16
; WaveLimiterHint : 0
; COMPUTE_PGM_RSRC2:SCRATCH_EN: 0
; COMPUTE_PGM_RSRC2:USER_SGPR: 2
; COMPUTE_PGM_RSRC2:TRAP_HANDLER: 0
; COMPUTE_PGM_RSRC2:TGID_X_EN: 1
; COMPUTE_PGM_RSRC2:TGID_Y_EN: 0
; COMPUTE_PGM_RSRC2:TGID_Z_EN: 0
; COMPUTE_PGM_RSRC2:TIDIG_COMP_CNT: 0
	.section	.text._ZN7rocprim17ROCPRIM_400000_NS6detail17trampoline_kernelINS0_14default_configENS1_29binary_search_config_selectorIiiEEZNS1_14transform_implILb0ES3_S5_N6thrust23THRUST_200600_302600_NS6detail15normal_iteratorINS8_7pointerIiNS8_11hip_rocprim3tagENS8_11use_defaultESE_EEEESG_ZNS1_13binary_searchIS3_S5_NSA_INSB_IiSD_NS8_16tagged_referenceIiSD_EESE_EEEESG_SG_NS1_16binary_search_opENS9_16wrapped_functionINS8_7greaterIiEEbEEEE10hipError_tPvRmT1_T2_T3_mmT4_T5_P12ihipStream_tbEUlRKiE_EESR_SV_SW_mSX_S10_bEUlT_E_NS1_11comp_targetILNS1_3genE2ELNS1_11target_archE906ELNS1_3gpuE6ELNS1_3repE0EEENS1_30default_config_static_selectorELNS0_4arch9wavefront6targetE0EEEvSU_,"axG",@progbits,_ZN7rocprim17ROCPRIM_400000_NS6detail17trampoline_kernelINS0_14default_configENS1_29binary_search_config_selectorIiiEEZNS1_14transform_implILb0ES3_S5_N6thrust23THRUST_200600_302600_NS6detail15normal_iteratorINS8_7pointerIiNS8_11hip_rocprim3tagENS8_11use_defaultESE_EEEESG_ZNS1_13binary_searchIS3_S5_NSA_INSB_IiSD_NS8_16tagged_referenceIiSD_EESE_EEEESG_SG_NS1_16binary_search_opENS9_16wrapped_functionINS8_7greaterIiEEbEEEE10hipError_tPvRmT1_T2_T3_mmT4_T5_P12ihipStream_tbEUlRKiE_EESR_SV_SW_mSX_S10_bEUlT_E_NS1_11comp_targetILNS1_3genE2ELNS1_11target_archE906ELNS1_3gpuE6ELNS1_3repE0EEENS1_30default_config_static_selectorELNS0_4arch9wavefront6targetE0EEEvSU_,comdat
	.protected	_ZN7rocprim17ROCPRIM_400000_NS6detail17trampoline_kernelINS0_14default_configENS1_29binary_search_config_selectorIiiEEZNS1_14transform_implILb0ES3_S5_N6thrust23THRUST_200600_302600_NS6detail15normal_iteratorINS8_7pointerIiNS8_11hip_rocprim3tagENS8_11use_defaultESE_EEEESG_ZNS1_13binary_searchIS3_S5_NSA_INSB_IiSD_NS8_16tagged_referenceIiSD_EESE_EEEESG_SG_NS1_16binary_search_opENS9_16wrapped_functionINS8_7greaterIiEEbEEEE10hipError_tPvRmT1_T2_T3_mmT4_T5_P12ihipStream_tbEUlRKiE_EESR_SV_SW_mSX_S10_bEUlT_E_NS1_11comp_targetILNS1_3genE2ELNS1_11target_archE906ELNS1_3gpuE6ELNS1_3repE0EEENS1_30default_config_static_selectorELNS0_4arch9wavefront6targetE0EEEvSU_ ; -- Begin function _ZN7rocprim17ROCPRIM_400000_NS6detail17trampoline_kernelINS0_14default_configENS1_29binary_search_config_selectorIiiEEZNS1_14transform_implILb0ES3_S5_N6thrust23THRUST_200600_302600_NS6detail15normal_iteratorINS8_7pointerIiNS8_11hip_rocprim3tagENS8_11use_defaultESE_EEEESG_ZNS1_13binary_searchIS3_S5_NSA_INSB_IiSD_NS8_16tagged_referenceIiSD_EESE_EEEESG_SG_NS1_16binary_search_opENS9_16wrapped_functionINS8_7greaterIiEEbEEEE10hipError_tPvRmT1_T2_T3_mmT4_T5_P12ihipStream_tbEUlRKiE_EESR_SV_SW_mSX_S10_bEUlT_E_NS1_11comp_targetILNS1_3genE2ELNS1_11target_archE906ELNS1_3gpuE6ELNS1_3repE0EEENS1_30default_config_static_selectorELNS0_4arch9wavefront6targetE0EEEvSU_
	.globl	_ZN7rocprim17ROCPRIM_400000_NS6detail17trampoline_kernelINS0_14default_configENS1_29binary_search_config_selectorIiiEEZNS1_14transform_implILb0ES3_S5_N6thrust23THRUST_200600_302600_NS6detail15normal_iteratorINS8_7pointerIiNS8_11hip_rocprim3tagENS8_11use_defaultESE_EEEESG_ZNS1_13binary_searchIS3_S5_NSA_INSB_IiSD_NS8_16tagged_referenceIiSD_EESE_EEEESG_SG_NS1_16binary_search_opENS9_16wrapped_functionINS8_7greaterIiEEbEEEE10hipError_tPvRmT1_T2_T3_mmT4_T5_P12ihipStream_tbEUlRKiE_EESR_SV_SW_mSX_S10_bEUlT_E_NS1_11comp_targetILNS1_3genE2ELNS1_11target_archE906ELNS1_3gpuE6ELNS1_3repE0EEENS1_30default_config_static_selectorELNS0_4arch9wavefront6targetE0EEEvSU_
	.p2align	8
	.type	_ZN7rocprim17ROCPRIM_400000_NS6detail17trampoline_kernelINS0_14default_configENS1_29binary_search_config_selectorIiiEEZNS1_14transform_implILb0ES3_S5_N6thrust23THRUST_200600_302600_NS6detail15normal_iteratorINS8_7pointerIiNS8_11hip_rocprim3tagENS8_11use_defaultESE_EEEESG_ZNS1_13binary_searchIS3_S5_NSA_INSB_IiSD_NS8_16tagged_referenceIiSD_EESE_EEEESG_SG_NS1_16binary_search_opENS9_16wrapped_functionINS8_7greaterIiEEbEEEE10hipError_tPvRmT1_T2_T3_mmT4_T5_P12ihipStream_tbEUlRKiE_EESR_SV_SW_mSX_S10_bEUlT_E_NS1_11comp_targetILNS1_3genE2ELNS1_11target_archE906ELNS1_3gpuE6ELNS1_3repE0EEENS1_30default_config_static_selectorELNS0_4arch9wavefront6targetE0EEEvSU_,@function
_ZN7rocprim17ROCPRIM_400000_NS6detail17trampoline_kernelINS0_14default_configENS1_29binary_search_config_selectorIiiEEZNS1_14transform_implILb0ES3_S5_N6thrust23THRUST_200600_302600_NS6detail15normal_iteratorINS8_7pointerIiNS8_11hip_rocprim3tagENS8_11use_defaultESE_EEEESG_ZNS1_13binary_searchIS3_S5_NSA_INSB_IiSD_NS8_16tagged_referenceIiSD_EESE_EEEESG_SG_NS1_16binary_search_opENS9_16wrapped_functionINS8_7greaterIiEEbEEEE10hipError_tPvRmT1_T2_T3_mmT4_T5_P12ihipStream_tbEUlRKiE_EESR_SV_SW_mSX_S10_bEUlT_E_NS1_11comp_targetILNS1_3genE2ELNS1_11target_archE906ELNS1_3gpuE6ELNS1_3repE0EEENS1_30default_config_static_selectorELNS0_4arch9wavefront6targetE0EEEvSU_: ; @_ZN7rocprim17ROCPRIM_400000_NS6detail17trampoline_kernelINS0_14default_configENS1_29binary_search_config_selectorIiiEEZNS1_14transform_implILb0ES3_S5_N6thrust23THRUST_200600_302600_NS6detail15normal_iteratorINS8_7pointerIiNS8_11hip_rocprim3tagENS8_11use_defaultESE_EEEESG_ZNS1_13binary_searchIS3_S5_NSA_INSB_IiSD_NS8_16tagged_referenceIiSD_EESE_EEEESG_SG_NS1_16binary_search_opENS9_16wrapped_functionINS8_7greaterIiEEbEEEE10hipError_tPvRmT1_T2_T3_mmT4_T5_P12ihipStream_tbEUlRKiE_EESR_SV_SW_mSX_S10_bEUlT_E_NS1_11comp_targetILNS1_3genE2ELNS1_11target_archE906ELNS1_3gpuE6ELNS1_3repE0EEENS1_30default_config_static_selectorELNS0_4arch9wavefront6targetE0EEEvSU_
; %bb.0:
	.section	.rodata,"a",@progbits
	.p2align	6, 0x0
	.amdhsa_kernel _ZN7rocprim17ROCPRIM_400000_NS6detail17trampoline_kernelINS0_14default_configENS1_29binary_search_config_selectorIiiEEZNS1_14transform_implILb0ES3_S5_N6thrust23THRUST_200600_302600_NS6detail15normal_iteratorINS8_7pointerIiNS8_11hip_rocprim3tagENS8_11use_defaultESE_EEEESG_ZNS1_13binary_searchIS3_S5_NSA_INSB_IiSD_NS8_16tagged_referenceIiSD_EESE_EEEESG_SG_NS1_16binary_search_opENS9_16wrapped_functionINS8_7greaterIiEEbEEEE10hipError_tPvRmT1_T2_T3_mmT4_T5_P12ihipStream_tbEUlRKiE_EESR_SV_SW_mSX_S10_bEUlT_E_NS1_11comp_targetILNS1_3genE2ELNS1_11target_archE906ELNS1_3gpuE6ELNS1_3repE0EEENS1_30default_config_static_selectorELNS0_4arch9wavefront6targetE0EEEvSU_
		.amdhsa_group_segment_fixed_size 0
		.amdhsa_private_segment_fixed_size 0
		.amdhsa_kernarg_size 56
		.amdhsa_user_sgpr_count 2
		.amdhsa_user_sgpr_dispatch_ptr 0
		.amdhsa_user_sgpr_queue_ptr 0
		.amdhsa_user_sgpr_kernarg_segment_ptr 1
		.amdhsa_user_sgpr_dispatch_id 0
		.amdhsa_user_sgpr_kernarg_preload_length 0
		.amdhsa_user_sgpr_kernarg_preload_offset 0
		.amdhsa_user_sgpr_private_segment_size 0
		.amdhsa_wavefront_size32 1
		.amdhsa_uses_dynamic_stack 0
		.amdhsa_enable_private_segment 0
		.amdhsa_system_sgpr_workgroup_id_x 1
		.amdhsa_system_sgpr_workgroup_id_y 0
		.amdhsa_system_sgpr_workgroup_id_z 0
		.amdhsa_system_sgpr_workgroup_info 0
		.amdhsa_system_vgpr_workitem_id 0
		.amdhsa_next_free_vgpr 1
		.amdhsa_next_free_sgpr 1
		.amdhsa_named_barrier_count 0
		.amdhsa_reserve_vcc 0
		.amdhsa_float_round_mode_32 0
		.amdhsa_float_round_mode_16_64 0
		.amdhsa_float_denorm_mode_32 3
		.amdhsa_float_denorm_mode_16_64 3
		.amdhsa_fp16_overflow 0
		.amdhsa_memory_ordered 1
		.amdhsa_forward_progress 1
		.amdhsa_inst_pref_size 0
		.amdhsa_round_robin_scheduling 0
		.amdhsa_exception_fp_ieee_invalid_op 0
		.amdhsa_exception_fp_denorm_src 0
		.amdhsa_exception_fp_ieee_div_zero 0
		.amdhsa_exception_fp_ieee_overflow 0
		.amdhsa_exception_fp_ieee_underflow 0
		.amdhsa_exception_fp_ieee_inexact 0
		.amdhsa_exception_int_div_zero 0
	.end_amdhsa_kernel
	.section	.text._ZN7rocprim17ROCPRIM_400000_NS6detail17trampoline_kernelINS0_14default_configENS1_29binary_search_config_selectorIiiEEZNS1_14transform_implILb0ES3_S5_N6thrust23THRUST_200600_302600_NS6detail15normal_iteratorINS8_7pointerIiNS8_11hip_rocprim3tagENS8_11use_defaultESE_EEEESG_ZNS1_13binary_searchIS3_S5_NSA_INSB_IiSD_NS8_16tagged_referenceIiSD_EESE_EEEESG_SG_NS1_16binary_search_opENS9_16wrapped_functionINS8_7greaterIiEEbEEEE10hipError_tPvRmT1_T2_T3_mmT4_T5_P12ihipStream_tbEUlRKiE_EESR_SV_SW_mSX_S10_bEUlT_E_NS1_11comp_targetILNS1_3genE2ELNS1_11target_archE906ELNS1_3gpuE6ELNS1_3repE0EEENS1_30default_config_static_selectorELNS0_4arch9wavefront6targetE0EEEvSU_,"axG",@progbits,_ZN7rocprim17ROCPRIM_400000_NS6detail17trampoline_kernelINS0_14default_configENS1_29binary_search_config_selectorIiiEEZNS1_14transform_implILb0ES3_S5_N6thrust23THRUST_200600_302600_NS6detail15normal_iteratorINS8_7pointerIiNS8_11hip_rocprim3tagENS8_11use_defaultESE_EEEESG_ZNS1_13binary_searchIS3_S5_NSA_INSB_IiSD_NS8_16tagged_referenceIiSD_EESE_EEEESG_SG_NS1_16binary_search_opENS9_16wrapped_functionINS8_7greaterIiEEbEEEE10hipError_tPvRmT1_T2_T3_mmT4_T5_P12ihipStream_tbEUlRKiE_EESR_SV_SW_mSX_S10_bEUlT_E_NS1_11comp_targetILNS1_3genE2ELNS1_11target_archE906ELNS1_3gpuE6ELNS1_3repE0EEENS1_30default_config_static_selectorELNS0_4arch9wavefront6targetE0EEEvSU_,comdat
.Lfunc_end189:
	.size	_ZN7rocprim17ROCPRIM_400000_NS6detail17trampoline_kernelINS0_14default_configENS1_29binary_search_config_selectorIiiEEZNS1_14transform_implILb0ES3_S5_N6thrust23THRUST_200600_302600_NS6detail15normal_iteratorINS8_7pointerIiNS8_11hip_rocprim3tagENS8_11use_defaultESE_EEEESG_ZNS1_13binary_searchIS3_S5_NSA_INSB_IiSD_NS8_16tagged_referenceIiSD_EESE_EEEESG_SG_NS1_16binary_search_opENS9_16wrapped_functionINS8_7greaterIiEEbEEEE10hipError_tPvRmT1_T2_T3_mmT4_T5_P12ihipStream_tbEUlRKiE_EESR_SV_SW_mSX_S10_bEUlT_E_NS1_11comp_targetILNS1_3genE2ELNS1_11target_archE906ELNS1_3gpuE6ELNS1_3repE0EEENS1_30default_config_static_selectorELNS0_4arch9wavefront6targetE0EEEvSU_, .Lfunc_end189-_ZN7rocprim17ROCPRIM_400000_NS6detail17trampoline_kernelINS0_14default_configENS1_29binary_search_config_selectorIiiEEZNS1_14transform_implILb0ES3_S5_N6thrust23THRUST_200600_302600_NS6detail15normal_iteratorINS8_7pointerIiNS8_11hip_rocprim3tagENS8_11use_defaultESE_EEEESG_ZNS1_13binary_searchIS3_S5_NSA_INSB_IiSD_NS8_16tagged_referenceIiSD_EESE_EEEESG_SG_NS1_16binary_search_opENS9_16wrapped_functionINS8_7greaterIiEEbEEEE10hipError_tPvRmT1_T2_T3_mmT4_T5_P12ihipStream_tbEUlRKiE_EESR_SV_SW_mSX_S10_bEUlT_E_NS1_11comp_targetILNS1_3genE2ELNS1_11target_archE906ELNS1_3gpuE6ELNS1_3repE0EEENS1_30default_config_static_selectorELNS0_4arch9wavefront6targetE0EEEvSU_
                                        ; -- End function
	.set _ZN7rocprim17ROCPRIM_400000_NS6detail17trampoline_kernelINS0_14default_configENS1_29binary_search_config_selectorIiiEEZNS1_14transform_implILb0ES3_S5_N6thrust23THRUST_200600_302600_NS6detail15normal_iteratorINS8_7pointerIiNS8_11hip_rocprim3tagENS8_11use_defaultESE_EEEESG_ZNS1_13binary_searchIS3_S5_NSA_INSB_IiSD_NS8_16tagged_referenceIiSD_EESE_EEEESG_SG_NS1_16binary_search_opENS9_16wrapped_functionINS8_7greaterIiEEbEEEE10hipError_tPvRmT1_T2_T3_mmT4_T5_P12ihipStream_tbEUlRKiE_EESR_SV_SW_mSX_S10_bEUlT_E_NS1_11comp_targetILNS1_3genE2ELNS1_11target_archE906ELNS1_3gpuE6ELNS1_3repE0EEENS1_30default_config_static_selectorELNS0_4arch9wavefront6targetE0EEEvSU_.num_vgpr, 0
	.set _ZN7rocprim17ROCPRIM_400000_NS6detail17trampoline_kernelINS0_14default_configENS1_29binary_search_config_selectorIiiEEZNS1_14transform_implILb0ES3_S5_N6thrust23THRUST_200600_302600_NS6detail15normal_iteratorINS8_7pointerIiNS8_11hip_rocprim3tagENS8_11use_defaultESE_EEEESG_ZNS1_13binary_searchIS3_S5_NSA_INSB_IiSD_NS8_16tagged_referenceIiSD_EESE_EEEESG_SG_NS1_16binary_search_opENS9_16wrapped_functionINS8_7greaterIiEEbEEEE10hipError_tPvRmT1_T2_T3_mmT4_T5_P12ihipStream_tbEUlRKiE_EESR_SV_SW_mSX_S10_bEUlT_E_NS1_11comp_targetILNS1_3genE2ELNS1_11target_archE906ELNS1_3gpuE6ELNS1_3repE0EEENS1_30default_config_static_selectorELNS0_4arch9wavefront6targetE0EEEvSU_.num_agpr, 0
	.set _ZN7rocprim17ROCPRIM_400000_NS6detail17trampoline_kernelINS0_14default_configENS1_29binary_search_config_selectorIiiEEZNS1_14transform_implILb0ES3_S5_N6thrust23THRUST_200600_302600_NS6detail15normal_iteratorINS8_7pointerIiNS8_11hip_rocprim3tagENS8_11use_defaultESE_EEEESG_ZNS1_13binary_searchIS3_S5_NSA_INSB_IiSD_NS8_16tagged_referenceIiSD_EESE_EEEESG_SG_NS1_16binary_search_opENS9_16wrapped_functionINS8_7greaterIiEEbEEEE10hipError_tPvRmT1_T2_T3_mmT4_T5_P12ihipStream_tbEUlRKiE_EESR_SV_SW_mSX_S10_bEUlT_E_NS1_11comp_targetILNS1_3genE2ELNS1_11target_archE906ELNS1_3gpuE6ELNS1_3repE0EEENS1_30default_config_static_selectorELNS0_4arch9wavefront6targetE0EEEvSU_.numbered_sgpr, 0
	.set _ZN7rocprim17ROCPRIM_400000_NS6detail17trampoline_kernelINS0_14default_configENS1_29binary_search_config_selectorIiiEEZNS1_14transform_implILb0ES3_S5_N6thrust23THRUST_200600_302600_NS6detail15normal_iteratorINS8_7pointerIiNS8_11hip_rocprim3tagENS8_11use_defaultESE_EEEESG_ZNS1_13binary_searchIS3_S5_NSA_INSB_IiSD_NS8_16tagged_referenceIiSD_EESE_EEEESG_SG_NS1_16binary_search_opENS9_16wrapped_functionINS8_7greaterIiEEbEEEE10hipError_tPvRmT1_T2_T3_mmT4_T5_P12ihipStream_tbEUlRKiE_EESR_SV_SW_mSX_S10_bEUlT_E_NS1_11comp_targetILNS1_3genE2ELNS1_11target_archE906ELNS1_3gpuE6ELNS1_3repE0EEENS1_30default_config_static_selectorELNS0_4arch9wavefront6targetE0EEEvSU_.num_named_barrier, 0
	.set _ZN7rocprim17ROCPRIM_400000_NS6detail17trampoline_kernelINS0_14default_configENS1_29binary_search_config_selectorIiiEEZNS1_14transform_implILb0ES3_S5_N6thrust23THRUST_200600_302600_NS6detail15normal_iteratorINS8_7pointerIiNS8_11hip_rocprim3tagENS8_11use_defaultESE_EEEESG_ZNS1_13binary_searchIS3_S5_NSA_INSB_IiSD_NS8_16tagged_referenceIiSD_EESE_EEEESG_SG_NS1_16binary_search_opENS9_16wrapped_functionINS8_7greaterIiEEbEEEE10hipError_tPvRmT1_T2_T3_mmT4_T5_P12ihipStream_tbEUlRKiE_EESR_SV_SW_mSX_S10_bEUlT_E_NS1_11comp_targetILNS1_3genE2ELNS1_11target_archE906ELNS1_3gpuE6ELNS1_3repE0EEENS1_30default_config_static_selectorELNS0_4arch9wavefront6targetE0EEEvSU_.private_seg_size, 0
	.set _ZN7rocprim17ROCPRIM_400000_NS6detail17trampoline_kernelINS0_14default_configENS1_29binary_search_config_selectorIiiEEZNS1_14transform_implILb0ES3_S5_N6thrust23THRUST_200600_302600_NS6detail15normal_iteratorINS8_7pointerIiNS8_11hip_rocprim3tagENS8_11use_defaultESE_EEEESG_ZNS1_13binary_searchIS3_S5_NSA_INSB_IiSD_NS8_16tagged_referenceIiSD_EESE_EEEESG_SG_NS1_16binary_search_opENS9_16wrapped_functionINS8_7greaterIiEEbEEEE10hipError_tPvRmT1_T2_T3_mmT4_T5_P12ihipStream_tbEUlRKiE_EESR_SV_SW_mSX_S10_bEUlT_E_NS1_11comp_targetILNS1_3genE2ELNS1_11target_archE906ELNS1_3gpuE6ELNS1_3repE0EEENS1_30default_config_static_selectorELNS0_4arch9wavefront6targetE0EEEvSU_.uses_vcc, 0
	.set _ZN7rocprim17ROCPRIM_400000_NS6detail17trampoline_kernelINS0_14default_configENS1_29binary_search_config_selectorIiiEEZNS1_14transform_implILb0ES3_S5_N6thrust23THRUST_200600_302600_NS6detail15normal_iteratorINS8_7pointerIiNS8_11hip_rocprim3tagENS8_11use_defaultESE_EEEESG_ZNS1_13binary_searchIS3_S5_NSA_INSB_IiSD_NS8_16tagged_referenceIiSD_EESE_EEEESG_SG_NS1_16binary_search_opENS9_16wrapped_functionINS8_7greaterIiEEbEEEE10hipError_tPvRmT1_T2_T3_mmT4_T5_P12ihipStream_tbEUlRKiE_EESR_SV_SW_mSX_S10_bEUlT_E_NS1_11comp_targetILNS1_3genE2ELNS1_11target_archE906ELNS1_3gpuE6ELNS1_3repE0EEENS1_30default_config_static_selectorELNS0_4arch9wavefront6targetE0EEEvSU_.uses_flat_scratch, 0
	.set _ZN7rocprim17ROCPRIM_400000_NS6detail17trampoline_kernelINS0_14default_configENS1_29binary_search_config_selectorIiiEEZNS1_14transform_implILb0ES3_S5_N6thrust23THRUST_200600_302600_NS6detail15normal_iteratorINS8_7pointerIiNS8_11hip_rocprim3tagENS8_11use_defaultESE_EEEESG_ZNS1_13binary_searchIS3_S5_NSA_INSB_IiSD_NS8_16tagged_referenceIiSD_EESE_EEEESG_SG_NS1_16binary_search_opENS9_16wrapped_functionINS8_7greaterIiEEbEEEE10hipError_tPvRmT1_T2_T3_mmT4_T5_P12ihipStream_tbEUlRKiE_EESR_SV_SW_mSX_S10_bEUlT_E_NS1_11comp_targetILNS1_3genE2ELNS1_11target_archE906ELNS1_3gpuE6ELNS1_3repE0EEENS1_30default_config_static_selectorELNS0_4arch9wavefront6targetE0EEEvSU_.has_dyn_sized_stack, 0
	.set _ZN7rocprim17ROCPRIM_400000_NS6detail17trampoline_kernelINS0_14default_configENS1_29binary_search_config_selectorIiiEEZNS1_14transform_implILb0ES3_S5_N6thrust23THRUST_200600_302600_NS6detail15normal_iteratorINS8_7pointerIiNS8_11hip_rocprim3tagENS8_11use_defaultESE_EEEESG_ZNS1_13binary_searchIS3_S5_NSA_INSB_IiSD_NS8_16tagged_referenceIiSD_EESE_EEEESG_SG_NS1_16binary_search_opENS9_16wrapped_functionINS8_7greaterIiEEbEEEE10hipError_tPvRmT1_T2_T3_mmT4_T5_P12ihipStream_tbEUlRKiE_EESR_SV_SW_mSX_S10_bEUlT_E_NS1_11comp_targetILNS1_3genE2ELNS1_11target_archE906ELNS1_3gpuE6ELNS1_3repE0EEENS1_30default_config_static_selectorELNS0_4arch9wavefront6targetE0EEEvSU_.has_recursion, 0
	.set _ZN7rocprim17ROCPRIM_400000_NS6detail17trampoline_kernelINS0_14default_configENS1_29binary_search_config_selectorIiiEEZNS1_14transform_implILb0ES3_S5_N6thrust23THRUST_200600_302600_NS6detail15normal_iteratorINS8_7pointerIiNS8_11hip_rocprim3tagENS8_11use_defaultESE_EEEESG_ZNS1_13binary_searchIS3_S5_NSA_INSB_IiSD_NS8_16tagged_referenceIiSD_EESE_EEEESG_SG_NS1_16binary_search_opENS9_16wrapped_functionINS8_7greaterIiEEbEEEE10hipError_tPvRmT1_T2_T3_mmT4_T5_P12ihipStream_tbEUlRKiE_EESR_SV_SW_mSX_S10_bEUlT_E_NS1_11comp_targetILNS1_3genE2ELNS1_11target_archE906ELNS1_3gpuE6ELNS1_3repE0EEENS1_30default_config_static_selectorELNS0_4arch9wavefront6targetE0EEEvSU_.has_indirect_call, 0
	.section	.AMDGPU.csdata,"",@progbits
; Kernel info:
; codeLenInByte = 0
; TotalNumSgprs: 0
; NumVgprs: 0
; ScratchSize: 0
; MemoryBound: 0
; FloatMode: 240
; IeeeMode: 1
; LDSByteSize: 0 bytes/workgroup (compile time only)
; SGPRBlocks: 0
; VGPRBlocks: 0
; NumSGPRsForWavesPerEU: 1
; NumVGPRsForWavesPerEU: 1
; NamedBarCnt: 0
; Occupancy: 16
; WaveLimiterHint : 0
; COMPUTE_PGM_RSRC2:SCRATCH_EN: 0
; COMPUTE_PGM_RSRC2:USER_SGPR: 2
; COMPUTE_PGM_RSRC2:TRAP_HANDLER: 0
; COMPUTE_PGM_RSRC2:TGID_X_EN: 1
; COMPUTE_PGM_RSRC2:TGID_Y_EN: 0
; COMPUTE_PGM_RSRC2:TGID_Z_EN: 0
; COMPUTE_PGM_RSRC2:TIDIG_COMP_CNT: 0
	.section	.text._ZN7rocprim17ROCPRIM_400000_NS6detail17trampoline_kernelINS0_14default_configENS1_29binary_search_config_selectorIiiEEZNS1_14transform_implILb0ES3_S5_N6thrust23THRUST_200600_302600_NS6detail15normal_iteratorINS8_7pointerIiNS8_11hip_rocprim3tagENS8_11use_defaultESE_EEEESG_ZNS1_13binary_searchIS3_S5_NSA_INSB_IiSD_NS8_16tagged_referenceIiSD_EESE_EEEESG_SG_NS1_16binary_search_opENS9_16wrapped_functionINS8_7greaterIiEEbEEEE10hipError_tPvRmT1_T2_T3_mmT4_T5_P12ihipStream_tbEUlRKiE_EESR_SV_SW_mSX_S10_bEUlT_E_NS1_11comp_targetILNS1_3genE10ELNS1_11target_archE1201ELNS1_3gpuE5ELNS1_3repE0EEENS1_30default_config_static_selectorELNS0_4arch9wavefront6targetE0EEEvSU_,"axG",@progbits,_ZN7rocprim17ROCPRIM_400000_NS6detail17trampoline_kernelINS0_14default_configENS1_29binary_search_config_selectorIiiEEZNS1_14transform_implILb0ES3_S5_N6thrust23THRUST_200600_302600_NS6detail15normal_iteratorINS8_7pointerIiNS8_11hip_rocprim3tagENS8_11use_defaultESE_EEEESG_ZNS1_13binary_searchIS3_S5_NSA_INSB_IiSD_NS8_16tagged_referenceIiSD_EESE_EEEESG_SG_NS1_16binary_search_opENS9_16wrapped_functionINS8_7greaterIiEEbEEEE10hipError_tPvRmT1_T2_T3_mmT4_T5_P12ihipStream_tbEUlRKiE_EESR_SV_SW_mSX_S10_bEUlT_E_NS1_11comp_targetILNS1_3genE10ELNS1_11target_archE1201ELNS1_3gpuE5ELNS1_3repE0EEENS1_30default_config_static_selectorELNS0_4arch9wavefront6targetE0EEEvSU_,comdat
	.protected	_ZN7rocprim17ROCPRIM_400000_NS6detail17trampoline_kernelINS0_14default_configENS1_29binary_search_config_selectorIiiEEZNS1_14transform_implILb0ES3_S5_N6thrust23THRUST_200600_302600_NS6detail15normal_iteratorINS8_7pointerIiNS8_11hip_rocprim3tagENS8_11use_defaultESE_EEEESG_ZNS1_13binary_searchIS3_S5_NSA_INSB_IiSD_NS8_16tagged_referenceIiSD_EESE_EEEESG_SG_NS1_16binary_search_opENS9_16wrapped_functionINS8_7greaterIiEEbEEEE10hipError_tPvRmT1_T2_T3_mmT4_T5_P12ihipStream_tbEUlRKiE_EESR_SV_SW_mSX_S10_bEUlT_E_NS1_11comp_targetILNS1_3genE10ELNS1_11target_archE1201ELNS1_3gpuE5ELNS1_3repE0EEENS1_30default_config_static_selectorELNS0_4arch9wavefront6targetE0EEEvSU_ ; -- Begin function _ZN7rocprim17ROCPRIM_400000_NS6detail17trampoline_kernelINS0_14default_configENS1_29binary_search_config_selectorIiiEEZNS1_14transform_implILb0ES3_S5_N6thrust23THRUST_200600_302600_NS6detail15normal_iteratorINS8_7pointerIiNS8_11hip_rocprim3tagENS8_11use_defaultESE_EEEESG_ZNS1_13binary_searchIS3_S5_NSA_INSB_IiSD_NS8_16tagged_referenceIiSD_EESE_EEEESG_SG_NS1_16binary_search_opENS9_16wrapped_functionINS8_7greaterIiEEbEEEE10hipError_tPvRmT1_T2_T3_mmT4_T5_P12ihipStream_tbEUlRKiE_EESR_SV_SW_mSX_S10_bEUlT_E_NS1_11comp_targetILNS1_3genE10ELNS1_11target_archE1201ELNS1_3gpuE5ELNS1_3repE0EEENS1_30default_config_static_selectorELNS0_4arch9wavefront6targetE0EEEvSU_
	.globl	_ZN7rocprim17ROCPRIM_400000_NS6detail17trampoline_kernelINS0_14default_configENS1_29binary_search_config_selectorIiiEEZNS1_14transform_implILb0ES3_S5_N6thrust23THRUST_200600_302600_NS6detail15normal_iteratorINS8_7pointerIiNS8_11hip_rocprim3tagENS8_11use_defaultESE_EEEESG_ZNS1_13binary_searchIS3_S5_NSA_INSB_IiSD_NS8_16tagged_referenceIiSD_EESE_EEEESG_SG_NS1_16binary_search_opENS9_16wrapped_functionINS8_7greaterIiEEbEEEE10hipError_tPvRmT1_T2_T3_mmT4_T5_P12ihipStream_tbEUlRKiE_EESR_SV_SW_mSX_S10_bEUlT_E_NS1_11comp_targetILNS1_3genE10ELNS1_11target_archE1201ELNS1_3gpuE5ELNS1_3repE0EEENS1_30default_config_static_selectorELNS0_4arch9wavefront6targetE0EEEvSU_
	.p2align	8
	.type	_ZN7rocprim17ROCPRIM_400000_NS6detail17trampoline_kernelINS0_14default_configENS1_29binary_search_config_selectorIiiEEZNS1_14transform_implILb0ES3_S5_N6thrust23THRUST_200600_302600_NS6detail15normal_iteratorINS8_7pointerIiNS8_11hip_rocprim3tagENS8_11use_defaultESE_EEEESG_ZNS1_13binary_searchIS3_S5_NSA_INSB_IiSD_NS8_16tagged_referenceIiSD_EESE_EEEESG_SG_NS1_16binary_search_opENS9_16wrapped_functionINS8_7greaterIiEEbEEEE10hipError_tPvRmT1_T2_T3_mmT4_T5_P12ihipStream_tbEUlRKiE_EESR_SV_SW_mSX_S10_bEUlT_E_NS1_11comp_targetILNS1_3genE10ELNS1_11target_archE1201ELNS1_3gpuE5ELNS1_3repE0EEENS1_30default_config_static_selectorELNS0_4arch9wavefront6targetE0EEEvSU_,@function
_ZN7rocprim17ROCPRIM_400000_NS6detail17trampoline_kernelINS0_14default_configENS1_29binary_search_config_selectorIiiEEZNS1_14transform_implILb0ES3_S5_N6thrust23THRUST_200600_302600_NS6detail15normal_iteratorINS8_7pointerIiNS8_11hip_rocprim3tagENS8_11use_defaultESE_EEEESG_ZNS1_13binary_searchIS3_S5_NSA_INSB_IiSD_NS8_16tagged_referenceIiSD_EESE_EEEESG_SG_NS1_16binary_search_opENS9_16wrapped_functionINS8_7greaterIiEEbEEEE10hipError_tPvRmT1_T2_T3_mmT4_T5_P12ihipStream_tbEUlRKiE_EESR_SV_SW_mSX_S10_bEUlT_E_NS1_11comp_targetILNS1_3genE10ELNS1_11target_archE1201ELNS1_3gpuE5ELNS1_3repE0EEENS1_30default_config_static_selectorELNS0_4arch9wavefront6targetE0EEEvSU_: ; @_ZN7rocprim17ROCPRIM_400000_NS6detail17trampoline_kernelINS0_14default_configENS1_29binary_search_config_selectorIiiEEZNS1_14transform_implILb0ES3_S5_N6thrust23THRUST_200600_302600_NS6detail15normal_iteratorINS8_7pointerIiNS8_11hip_rocprim3tagENS8_11use_defaultESE_EEEESG_ZNS1_13binary_searchIS3_S5_NSA_INSB_IiSD_NS8_16tagged_referenceIiSD_EESE_EEEESG_SG_NS1_16binary_search_opENS9_16wrapped_functionINS8_7greaterIiEEbEEEE10hipError_tPvRmT1_T2_T3_mmT4_T5_P12ihipStream_tbEUlRKiE_EESR_SV_SW_mSX_S10_bEUlT_E_NS1_11comp_targetILNS1_3genE10ELNS1_11target_archE1201ELNS1_3gpuE5ELNS1_3repE0EEENS1_30default_config_static_selectorELNS0_4arch9wavefront6targetE0EEEvSU_
; %bb.0:
	.section	.rodata,"a",@progbits
	.p2align	6, 0x0
	.amdhsa_kernel _ZN7rocprim17ROCPRIM_400000_NS6detail17trampoline_kernelINS0_14default_configENS1_29binary_search_config_selectorIiiEEZNS1_14transform_implILb0ES3_S5_N6thrust23THRUST_200600_302600_NS6detail15normal_iteratorINS8_7pointerIiNS8_11hip_rocprim3tagENS8_11use_defaultESE_EEEESG_ZNS1_13binary_searchIS3_S5_NSA_INSB_IiSD_NS8_16tagged_referenceIiSD_EESE_EEEESG_SG_NS1_16binary_search_opENS9_16wrapped_functionINS8_7greaterIiEEbEEEE10hipError_tPvRmT1_T2_T3_mmT4_T5_P12ihipStream_tbEUlRKiE_EESR_SV_SW_mSX_S10_bEUlT_E_NS1_11comp_targetILNS1_3genE10ELNS1_11target_archE1201ELNS1_3gpuE5ELNS1_3repE0EEENS1_30default_config_static_selectorELNS0_4arch9wavefront6targetE0EEEvSU_
		.amdhsa_group_segment_fixed_size 0
		.amdhsa_private_segment_fixed_size 0
		.amdhsa_kernarg_size 56
		.amdhsa_user_sgpr_count 2
		.amdhsa_user_sgpr_dispatch_ptr 0
		.amdhsa_user_sgpr_queue_ptr 0
		.amdhsa_user_sgpr_kernarg_segment_ptr 1
		.amdhsa_user_sgpr_dispatch_id 0
		.amdhsa_user_sgpr_kernarg_preload_length 0
		.amdhsa_user_sgpr_kernarg_preload_offset 0
		.amdhsa_user_sgpr_private_segment_size 0
		.amdhsa_wavefront_size32 1
		.amdhsa_uses_dynamic_stack 0
		.amdhsa_enable_private_segment 0
		.amdhsa_system_sgpr_workgroup_id_x 1
		.amdhsa_system_sgpr_workgroup_id_y 0
		.amdhsa_system_sgpr_workgroup_id_z 0
		.amdhsa_system_sgpr_workgroup_info 0
		.amdhsa_system_vgpr_workitem_id 0
		.amdhsa_next_free_vgpr 1
		.amdhsa_next_free_sgpr 1
		.amdhsa_named_barrier_count 0
		.amdhsa_reserve_vcc 0
		.amdhsa_float_round_mode_32 0
		.amdhsa_float_round_mode_16_64 0
		.amdhsa_float_denorm_mode_32 3
		.amdhsa_float_denorm_mode_16_64 3
		.amdhsa_fp16_overflow 0
		.amdhsa_memory_ordered 1
		.amdhsa_forward_progress 1
		.amdhsa_inst_pref_size 0
		.amdhsa_round_robin_scheduling 0
		.amdhsa_exception_fp_ieee_invalid_op 0
		.amdhsa_exception_fp_denorm_src 0
		.amdhsa_exception_fp_ieee_div_zero 0
		.amdhsa_exception_fp_ieee_overflow 0
		.amdhsa_exception_fp_ieee_underflow 0
		.amdhsa_exception_fp_ieee_inexact 0
		.amdhsa_exception_int_div_zero 0
	.end_amdhsa_kernel
	.section	.text._ZN7rocprim17ROCPRIM_400000_NS6detail17trampoline_kernelINS0_14default_configENS1_29binary_search_config_selectorIiiEEZNS1_14transform_implILb0ES3_S5_N6thrust23THRUST_200600_302600_NS6detail15normal_iteratorINS8_7pointerIiNS8_11hip_rocprim3tagENS8_11use_defaultESE_EEEESG_ZNS1_13binary_searchIS3_S5_NSA_INSB_IiSD_NS8_16tagged_referenceIiSD_EESE_EEEESG_SG_NS1_16binary_search_opENS9_16wrapped_functionINS8_7greaterIiEEbEEEE10hipError_tPvRmT1_T2_T3_mmT4_T5_P12ihipStream_tbEUlRKiE_EESR_SV_SW_mSX_S10_bEUlT_E_NS1_11comp_targetILNS1_3genE10ELNS1_11target_archE1201ELNS1_3gpuE5ELNS1_3repE0EEENS1_30default_config_static_selectorELNS0_4arch9wavefront6targetE0EEEvSU_,"axG",@progbits,_ZN7rocprim17ROCPRIM_400000_NS6detail17trampoline_kernelINS0_14default_configENS1_29binary_search_config_selectorIiiEEZNS1_14transform_implILb0ES3_S5_N6thrust23THRUST_200600_302600_NS6detail15normal_iteratorINS8_7pointerIiNS8_11hip_rocprim3tagENS8_11use_defaultESE_EEEESG_ZNS1_13binary_searchIS3_S5_NSA_INSB_IiSD_NS8_16tagged_referenceIiSD_EESE_EEEESG_SG_NS1_16binary_search_opENS9_16wrapped_functionINS8_7greaterIiEEbEEEE10hipError_tPvRmT1_T2_T3_mmT4_T5_P12ihipStream_tbEUlRKiE_EESR_SV_SW_mSX_S10_bEUlT_E_NS1_11comp_targetILNS1_3genE10ELNS1_11target_archE1201ELNS1_3gpuE5ELNS1_3repE0EEENS1_30default_config_static_selectorELNS0_4arch9wavefront6targetE0EEEvSU_,comdat
.Lfunc_end190:
	.size	_ZN7rocprim17ROCPRIM_400000_NS6detail17trampoline_kernelINS0_14default_configENS1_29binary_search_config_selectorIiiEEZNS1_14transform_implILb0ES3_S5_N6thrust23THRUST_200600_302600_NS6detail15normal_iteratorINS8_7pointerIiNS8_11hip_rocprim3tagENS8_11use_defaultESE_EEEESG_ZNS1_13binary_searchIS3_S5_NSA_INSB_IiSD_NS8_16tagged_referenceIiSD_EESE_EEEESG_SG_NS1_16binary_search_opENS9_16wrapped_functionINS8_7greaterIiEEbEEEE10hipError_tPvRmT1_T2_T3_mmT4_T5_P12ihipStream_tbEUlRKiE_EESR_SV_SW_mSX_S10_bEUlT_E_NS1_11comp_targetILNS1_3genE10ELNS1_11target_archE1201ELNS1_3gpuE5ELNS1_3repE0EEENS1_30default_config_static_selectorELNS0_4arch9wavefront6targetE0EEEvSU_, .Lfunc_end190-_ZN7rocprim17ROCPRIM_400000_NS6detail17trampoline_kernelINS0_14default_configENS1_29binary_search_config_selectorIiiEEZNS1_14transform_implILb0ES3_S5_N6thrust23THRUST_200600_302600_NS6detail15normal_iteratorINS8_7pointerIiNS8_11hip_rocprim3tagENS8_11use_defaultESE_EEEESG_ZNS1_13binary_searchIS3_S5_NSA_INSB_IiSD_NS8_16tagged_referenceIiSD_EESE_EEEESG_SG_NS1_16binary_search_opENS9_16wrapped_functionINS8_7greaterIiEEbEEEE10hipError_tPvRmT1_T2_T3_mmT4_T5_P12ihipStream_tbEUlRKiE_EESR_SV_SW_mSX_S10_bEUlT_E_NS1_11comp_targetILNS1_3genE10ELNS1_11target_archE1201ELNS1_3gpuE5ELNS1_3repE0EEENS1_30default_config_static_selectorELNS0_4arch9wavefront6targetE0EEEvSU_
                                        ; -- End function
	.set _ZN7rocprim17ROCPRIM_400000_NS6detail17trampoline_kernelINS0_14default_configENS1_29binary_search_config_selectorIiiEEZNS1_14transform_implILb0ES3_S5_N6thrust23THRUST_200600_302600_NS6detail15normal_iteratorINS8_7pointerIiNS8_11hip_rocprim3tagENS8_11use_defaultESE_EEEESG_ZNS1_13binary_searchIS3_S5_NSA_INSB_IiSD_NS8_16tagged_referenceIiSD_EESE_EEEESG_SG_NS1_16binary_search_opENS9_16wrapped_functionINS8_7greaterIiEEbEEEE10hipError_tPvRmT1_T2_T3_mmT4_T5_P12ihipStream_tbEUlRKiE_EESR_SV_SW_mSX_S10_bEUlT_E_NS1_11comp_targetILNS1_3genE10ELNS1_11target_archE1201ELNS1_3gpuE5ELNS1_3repE0EEENS1_30default_config_static_selectorELNS0_4arch9wavefront6targetE0EEEvSU_.num_vgpr, 0
	.set _ZN7rocprim17ROCPRIM_400000_NS6detail17trampoline_kernelINS0_14default_configENS1_29binary_search_config_selectorIiiEEZNS1_14transform_implILb0ES3_S5_N6thrust23THRUST_200600_302600_NS6detail15normal_iteratorINS8_7pointerIiNS8_11hip_rocprim3tagENS8_11use_defaultESE_EEEESG_ZNS1_13binary_searchIS3_S5_NSA_INSB_IiSD_NS8_16tagged_referenceIiSD_EESE_EEEESG_SG_NS1_16binary_search_opENS9_16wrapped_functionINS8_7greaterIiEEbEEEE10hipError_tPvRmT1_T2_T3_mmT4_T5_P12ihipStream_tbEUlRKiE_EESR_SV_SW_mSX_S10_bEUlT_E_NS1_11comp_targetILNS1_3genE10ELNS1_11target_archE1201ELNS1_3gpuE5ELNS1_3repE0EEENS1_30default_config_static_selectorELNS0_4arch9wavefront6targetE0EEEvSU_.num_agpr, 0
	.set _ZN7rocprim17ROCPRIM_400000_NS6detail17trampoline_kernelINS0_14default_configENS1_29binary_search_config_selectorIiiEEZNS1_14transform_implILb0ES3_S5_N6thrust23THRUST_200600_302600_NS6detail15normal_iteratorINS8_7pointerIiNS8_11hip_rocprim3tagENS8_11use_defaultESE_EEEESG_ZNS1_13binary_searchIS3_S5_NSA_INSB_IiSD_NS8_16tagged_referenceIiSD_EESE_EEEESG_SG_NS1_16binary_search_opENS9_16wrapped_functionINS8_7greaterIiEEbEEEE10hipError_tPvRmT1_T2_T3_mmT4_T5_P12ihipStream_tbEUlRKiE_EESR_SV_SW_mSX_S10_bEUlT_E_NS1_11comp_targetILNS1_3genE10ELNS1_11target_archE1201ELNS1_3gpuE5ELNS1_3repE0EEENS1_30default_config_static_selectorELNS0_4arch9wavefront6targetE0EEEvSU_.numbered_sgpr, 0
	.set _ZN7rocprim17ROCPRIM_400000_NS6detail17trampoline_kernelINS0_14default_configENS1_29binary_search_config_selectorIiiEEZNS1_14transform_implILb0ES3_S5_N6thrust23THRUST_200600_302600_NS6detail15normal_iteratorINS8_7pointerIiNS8_11hip_rocprim3tagENS8_11use_defaultESE_EEEESG_ZNS1_13binary_searchIS3_S5_NSA_INSB_IiSD_NS8_16tagged_referenceIiSD_EESE_EEEESG_SG_NS1_16binary_search_opENS9_16wrapped_functionINS8_7greaterIiEEbEEEE10hipError_tPvRmT1_T2_T3_mmT4_T5_P12ihipStream_tbEUlRKiE_EESR_SV_SW_mSX_S10_bEUlT_E_NS1_11comp_targetILNS1_3genE10ELNS1_11target_archE1201ELNS1_3gpuE5ELNS1_3repE0EEENS1_30default_config_static_selectorELNS0_4arch9wavefront6targetE0EEEvSU_.num_named_barrier, 0
	.set _ZN7rocprim17ROCPRIM_400000_NS6detail17trampoline_kernelINS0_14default_configENS1_29binary_search_config_selectorIiiEEZNS1_14transform_implILb0ES3_S5_N6thrust23THRUST_200600_302600_NS6detail15normal_iteratorINS8_7pointerIiNS8_11hip_rocprim3tagENS8_11use_defaultESE_EEEESG_ZNS1_13binary_searchIS3_S5_NSA_INSB_IiSD_NS8_16tagged_referenceIiSD_EESE_EEEESG_SG_NS1_16binary_search_opENS9_16wrapped_functionINS8_7greaterIiEEbEEEE10hipError_tPvRmT1_T2_T3_mmT4_T5_P12ihipStream_tbEUlRKiE_EESR_SV_SW_mSX_S10_bEUlT_E_NS1_11comp_targetILNS1_3genE10ELNS1_11target_archE1201ELNS1_3gpuE5ELNS1_3repE0EEENS1_30default_config_static_selectorELNS0_4arch9wavefront6targetE0EEEvSU_.private_seg_size, 0
	.set _ZN7rocprim17ROCPRIM_400000_NS6detail17trampoline_kernelINS0_14default_configENS1_29binary_search_config_selectorIiiEEZNS1_14transform_implILb0ES3_S5_N6thrust23THRUST_200600_302600_NS6detail15normal_iteratorINS8_7pointerIiNS8_11hip_rocprim3tagENS8_11use_defaultESE_EEEESG_ZNS1_13binary_searchIS3_S5_NSA_INSB_IiSD_NS8_16tagged_referenceIiSD_EESE_EEEESG_SG_NS1_16binary_search_opENS9_16wrapped_functionINS8_7greaterIiEEbEEEE10hipError_tPvRmT1_T2_T3_mmT4_T5_P12ihipStream_tbEUlRKiE_EESR_SV_SW_mSX_S10_bEUlT_E_NS1_11comp_targetILNS1_3genE10ELNS1_11target_archE1201ELNS1_3gpuE5ELNS1_3repE0EEENS1_30default_config_static_selectorELNS0_4arch9wavefront6targetE0EEEvSU_.uses_vcc, 0
	.set _ZN7rocprim17ROCPRIM_400000_NS6detail17trampoline_kernelINS0_14default_configENS1_29binary_search_config_selectorIiiEEZNS1_14transform_implILb0ES3_S5_N6thrust23THRUST_200600_302600_NS6detail15normal_iteratorINS8_7pointerIiNS8_11hip_rocprim3tagENS8_11use_defaultESE_EEEESG_ZNS1_13binary_searchIS3_S5_NSA_INSB_IiSD_NS8_16tagged_referenceIiSD_EESE_EEEESG_SG_NS1_16binary_search_opENS9_16wrapped_functionINS8_7greaterIiEEbEEEE10hipError_tPvRmT1_T2_T3_mmT4_T5_P12ihipStream_tbEUlRKiE_EESR_SV_SW_mSX_S10_bEUlT_E_NS1_11comp_targetILNS1_3genE10ELNS1_11target_archE1201ELNS1_3gpuE5ELNS1_3repE0EEENS1_30default_config_static_selectorELNS0_4arch9wavefront6targetE0EEEvSU_.uses_flat_scratch, 0
	.set _ZN7rocprim17ROCPRIM_400000_NS6detail17trampoline_kernelINS0_14default_configENS1_29binary_search_config_selectorIiiEEZNS1_14transform_implILb0ES3_S5_N6thrust23THRUST_200600_302600_NS6detail15normal_iteratorINS8_7pointerIiNS8_11hip_rocprim3tagENS8_11use_defaultESE_EEEESG_ZNS1_13binary_searchIS3_S5_NSA_INSB_IiSD_NS8_16tagged_referenceIiSD_EESE_EEEESG_SG_NS1_16binary_search_opENS9_16wrapped_functionINS8_7greaterIiEEbEEEE10hipError_tPvRmT1_T2_T3_mmT4_T5_P12ihipStream_tbEUlRKiE_EESR_SV_SW_mSX_S10_bEUlT_E_NS1_11comp_targetILNS1_3genE10ELNS1_11target_archE1201ELNS1_3gpuE5ELNS1_3repE0EEENS1_30default_config_static_selectorELNS0_4arch9wavefront6targetE0EEEvSU_.has_dyn_sized_stack, 0
	.set _ZN7rocprim17ROCPRIM_400000_NS6detail17trampoline_kernelINS0_14default_configENS1_29binary_search_config_selectorIiiEEZNS1_14transform_implILb0ES3_S5_N6thrust23THRUST_200600_302600_NS6detail15normal_iteratorINS8_7pointerIiNS8_11hip_rocprim3tagENS8_11use_defaultESE_EEEESG_ZNS1_13binary_searchIS3_S5_NSA_INSB_IiSD_NS8_16tagged_referenceIiSD_EESE_EEEESG_SG_NS1_16binary_search_opENS9_16wrapped_functionINS8_7greaterIiEEbEEEE10hipError_tPvRmT1_T2_T3_mmT4_T5_P12ihipStream_tbEUlRKiE_EESR_SV_SW_mSX_S10_bEUlT_E_NS1_11comp_targetILNS1_3genE10ELNS1_11target_archE1201ELNS1_3gpuE5ELNS1_3repE0EEENS1_30default_config_static_selectorELNS0_4arch9wavefront6targetE0EEEvSU_.has_recursion, 0
	.set _ZN7rocprim17ROCPRIM_400000_NS6detail17trampoline_kernelINS0_14default_configENS1_29binary_search_config_selectorIiiEEZNS1_14transform_implILb0ES3_S5_N6thrust23THRUST_200600_302600_NS6detail15normal_iteratorINS8_7pointerIiNS8_11hip_rocprim3tagENS8_11use_defaultESE_EEEESG_ZNS1_13binary_searchIS3_S5_NSA_INSB_IiSD_NS8_16tagged_referenceIiSD_EESE_EEEESG_SG_NS1_16binary_search_opENS9_16wrapped_functionINS8_7greaterIiEEbEEEE10hipError_tPvRmT1_T2_T3_mmT4_T5_P12ihipStream_tbEUlRKiE_EESR_SV_SW_mSX_S10_bEUlT_E_NS1_11comp_targetILNS1_3genE10ELNS1_11target_archE1201ELNS1_3gpuE5ELNS1_3repE0EEENS1_30default_config_static_selectorELNS0_4arch9wavefront6targetE0EEEvSU_.has_indirect_call, 0
	.section	.AMDGPU.csdata,"",@progbits
; Kernel info:
; codeLenInByte = 0
; TotalNumSgprs: 0
; NumVgprs: 0
; ScratchSize: 0
; MemoryBound: 0
; FloatMode: 240
; IeeeMode: 1
; LDSByteSize: 0 bytes/workgroup (compile time only)
; SGPRBlocks: 0
; VGPRBlocks: 0
; NumSGPRsForWavesPerEU: 1
; NumVGPRsForWavesPerEU: 1
; NamedBarCnt: 0
; Occupancy: 16
; WaveLimiterHint : 0
; COMPUTE_PGM_RSRC2:SCRATCH_EN: 0
; COMPUTE_PGM_RSRC2:USER_SGPR: 2
; COMPUTE_PGM_RSRC2:TRAP_HANDLER: 0
; COMPUTE_PGM_RSRC2:TGID_X_EN: 1
; COMPUTE_PGM_RSRC2:TGID_Y_EN: 0
; COMPUTE_PGM_RSRC2:TGID_Z_EN: 0
; COMPUTE_PGM_RSRC2:TIDIG_COMP_CNT: 0
	.section	.text._ZN7rocprim17ROCPRIM_400000_NS6detail17trampoline_kernelINS0_14default_configENS1_29binary_search_config_selectorIiiEEZNS1_14transform_implILb0ES3_S5_N6thrust23THRUST_200600_302600_NS6detail15normal_iteratorINS8_7pointerIiNS8_11hip_rocprim3tagENS8_11use_defaultESE_EEEESG_ZNS1_13binary_searchIS3_S5_NSA_INSB_IiSD_NS8_16tagged_referenceIiSD_EESE_EEEESG_SG_NS1_16binary_search_opENS9_16wrapped_functionINS8_7greaterIiEEbEEEE10hipError_tPvRmT1_T2_T3_mmT4_T5_P12ihipStream_tbEUlRKiE_EESR_SV_SW_mSX_S10_bEUlT_E_NS1_11comp_targetILNS1_3genE10ELNS1_11target_archE1200ELNS1_3gpuE4ELNS1_3repE0EEENS1_30default_config_static_selectorELNS0_4arch9wavefront6targetE0EEEvSU_,"axG",@progbits,_ZN7rocprim17ROCPRIM_400000_NS6detail17trampoline_kernelINS0_14default_configENS1_29binary_search_config_selectorIiiEEZNS1_14transform_implILb0ES3_S5_N6thrust23THRUST_200600_302600_NS6detail15normal_iteratorINS8_7pointerIiNS8_11hip_rocprim3tagENS8_11use_defaultESE_EEEESG_ZNS1_13binary_searchIS3_S5_NSA_INSB_IiSD_NS8_16tagged_referenceIiSD_EESE_EEEESG_SG_NS1_16binary_search_opENS9_16wrapped_functionINS8_7greaterIiEEbEEEE10hipError_tPvRmT1_T2_T3_mmT4_T5_P12ihipStream_tbEUlRKiE_EESR_SV_SW_mSX_S10_bEUlT_E_NS1_11comp_targetILNS1_3genE10ELNS1_11target_archE1200ELNS1_3gpuE4ELNS1_3repE0EEENS1_30default_config_static_selectorELNS0_4arch9wavefront6targetE0EEEvSU_,comdat
	.protected	_ZN7rocprim17ROCPRIM_400000_NS6detail17trampoline_kernelINS0_14default_configENS1_29binary_search_config_selectorIiiEEZNS1_14transform_implILb0ES3_S5_N6thrust23THRUST_200600_302600_NS6detail15normal_iteratorINS8_7pointerIiNS8_11hip_rocprim3tagENS8_11use_defaultESE_EEEESG_ZNS1_13binary_searchIS3_S5_NSA_INSB_IiSD_NS8_16tagged_referenceIiSD_EESE_EEEESG_SG_NS1_16binary_search_opENS9_16wrapped_functionINS8_7greaterIiEEbEEEE10hipError_tPvRmT1_T2_T3_mmT4_T5_P12ihipStream_tbEUlRKiE_EESR_SV_SW_mSX_S10_bEUlT_E_NS1_11comp_targetILNS1_3genE10ELNS1_11target_archE1200ELNS1_3gpuE4ELNS1_3repE0EEENS1_30default_config_static_selectorELNS0_4arch9wavefront6targetE0EEEvSU_ ; -- Begin function _ZN7rocprim17ROCPRIM_400000_NS6detail17trampoline_kernelINS0_14default_configENS1_29binary_search_config_selectorIiiEEZNS1_14transform_implILb0ES3_S5_N6thrust23THRUST_200600_302600_NS6detail15normal_iteratorINS8_7pointerIiNS8_11hip_rocprim3tagENS8_11use_defaultESE_EEEESG_ZNS1_13binary_searchIS3_S5_NSA_INSB_IiSD_NS8_16tagged_referenceIiSD_EESE_EEEESG_SG_NS1_16binary_search_opENS9_16wrapped_functionINS8_7greaterIiEEbEEEE10hipError_tPvRmT1_T2_T3_mmT4_T5_P12ihipStream_tbEUlRKiE_EESR_SV_SW_mSX_S10_bEUlT_E_NS1_11comp_targetILNS1_3genE10ELNS1_11target_archE1200ELNS1_3gpuE4ELNS1_3repE0EEENS1_30default_config_static_selectorELNS0_4arch9wavefront6targetE0EEEvSU_
	.globl	_ZN7rocprim17ROCPRIM_400000_NS6detail17trampoline_kernelINS0_14default_configENS1_29binary_search_config_selectorIiiEEZNS1_14transform_implILb0ES3_S5_N6thrust23THRUST_200600_302600_NS6detail15normal_iteratorINS8_7pointerIiNS8_11hip_rocprim3tagENS8_11use_defaultESE_EEEESG_ZNS1_13binary_searchIS3_S5_NSA_INSB_IiSD_NS8_16tagged_referenceIiSD_EESE_EEEESG_SG_NS1_16binary_search_opENS9_16wrapped_functionINS8_7greaterIiEEbEEEE10hipError_tPvRmT1_T2_T3_mmT4_T5_P12ihipStream_tbEUlRKiE_EESR_SV_SW_mSX_S10_bEUlT_E_NS1_11comp_targetILNS1_3genE10ELNS1_11target_archE1200ELNS1_3gpuE4ELNS1_3repE0EEENS1_30default_config_static_selectorELNS0_4arch9wavefront6targetE0EEEvSU_
	.p2align	8
	.type	_ZN7rocprim17ROCPRIM_400000_NS6detail17trampoline_kernelINS0_14default_configENS1_29binary_search_config_selectorIiiEEZNS1_14transform_implILb0ES3_S5_N6thrust23THRUST_200600_302600_NS6detail15normal_iteratorINS8_7pointerIiNS8_11hip_rocprim3tagENS8_11use_defaultESE_EEEESG_ZNS1_13binary_searchIS3_S5_NSA_INSB_IiSD_NS8_16tagged_referenceIiSD_EESE_EEEESG_SG_NS1_16binary_search_opENS9_16wrapped_functionINS8_7greaterIiEEbEEEE10hipError_tPvRmT1_T2_T3_mmT4_T5_P12ihipStream_tbEUlRKiE_EESR_SV_SW_mSX_S10_bEUlT_E_NS1_11comp_targetILNS1_3genE10ELNS1_11target_archE1200ELNS1_3gpuE4ELNS1_3repE0EEENS1_30default_config_static_selectorELNS0_4arch9wavefront6targetE0EEEvSU_,@function
_ZN7rocprim17ROCPRIM_400000_NS6detail17trampoline_kernelINS0_14default_configENS1_29binary_search_config_selectorIiiEEZNS1_14transform_implILb0ES3_S5_N6thrust23THRUST_200600_302600_NS6detail15normal_iteratorINS8_7pointerIiNS8_11hip_rocprim3tagENS8_11use_defaultESE_EEEESG_ZNS1_13binary_searchIS3_S5_NSA_INSB_IiSD_NS8_16tagged_referenceIiSD_EESE_EEEESG_SG_NS1_16binary_search_opENS9_16wrapped_functionINS8_7greaterIiEEbEEEE10hipError_tPvRmT1_T2_T3_mmT4_T5_P12ihipStream_tbEUlRKiE_EESR_SV_SW_mSX_S10_bEUlT_E_NS1_11comp_targetILNS1_3genE10ELNS1_11target_archE1200ELNS1_3gpuE4ELNS1_3repE0EEENS1_30default_config_static_selectorELNS0_4arch9wavefront6targetE0EEEvSU_: ; @_ZN7rocprim17ROCPRIM_400000_NS6detail17trampoline_kernelINS0_14default_configENS1_29binary_search_config_selectorIiiEEZNS1_14transform_implILb0ES3_S5_N6thrust23THRUST_200600_302600_NS6detail15normal_iteratorINS8_7pointerIiNS8_11hip_rocprim3tagENS8_11use_defaultESE_EEEESG_ZNS1_13binary_searchIS3_S5_NSA_INSB_IiSD_NS8_16tagged_referenceIiSD_EESE_EEEESG_SG_NS1_16binary_search_opENS9_16wrapped_functionINS8_7greaterIiEEbEEEE10hipError_tPvRmT1_T2_T3_mmT4_T5_P12ihipStream_tbEUlRKiE_EESR_SV_SW_mSX_S10_bEUlT_E_NS1_11comp_targetILNS1_3genE10ELNS1_11target_archE1200ELNS1_3gpuE4ELNS1_3repE0EEENS1_30default_config_static_selectorELNS0_4arch9wavefront6targetE0EEEvSU_
; %bb.0:
	.section	.rodata,"a",@progbits
	.p2align	6, 0x0
	.amdhsa_kernel _ZN7rocprim17ROCPRIM_400000_NS6detail17trampoline_kernelINS0_14default_configENS1_29binary_search_config_selectorIiiEEZNS1_14transform_implILb0ES3_S5_N6thrust23THRUST_200600_302600_NS6detail15normal_iteratorINS8_7pointerIiNS8_11hip_rocprim3tagENS8_11use_defaultESE_EEEESG_ZNS1_13binary_searchIS3_S5_NSA_INSB_IiSD_NS8_16tagged_referenceIiSD_EESE_EEEESG_SG_NS1_16binary_search_opENS9_16wrapped_functionINS8_7greaterIiEEbEEEE10hipError_tPvRmT1_T2_T3_mmT4_T5_P12ihipStream_tbEUlRKiE_EESR_SV_SW_mSX_S10_bEUlT_E_NS1_11comp_targetILNS1_3genE10ELNS1_11target_archE1200ELNS1_3gpuE4ELNS1_3repE0EEENS1_30default_config_static_selectorELNS0_4arch9wavefront6targetE0EEEvSU_
		.amdhsa_group_segment_fixed_size 0
		.amdhsa_private_segment_fixed_size 0
		.amdhsa_kernarg_size 56
		.amdhsa_user_sgpr_count 2
		.amdhsa_user_sgpr_dispatch_ptr 0
		.amdhsa_user_sgpr_queue_ptr 0
		.amdhsa_user_sgpr_kernarg_segment_ptr 1
		.amdhsa_user_sgpr_dispatch_id 0
		.amdhsa_user_sgpr_kernarg_preload_length 0
		.amdhsa_user_sgpr_kernarg_preload_offset 0
		.amdhsa_user_sgpr_private_segment_size 0
		.amdhsa_wavefront_size32 1
		.amdhsa_uses_dynamic_stack 0
		.amdhsa_enable_private_segment 0
		.amdhsa_system_sgpr_workgroup_id_x 1
		.amdhsa_system_sgpr_workgroup_id_y 0
		.amdhsa_system_sgpr_workgroup_id_z 0
		.amdhsa_system_sgpr_workgroup_info 0
		.amdhsa_system_vgpr_workitem_id 0
		.amdhsa_next_free_vgpr 1
		.amdhsa_next_free_sgpr 1
		.amdhsa_named_barrier_count 0
		.amdhsa_reserve_vcc 0
		.amdhsa_float_round_mode_32 0
		.amdhsa_float_round_mode_16_64 0
		.amdhsa_float_denorm_mode_32 3
		.amdhsa_float_denorm_mode_16_64 3
		.amdhsa_fp16_overflow 0
		.amdhsa_memory_ordered 1
		.amdhsa_forward_progress 1
		.amdhsa_inst_pref_size 0
		.amdhsa_round_robin_scheduling 0
		.amdhsa_exception_fp_ieee_invalid_op 0
		.amdhsa_exception_fp_denorm_src 0
		.amdhsa_exception_fp_ieee_div_zero 0
		.amdhsa_exception_fp_ieee_overflow 0
		.amdhsa_exception_fp_ieee_underflow 0
		.amdhsa_exception_fp_ieee_inexact 0
		.amdhsa_exception_int_div_zero 0
	.end_amdhsa_kernel
	.section	.text._ZN7rocprim17ROCPRIM_400000_NS6detail17trampoline_kernelINS0_14default_configENS1_29binary_search_config_selectorIiiEEZNS1_14transform_implILb0ES3_S5_N6thrust23THRUST_200600_302600_NS6detail15normal_iteratorINS8_7pointerIiNS8_11hip_rocprim3tagENS8_11use_defaultESE_EEEESG_ZNS1_13binary_searchIS3_S5_NSA_INSB_IiSD_NS8_16tagged_referenceIiSD_EESE_EEEESG_SG_NS1_16binary_search_opENS9_16wrapped_functionINS8_7greaterIiEEbEEEE10hipError_tPvRmT1_T2_T3_mmT4_T5_P12ihipStream_tbEUlRKiE_EESR_SV_SW_mSX_S10_bEUlT_E_NS1_11comp_targetILNS1_3genE10ELNS1_11target_archE1200ELNS1_3gpuE4ELNS1_3repE0EEENS1_30default_config_static_selectorELNS0_4arch9wavefront6targetE0EEEvSU_,"axG",@progbits,_ZN7rocprim17ROCPRIM_400000_NS6detail17trampoline_kernelINS0_14default_configENS1_29binary_search_config_selectorIiiEEZNS1_14transform_implILb0ES3_S5_N6thrust23THRUST_200600_302600_NS6detail15normal_iteratorINS8_7pointerIiNS8_11hip_rocprim3tagENS8_11use_defaultESE_EEEESG_ZNS1_13binary_searchIS3_S5_NSA_INSB_IiSD_NS8_16tagged_referenceIiSD_EESE_EEEESG_SG_NS1_16binary_search_opENS9_16wrapped_functionINS8_7greaterIiEEbEEEE10hipError_tPvRmT1_T2_T3_mmT4_T5_P12ihipStream_tbEUlRKiE_EESR_SV_SW_mSX_S10_bEUlT_E_NS1_11comp_targetILNS1_3genE10ELNS1_11target_archE1200ELNS1_3gpuE4ELNS1_3repE0EEENS1_30default_config_static_selectorELNS0_4arch9wavefront6targetE0EEEvSU_,comdat
.Lfunc_end191:
	.size	_ZN7rocprim17ROCPRIM_400000_NS6detail17trampoline_kernelINS0_14default_configENS1_29binary_search_config_selectorIiiEEZNS1_14transform_implILb0ES3_S5_N6thrust23THRUST_200600_302600_NS6detail15normal_iteratorINS8_7pointerIiNS8_11hip_rocprim3tagENS8_11use_defaultESE_EEEESG_ZNS1_13binary_searchIS3_S5_NSA_INSB_IiSD_NS8_16tagged_referenceIiSD_EESE_EEEESG_SG_NS1_16binary_search_opENS9_16wrapped_functionINS8_7greaterIiEEbEEEE10hipError_tPvRmT1_T2_T3_mmT4_T5_P12ihipStream_tbEUlRKiE_EESR_SV_SW_mSX_S10_bEUlT_E_NS1_11comp_targetILNS1_3genE10ELNS1_11target_archE1200ELNS1_3gpuE4ELNS1_3repE0EEENS1_30default_config_static_selectorELNS0_4arch9wavefront6targetE0EEEvSU_, .Lfunc_end191-_ZN7rocprim17ROCPRIM_400000_NS6detail17trampoline_kernelINS0_14default_configENS1_29binary_search_config_selectorIiiEEZNS1_14transform_implILb0ES3_S5_N6thrust23THRUST_200600_302600_NS6detail15normal_iteratorINS8_7pointerIiNS8_11hip_rocprim3tagENS8_11use_defaultESE_EEEESG_ZNS1_13binary_searchIS3_S5_NSA_INSB_IiSD_NS8_16tagged_referenceIiSD_EESE_EEEESG_SG_NS1_16binary_search_opENS9_16wrapped_functionINS8_7greaterIiEEbEEEE10hipError_tPvRmT1_T2_T3_mmT4_T5_P12ihipStream_tbEUlRKiE_EESR_SV_SW_mSX_S10_bEUlT_E_NS1_11comp_targetILNS1_3genE10ELNS1_11target_archE1200ELNS1_3gpuE4ELNS1_3repE0EEENS1_30default_config_static_selectorELNS0_4arch9wavefront6targetE0EEEvSU_
                                        ; -- End function
	.set _ZN7rocprim17ROCPRIM_400000_NS6detail17trampoline_kernelINS0_14default_configENS1_29binary_search_config_selectorIiiEEZNS1_14transform_implILb0ES3_S5_N6thrust23THRUST_200600_302600_NS6detail15normal_iteratorINS8_7pointerIiNS8_11hip_rocprim3tagENS8_11use_defaultESE_EEEESG_ZNS1_13binary_searchIS3_S5_NSA_INSB_IiSD_NS8_16tagged_referenceIiSD_EESE_EEEESG_SG_NS1_16binary_search_opENS9_16wrapped_functionINS8_7greaterIiEEbEEEE10hipError_tPvRmT1_T2_T3_mmT4_T5_P12ihipStream_tbEUlRKiE_EESR_SV_SW_mSX_S10_bEUlT_E_NS1_11comp_targetILNS1_3genE10ELNS1_11target_archE1200ELNS1_3gpuE4ELNS1_3repE0EEENS1_30default_config_static_selectorELNS0_4arch9wavefront6targetE0EEEvSU_.num_vgpr, 0
	.set _ZN7rocprim17ROCPRIM_400000_NS6detail17trampoline_kernelINS0_14default_configENS1_29binary_search_config_selectorIiiEEZNS1_14transform_implILb0ES3_S5_N6thrust23THRUST_200600_302600_NS6detail15normal_iteratorINS8_7pointerIiNS8_11hip_rocprim3tagENS8_11use_defaultESE_EEEESG_ZNS1_13binary_searchIS3_S5_NSA_INSB_IiSD_NS8_16tagged_referenceIiSD_EESE_EEEESG_SG_NS1_16binary_search_opENS9_16wrapped_functionINS8_7greaterIiEEbEEEE10hipError_tPvRmT1_T2_T3_mmT4_T5_P12ihipStream_tbEUlRKiE_EESR_SV_SW_mSX_S10_bEUlT_E_NS1_11comp_targetILNS1_3genE10ELNS1_11target_archE1200ELNS1_3gpuE4ELNS1_3repE0EEENS1_30default_config_static_selectorELNS0_4arch9wavefront6targetE0EEEvSU_.num_agpr, 0
	.set _ZN7rocprim17ROCPRIM_400000_NS6detail17trampoline_kernelINS0_14default_configENS1_29binary_search_config_selectorIiiEEZNS1_14transform_implILb0ES3_S5_N6thrust23THRUST_200600_302600_NS6detail15normal_iteratorINS8_7pointerIiNS8_11hip_rocprim3tagENS8_11use_defaultESE_EEEESG_ZNS1_13binary_searchIS3_S5_NSA_INSB_IiSD_NS8_16tagged_referenceIiSD_EESE_EEEESG_SG_NS1_16binary_search_opENS9_16wrapped_functionINS8_7greaterIiEEbEEEE10hipError_tPvRmT1_T2_T3_mmT4_T5_P12ihipStream_tbEUlRKiE_EESR_SV_SW_mSX_S10_bEUlT_E_NS1_11comp_targetILNS1_3genE10ELNS1_11target_archE1200ELNS1_3gpuE4ELNS1_3repE0EEENS1_30default_config_static_selectorELNS0_4arch9wavefront6targetE0EEEvSU_.numbered_sgpr, 0
	.set _ZN7rocprim17ROCPRIM_400000_NS6detail17trampoline_kernelINS0_14default_configENS1_29binary_search_config_selectorIiiEEZNS1_14transform_implILb0ES3_S5_N6thrust23THRUST_200600_302600_NS6detail15normal_iteratorINS8_7pointerIiNS8_11hip_rocprim3tagENS8_11use_defaultESE_EEEESG_ZNS1_13binary_searchIS3_S5_NSA_INSB_IiSD_NS8_16tagged_referenceIiSD_EESE_EEEESG_SG_NS1_16binary_search_opENS9_16wrapped_functionINS8_7greaterIiEEbEEEE10hipError_tPvRmT1_T2_T3_mmT4_T5_P12ihipStream_tbEUlRKiE_EESR_SV_SW_mSX_S10_bEUlT_E_NS1_11comp_targetILNS1_3genE10ELNS1_11target_archE1200ELNS1_3gpuE4ELNS1_3repE0EEENS1_30default_config_static_selectorELNS0_4arch9wavefront6targetE0EEEvSU_.num_named_barrier, 0
	.set _ZN7rocprim17ROCPRIM_400000_NS6detail17trampoline_kernelINS0_14default_configENS1_29binary_search_config_selectorIiiEEZNS1_14transform_implILb0ES3_S5_N6thrust23THRUST_200600_302600_NS6detail15normal_iteratorINS8_7pointerIiNS8_11hip_rocprim3tagENS8_11use_defaultESE_EEEESG_ZNS1_13binary_searchIS3_S5_NSA_INSB_IiSD_NS8_16tagged_referenceIiSD_EESE_EEEESG_SG_NS1_16binary_search_opENS9_16wrapped_functionINS8_7greaterIiEEbEEEE10hipError_tPvRmT1_T2_T3_mmT4_T5_P12ihipStream_tbEUlRKiE_EESR_SV_SW_mSX_S10_bEUlT_E_NS1_11comp_targetILNS1_3genE10ELNS1_11target_archE1200ELNS1_3gpuE4ELNS1_3repE0EEENS1_30default_config_static_selectorELNS0_4arch9wavefront6targetE0EEEvSU_.private_seg_size, 0
	.set _ZN7rocprim17ROCPRIM_400000_NS6detail17trampoline_kernelINS0_14default_configENS1_29binary_search_config_selectorIiiEEZNS1_14transform_implILb0ES3_S5_N6thrust23THRUST_200600_302600_NS6detail15normal_iteratorINS8_7pointerIiNS8_11hip_rocprim3tagENS8_11use_defaultESE_EEEESG_ZNS1_13binary_searchIS3_S5_NSA_INSB_IiSD_NS8_16tagged_referenceIiSD_EESE_EEEESG_SG_NS1_16binary_search_opENS9_16wrapped_functionINS8_7greaterIiEEbEEEE10hipError_tPvRmT1_T2_T3_mmT4_T5_P12ihipStream_tbEUlRKiE_EESR_SV_SW_mSX_S10_bEUlT_E_NS1_11comp_targetILNS1_3genE10ELNS1_11target_archE1200ELNS1_3gpuE4ELNS1_3repE0EEENS1_30default_config_static_selectorELNS0_4arch9wavefront6targetE0EEEvSU_.uses_vcc, 0
	.set _ZN7rocprim17ROCPRIM_400000_NS6detail17trampoline_kernelINS0_14default_configENS1_29binary_search_config_selectorIiiEEZNS1_14transform_implILb0ES3_S5_N6thrust23THRUST_200600_302600_NS6detail15normal_iteratorINS8_7pointerIiNS8_11hip_rocprim3tagENS8_11use_defaultESE_EEEESG_ZNS1_13binary_searchIS3_S5_NSA_INSB_IiSD_NS8_16tagged_referenceIiSD_EESE_EEEESG_SG_NS1_16binary_search_opENS9_16wrapped_functionINS8_7greaterIiEEbEEEE10hipError_tPvRmT1_T2_T3_mmT4_T5_P12ihipStream_tbEUlRKiE_EESR_SV_SW_mSX_S10_bEUlT_E_NS1_11comp_targetILNS1_3genE10ELNS1_11target_archE1200ELNS1_3gpuE4ELNS1_3repE0EEENS1_30default_config_static_selectorELNS0_4arch9wavefront6targetE0EEEvSU_.uses_flat_scratch, 0
	.set _ZN7rocprim17ROCPRIM_400000_NS6detail17trampoline_kernelINS0_14default_configENS1_29binary_search_config_selectorIiiEEZNS1_14transform_implILb0ES3_S5_N6thrust23THRUST_200600_302600_NS6detail15normal_iteratorINS8_7pointerIiNS8_11hip_rocprim3tagENS8_11use_defaultESE_EEEESG_ZNS1_13binary_searchIS3_S5_NSA_INSB_IiSD_NS8_16tagged_referenceIiSD_EESE_EEEESG_SG_NS1_16binary_search_opENS9_16wrapped_functionINS8_7greaterIiEEbEEEE10hipError_tPvRmT1_T2_T3_mmT4_T5_P12ihipStream_tbEUlRKiE_EESR_SV_SW_mSX_S10_bEUlT_E_NS1_11comp_targetILNS1_3genE10ELNS1_11target_archE1200ELNS1_3gpuE4ELNS1_3repE0EEENS1_30default_config_static_selectorELNS0_4arch9wavefront6targetE0EEEvSU_.has_dyn_sized_stack, 0
	.set _ZN7rocprim17ROCPRIM_400000_NS6detail17trampoline_kernelINS0_14default_configENS1_29binary_search_config_selectorIiiEEZNS1_14transform_implILb0ES3_S5_N6thrust23THRUST_200600_302600_NS6detail15normal_iteratorINS8_7pointerIiNS8_11hip_rocprim3tagENS8_11use_defaultESE_EEEESG_ZNS1_13binary_searchIS3_S5_NSA_INSB_IiSD_NS8_16tagged_referenceIiSD_EESE_EEEESG_SG_NS1_16binary_search_opENS9_16wrapped_functionINS8_7greaterIiEEbEEEE10hipError_tPvRmT1_T2_T3_mmT4_T5_P12ihipStream_tbEUlRKiE_EESR_SV_SW_mSX_S10_bEUlT_E_NS1_11comp_targetILNS1_3genE10ELNS1_11target_archE1200ELNS1_3gpuE4ELNS1_3repE0EEENS1_30default_config_static_selectorELNS0_4arch9wavefront6targetE0EEEvSU_.has_recursion, 0
	.set _ZN7rocprim17ROCPRIM_400000_NS6detail17trampoline_kernelINS0_14default_configENS1_29binary_search_config_selectorIiiEEZNS1_14transform_implILb0ES3_S5_N6thrust23THRUST_200600_302600_NS6detail15normal_iteratorINS8_7pointerIiNS8_11hip_rocprim3tagENS8_11use_defaultESE_EEEESG_ZNS1_13binary_searchIS3_S5_NSA_INSB_IiSD_NS8_16tagged_referenceIiSD_EESE_EEEESG_SG_NS1_16binary_search_opENS9_16wrapped_functionINS8_7greaterIiEEbEEEE10hipError_tPvRmT1_T2_T3_mmT4_T5_P12ihipStream_tbEUlRKiE_EESR_SV_SW_mSX_S10_bEUlT_E_NS1_11comp_targetILNS1_3genE10ELNS1_11target_archE1200ELNS1_3gpuE4ELNS1_3repE0EEENS1_30default_config_static_selectorELNS0_4arch9wavefront6targetE0EEEvSU_.has_indirect_call, 0
	.section	.AMDGPU.csdata,"",@progbits
; Kernel info:
; codeLenInByte = 0
; TotalNumSgprs: 0
; NumVgprs: 0
; ScratchSize: 0
; MemoryBound: 0
; FloatMode: 240
; IeeeMode: 1
; LDSByteSize: 0 bytes/workgroup (compile time only)
; SGPRBlocks: 0
; VGPRBlocks: 0
; NumSGPRsForWavesPerEU: 1
; NumVGPRsForWavesPerEU: 1
; NamedBarCnt: 0
; Occupancy: 16
; WaveLimiterHint : 0
; COMPUTE_PGM_RSRC2:SCRATCH_EN: 0
; COMPUTE_PGM_RSRC2:USER_SGPR: 2
; COMPUTE_PGM_RSRC2:TRAP_HANDLER: 0
; COMPUTE_PGM_RSRC2:TGID_X_EN: 1
; COMPUTE_PGM_RSRC2:TGID_Y_EN: 0
; COMPUTE_PGM_RSRC2:TGID_Z_EN: 0
; COMPUTE_PGM_RSRC2:TIDIG_COMP_CNT: 0
	.section	.text._ZN7rocprim17ROCPRIM_400000_NS6detail17trampoline_kernelINS0_14default_configENS1_29binary_search_config_selectorIiiEEZNS1_14transform_implILb0ES3_S5_N6thrust23THRUST_200600_302600_NS6detail15normal_iteratorINS8_7pointerIiNS8_11hip_rocprim3tagENS8_11use_defaultESE_EEEESG_ZNS1_13binary_searchIS3_S5_NSA_INSB_IiSD_NS8_16tagged_referenceIiSD_EESE_EEEESG_SG_NS1_16binary_search_opENS9_16wrapped_functionINS8_7greaterIiEEbEEEE10hipError_tPvRmT1_T2_T3_mmT4_T5_P12ihipStream_tbEUlRKiE_EESR_SV_SW_mSX_S10_bEUlT_E_NS1_11comp_targetILNS1_3genE9ELNS1_11target_archE1100ELNS1_3gpuE3ELNS1_3repE0EEENS1_30default_config_static_selectorELNS0_4arch9wavefront6targetE0EEEvSU_,"axG",@progbits,_ZN7rocprim17ROCPRIM_400000_NS6detail17trampoline_kernelINS0_14default_configENS1_29binary_search_config_selectorIiiEEZNS1_14transform_implILb0ES3_S5_N6thrust23THRUST_200600_302600_NS6detail15normal_iteratorINS8_7pointerIiNS8_11hip_rocprim3tagENS8_11use_defaultESE_EEEESG_ZNS1_13binary_searchIS3_S5_NSA_INSB_IiSD_NS8_16tagged_referenceIiSD_EESE_EEEESG_SG_NS1_16binary_search_opENS9_16wrapped_functionINS8_7greaterIiEEbEEEE10hipError_tPvRmT1_T2_T3_mmT4_T5_P12ihipStream_tbEUlRKiE_EESR_SV_SW_mSX_S10_bEUlT_E_NS1_11comp_targetILNS1_3genE9ELNS1_11target_archE1100ELNS1_3gpuE3ELNS1_3repE0EEENS1_30default_config_static_selectorELNS0_4arch9wavefront6targetE0EEEvSU_,comdat
	.protected	_ZN7rocprim17ROCPRIM_400000_NS6detail17trampoline_kernelINS0_14default_configENS1_29binary_search_config_selectorIiiEEZNS1_14transform_implILb0ES3_S5_N6thrust23THRUST_200600_302600_NS6detail15normal_iteratorINS8_7pointerIiNS8_11hip_rocprim3tagENS8_11use_defaultESE_EEEESG_ZNS1_13binary_searchIS3_S5_NSA_INSB_IiSD_NS8_16tagged_referenceIiSD_EESE_EEEESG_SG_NS1_16binary_search_opENS9_16wrapped_functionINS8_7greaterIiEEbEEEE10hipError_tPvRmT1_T2_T3_mmT4_T5_P12ihipStream_tbEUlRKiE_EESR_SV_SW_mSX_S10_bEUlT_E_NS1_11comp_targetILNS1_3genE9ELNS1_11target_archE1100ELNS1_3gpuE3ELNS1_3repE0EEENS1_30default_config_static_selectorELNS0_4arch9wavefront6targetE0EEEvSU_ ; -- Begin function _ZN7rocprim17ROCPRIM_400000_NS6detail17trampoline_kernelINS0_14default_configENS1_29binary_search_config_selectorIiiEEZNS1_14transform_implILb0ES3_S5_N6thrust23THRUST_200600_302600_NS6detail15normal_iteratorINS8_7pointerIiNS8_11hip_rocprim3tagENS8_11use_defaultESE_EEEESG_ZNS1_13binary_searchIS3_S5_NSA_INSB_IiSD_NS8_16tagged_referenceIiSD_EESE_EEEESG_SG_NS1_16binary_search_opENS9_16wrapped_functionINS8_7greaterIiEEbEEEE10hipError_tPvRmT1_T2_T3_mmT4_T5_P12ihipStream_tbEUlRKiE_EESR_SV_SW_mSX_S10_bEUlT_E_NS1_11comp_targetILNS1_3genE9ELNS1_11target_archE1100ELNS1_3gpuE3ELNS1_3repE0EEENS1_30default_config_static_selectorELNS0_4arch9wavefront6targetE0EEEvSU_
	.globl	_ZN7rocprim17ROCPRIM_400000_NS6detail17trampoline_kernelINS0_14default_configENS1_29binary_search_config_selectorIiiEEZNS1_14transform_implILb0ES3_S5_N6thrust23THRUST_200600_302600_NS6detail15normal_iteratorINS8_7pointerIiNS8_11hip_rocprim3tagENS8_11use_defaultESE_EEEESG_ZNS1_13binary_searchIS3_S5_NSA_INSB_IiSD_NS8_16tagged_referenceIiSD_EESE_EEEESG_SG_NS1_16binary_search_opENS9_16wrapped_functionINS8_7greaterIiEEbEEEE10hipError_tPvRmT1_T2_T3_mmT4_T5_P12ihipStream_tbEUlRKiE_EESR_SV_SW_mSX_S10_bEUlT_E_NS1_11comp_targetILNS1_3genE9ELNS1_11target_archE1100ELNS1_3gpuE3ELNS1_3repE0EEENS1_30default_config_static_selectorELNS0_4arch9wavefront6targetE0EEEvSU_
	.p2align	8
	.type	_ZN7rocprim17ROCPRIM_400000_NS6detail17trampoline_kernelINS0_14default_configENS1_29binary_search_config_selectorIiiEEZNS1_14transform_implILb0ES3_S5_N6thrust23THRUST_200600_302600_NS6detail15normal_iteratorINS8_7pointerIiNS8_11hip_rocprim3tagENS8_11use_defaultESE_EEEESG_ZNS1_13binary_searchIS3_S5_NSA_INSB_IiSD_NS8_16tagged_referenceIiSD_EESE_EEEESG_SG_NS1_16binary_search_opENS9_16wrapped_functionINS8_7greaterIiEEbEEEE10hipError_tPvRmT1_T2_T3_mmT4_T5_P12ihipStream_tbEUlRKiE_EESR_SV_SW_mSX_S10_bEUlT_E_NS1_11comp_targetILNS1_3genE9ELNS1_11target_archE1100ELNS1_3gpuE3ELNS1_3repE0EEENS1_30default_config_static_selectorELNS0_4arch9wavefront6targetE0EEEvSU_,@function
_ZN7rocprim17ROCPRIM_400000_NS6detail17trampoline_kernelINS0_14default_configENS1_29binary_search_config_selectorIiiEEZNS1_14transform_implILb0ES3_S5_N6thrust23THRUST_200600_302600_NS6detail15normal_iteratorINS8_7pointerIiNS8_11hip_rocprim3tagENS8_11use_defaultESE_EEEESG_ZNS1_13binary_searchIS3_S5_NSA_INSB_IiSD_NS8_16tagged_referenceIiSD_EESE_EEEESG_SG_NS1_16binary_search_opENS9_16wrapped_functionINS8_7greaterIiEEbEEEE10hipError_tPvRmT1_T2_T3_mmT4_T5_P12ihipStream_tbEUlRKiE_EESR_SV_SW_mSX_S10_bEUlT_E_NS1_11comp_targetILNS1_3genE9ELNS1_11target_archE1100ELNS1_3gpuE3ELNS1_3repE0EEENS1_30default_config_static_selectorELNS0_4arch9wavefront6targetE0EEEvSU_: ; @_ZN7rocprim17ROCPRIM_400000_NS6detail17trampoline_kernelINS0_14default_configENS1_29binary_search_config_selectorIiiEEZNS1_14transform_implILb0ES3_S5_N6thrust23THRUST_200600_302600_NS6detail15normal_iteratorINS8_7pointerIiNS8_11hip_rocprim3tagENS8_11use_defaultESE_EEEESG_ZNS1_13binary_searchIS3_S5_NSA_INSB_IiSD_NS8_16tagged_referenceIiSD_EESE_EEEESG_SG_NS1_16binary_search_opENS9_16wrapped_functionINS8_7greaterIiEEbEEEE10hipError_tPvRmT1_T2_T3_mmT4_T5_P12ihipStream_tbEUlRKiE_EESR_SV_SW_mSX_S10_bEUlT_E_NS1_11comp_targetILNS1_3genE9ELNS1_11target_archE1100ELNS1_3gpuE3ELNS1_3repE0EEENS1_30default_config_static_selectorELNS0_4arch9wavefront6targetE0EEEvSU_
; %bb.0:
	.section	.rodata,"a",@progbits
	.p2align	6, 0x0
	.amdhsa_kernel _ZN7rocprim17ROCPRIM_400000_NS6detail17trampoline_kernelINS0_14default_configENS1_29binary_search_config_selectorIiiEEZNS1_14transform_implILb0ES3_S5_N6thrust23THRUST_200600_302600_NS6detail15normal_iteratorINS8_7pointerIiNS8_11hip_rocprim3tagENS8_11use_defaultESE_EEEESG_ZNS1_13binary_searchIS3_S5_NSA_INSB_IiSD_NS8_16tagged_referenceIiSD_EESE_EEEESG_SG_NS1_16binary_search_opENS9_16wrapped_functionINS8_7greaterIiEEbEEEE10hipError_tPvRmT1_T2_T3_mmT4_T5_P12ihipStream_tbEUlRKiE_EESR_SV_SW_mSX_S10_bEUlT_E_NS1_11comp_targetILNS1_3genE9ELNS1_11target_archE1100ELNS1_3gpuE3ELNS1_3repE0EEENS1_30default_config_static_selectorELNS0_4arch9wavefront6targetE0EEEvSU_
		.amdhsa_group_segment_fixed_size 0
		.amdhsa_private_segment_fixed_size 0
		.amdhsa_kernarg_size 56
		.amdhsa_user_sgpr_count 2
		.amdhsa_user_sgpr_dispatch_ptr 0
		.amdhsa_user_sgpr_queue_ptr 0
		.amdhsa_user_sgpr_kernarg_segment_ptr 1
		.amdhsa_user_sgpr_dispatch_id 0
		.amdhsa_user_sgpr_kernarg_preload_length 0
		.amdhsa_user_sgpr_kernarg_preload_offset 0
		.amdhsa_user_sgpr_private_segment_size 0
		.amdhsa_wavefront_size32 1
		.amdhsa_uses_dynamic_stack 0
		.amdhsa_enable_private_segment 0
		.amdhsa_system_sgpr_workgroup_id_x 1
		.amdhsa_system_sgpr_workgroup_id_y 0
		.amdhsa_system_sgpr_workgroup_id_z 0
		.amdhsa_system_sgpr_workgroup_info 0
		.amdhsa_system_vgpr_workitem_id 0
		.amdhsa_next_free_vgpr 1
		.amdhsa_next_free_sgpr 1
		.amdhsa_named_barrier_count 0
		.amdhsa_reserve_vcc 0
		.amdhsa_float_round_mode_32 0
		.amdhsa_float_round_mode_16_64 0
		.amdhsa_float_denorm_mode_32 3
		.amdhsa_float_denorm_mode_16_64 3
		.amdhsa_fp16_overflow 0
		.amdhsa_memory_ordered 1
		.amdhsa_forward_progress 1
		.amdhsa_inst_pref_size 0
		.amdhsa_round_robin_scheduling 0
		.amdhsa_exception_fp_ieee_invalid_op 0
		.amdhsa_exception_fp_denorm_src 0
		.amdhsa_exception_fp_ieee_div_zero 0
		.amdhsa_exception_fp_ieee_overflow 0
		.amdhsa_exception_fp_ieee_underflow 0
		.amdhsa_exception_fp_ieee_inexact 0
		.amdhsa_exception_int_div_zero 0
	.end_amdhsa_kernel
	.section	.text._ZN7rocprim17ROCPRIM_400000_NS6detail17trampoline_kernelINS0_14default_configENS1_29binary_search_config_selectorIiiEEZNS1_14transform_implILb0ES3_S5_N6thrust23THRUST_200600_302600_NS6detail15normal_iteratorINS8_7pointerIiNS8_11hip_rocprim3tagENS8_11use_defaultESE_EEEESG_ZNS1_13binary_searchIS3_S5_NSA_INSB_IiSD_NS8_16tagged_referenceIiSD_EESE_EEEESG_SG_NS1_16binary_search_opENS9_16wrapped_functionINS8_7greaterIiEEbEEEE10hipError_tPvRmT1_T2_T3_mmT4_T5_P12ihipStream_tbEUlRKiE_EESR_SV_SW_mSX_S10_bEUlT_E_NS1_11comp_targetILNS1_3genE9ELNS1_11target_archE1100ELNS1_3gpuE3ELNS1_3repE0EEENS1_30default_config_static_selectorELNS0_4arch9wavefront6targetE0EEEvSU_,"axG",@progbits,_ZN7rocprim17ROCPRIM_400000_NS6detail17trampoline_kernelINS0_14default_configENS1_29binary_search_config_selectorIiiEEZNS1_14transform_implILb0ES3_S5_N6thrust23THRUST_200600_302600_NS6detail15normal_iteratorINS8_7pointerIiNS8_11hip_rocprim3tagENS8_11use_defaultESE_EEEESG_ZNS1_13binary_searchIS3_S5_NSA_INSB_IiSD_NS8_16tagged_referenceIiSD_EESE_EEEESG_SG_NS1_16binary_search_opENS9_16wrapped_functionINS8_7greaterIiEEbEEEE10hipError_tPvRmT1_T2_T3_mmT4_T5_P12ihipStream_tbEUlRKiE_EESR_SV_SW_mSX_S10_bEUlT_E_NS1_11comp_targetILNS1_3genE9ELNS1_11target_archE1100ELNS1_3gpuE3ELNS1_3repE0EEENS1_30default_config_static_selectorELNS0_4arch9wavefront6targetE0EEEvSU_,comdat
.Lfunc_end192:
	.size	_ZN7rocprim17ROCPRIM_400000_NS6detail17trampoline_kernelINS0_14default_configENS1_29binary_search_config_selectorIiiEEZNS1_14transform_implILb0ES3_S5_N6thrust23THRUST_200600_302600_NS6detail15normal_iteratorINS8_7pointerIiNS8_11hip_rocprim3tagENS8_11use_defaultESE_EEEESG_ZNS1_13binary_searchIS3_S5_NSA_INSB_IiSD_NS8_16tagged_referenceIiSD_EESE_EEEESG_SG_NS1_16binary_search_opENS9_16wrapped_functionINS8_7greaterIiEEbEEEE10hipError_tPvRmT1_T2_T3_mmT4_T5_P12ihipStream_tbEUlRKiE_EESR_SV_SW_mSX_S10_bEUlT_E_NS1_11comp_targetILNS1_3genE9ELNS1_11target_archE1100ELNS1_3gpuE3ELNS1_3repE0EEENS1_30default_config_static_selectorELNS0_4arch9wavefront6targetE0EEEvSU_, .Lfunc_end192-_ZN7rocprim17ROCPRIM_400000_NS6detail17trampoline_kernelINS0_14default_configENS1_29binary_search_config_selectorIiiEEZNS1_14transform_implILb0ES3_S5_N6thrust23THRUST_200600_302600_NS6detail15normal_iteratorINS8_7pointerIiNS8_11hip_rocprim3tagENS8_11use_defaultESE_EEEESG_ZNS1_13binary_searchIS3_S5_NSA_INSB_IiSD_NS8_16tagged_referenceIiSD_EESE_EEEESG_SG_NS1_16binary_search_opENS9_16wrapped_functionINS8_7greaterIiEEbEEEE10hipError_tPvRmT1_T2_T3_mmT4_T5_P12ihipStream_tbEUlRKiE_EESR_SV_SW_mSX_S10_bEUlT_E_NS1_11comp_targetILNS1_3genE9ELNS1_11target_archE1100ELNS1_3gpuE3ELNS1_3repE0EEENS1_30default_config_static_selectorELNS0_4arch9wavefront6targetE0EEEvSU_
                                        ; -- End function
	.set _ZN7rocprim17ROCPRIM_400000_NS6detail17trampoline_kernelINS0_14default_configENS1_29binary_search_config_selectorIiiEEZNS1_14transform_implILb0ES3_S5_N6thrust23THRUST_200600_302600_NS6detail15normal_iteratorINS8_7pointerIiNS8_11hip_rocprim3tagENS8_11use_defaultESE_EEEESG_ZNS1_13binary_searchIS3_S5_NSA_INSB_IiSD_NS8_16tagged_referenceIiSD_EESE_EEEESG_SG_NS1_16binary_search_opENS9_16wrapped_functionINS8_7greaterIiEEbEEEE10hipError_tPvRmT1_T2_T3_mmT4_T5_P12ihipStream_tbEUlRKiE_EESR_SV_SW_mSX_S10_bEUlT_E_NS1_11comp_targetILNS1_3genE9ELNS1_11target_archE1100ELNS1_3gpuE3ELNS1_3repE0EEENS1_30default_config_static_selectorELNS0_4arch9wavefront6targetE0EEEvSU_.num_vgpr, 0
	.set _ZN7rocprim17ROCPRIM_400000_NS6detail17trampoline_kernelINS0_14default_configENS1_29binary_search_config_selectorIiiEEZNS1_14transform_implILb0ES3_S5_N6thrust23THRUST_200600_302600_NS6detail15normal_iteratorINS8_7pointerIiNS8_11hip_rocprim3tagENS8_11use_defaultESE_EEEESG_ZNS1_13binary_searchIS3_S5_NSA_INSB_IiSD_NS8_16tagged_referenceIiSD_EESE_EEEESG_SG_NS1_16binary_search_opENS9_16wrapped_functionINS8_7greaterIiEEbEEEE10hipError_tPvRmT1_T2_T3_mmT4_T5_P12ihipStream_tbEUlRKiE_EESR_SV_SW_mSX_S10_bEUlT_E_NS1_11comp_targetILNS1_3genE9ELNS1_11target_archE1100ELNS1_3gpuE3ELNS1_3repE0EEENS1_30default_config_static_selectorELNS0_4arch9wavefront6targetE0EEEvSU_.num_agpr, 0
	.set _ZN7rocprim17ROCPRIM_400000_NS6detail17trampoline_kernelINS0_14default_configENS1_29binary_search_config_selectorIiiEEZNS1_14transform_implILb0ES3_S5_N6thrust23THRUST_200600_302600_NS6detail15normal_iteratorINS8_7pointerIiNS8_11hip_rocprim3tagENS8_11use_defaultESE_EEEESG_ZNS1_13binary_searchIS3_S5_NSA_INSB_IiSD_NS8_16tagged_referenceIiSD_EESE_EEEESG_SG_NS1_16binary_search_opENS9_16wrapped_functionINS8_7greaterIiEEbEEEE10hipError_tPvRmT1_T2_T3_mmT4_T5_P12ihipStream_tbEUlRKiE_EESR_SV_SW_mSX_S10_bEUlT_E_NS1_11comp_targetILNS1_3genE9ELNS1_11target_archE1100ELNS1_3gpuE3ELNS1_3repE0EEENS1_30default_config_static_selectorELNS0_4arch9wavefront6targetE0EEEvSU_.numbered_sgpr, 0
	.set _ZN7rocprim17ROCPRIM_400000_NS6detail17trampoline_kernelINS0_14default_configENS1_29binary_search_config_selectorIiiEEZNS1_14transform_implILb0ES3_S5_N6thrust23THRUST_200600_302600_NS6detail15normal_iteratorINS8_7pointerIiNS8_11hip_rocprim3tagENS8_11use_defaultESE_EEEESG_ZNS1_13binary_searchIS3_S5_NSA_INSB_IiSD_NS8_16tagged_referenceIiSD_EESE_EEEESG_SG_NS1_16binary_search_opENS9_16wrapped_functionINS8_7greaterIiEEbEEEE10hipError_tPvRmT1_T2_T3_mmT4_T5_P12ihipStream_tbEUlRKiE_EESR_SV_SW_mSX_S10_bEUlT_E_NS1_11comp_targetILNS1_3genE9ELNS1_11target_archE1100ELNS1_3gpuE3ELNS1_3repE0EEENS1_30default_config_static_selectorELNS0_4arch9wavefront6targetE0EEEvSU_.num_named_barrier, 0
	.set _ZN7rocprim17ROCPRIM_400000_NS6detail17trampoline_kernelINS0_14default_configENS1_29binary_search_config_selectorIiiEEZNS1_14transform_implILb0ES3_S5_N6thrust23THRUST_200600_302600_NS6detail15normal_iteratorINS8_7pointerIiNS8_11hip_rocprim3tagENS8_11use_defaultESE_EEEESG_ZNS1_13binary_searchIS3_S5_NSA_INSB_IiSD_NS8_16tagged_referenceIiSD_EESE_EEEESG_SG_NS1_16binary_search_opENS9_16wrapped_functionINS8_7greaterIiEEbEEEE10hipError_tPvRmT1_T2_T3_mmT4_T5_P12ihipStream_tbEUlRKiE_EESR_SV_SW_mSX_S10_bEUlT_E_NS1_11comp_targetILNS1_3genE9ELNS1_11target_archE1100ELNS1_3gpuE3ELNS1_3repE0EEENS1_30default_config_static_selectorELNS0_4arch9wavefront6targetE0EEEvSU_.private_seg_size, 0
	.set _ZN7rocprim17ROCPRIM_400000_NS6detail17trampoline_kernelINS0_14default_configENS1_29binary_search_config_selectorIiiEEZNS1_14transform_implILb0ES3_S5_N6thrust23THRUST_200600_302600_NS6detail15normal_iteratorINS8_7pointerIiNS8_11hip_rocprim3tagENS8_11use_defaultESE_EEEESG_ZNS1_13binary_searchIS3_S5_NSA_INSB_IiSD_NS8_16tagged_referenceIiSD_EESE_EEEESG_SG_NS1_16binary_search_opENS9_16wrapped_functionINS8_7greaterIiEEbEEEE10hipError_tPvRmT1_T2_T3_mmT4_T5_P12ihipStream_tbEUlRKiE_EESR_SV_SW_mSX_S10_bEUlT_E_NS1_11comp_targetILNS1_3genE9ELNS1_11target_archE1100ELNS1_3gpuE3ELNS1_3repE0EEENS1_30default_config_static_selectorELNS0_4arch9wavefront6targetE0EEEvSU_.uses_vcc, 0
	.set _ZN7rocprim17ROCPRIM_400000_NS6detail17trampoline_kernelINS0_14default_configENS1_29binary_search_config_selectorIiiEEZNS1_14transform_implILb0ES3_S5_N6thrust23THRUST_200600_302600_NS6detail15normal_iteratorINS8_7pointerIiNS8_11hip_rocprim3tagENS8_11use_defaultESE_EEEESG_ZNS1_13binary_searchIS3_S5_NSA_INSB_IiSD_NS8_16tagged_referenceIiSD_EESE_EEEESG_SG_NS1_16binary_search_opENS9_16wrapped_functionINS8_7greaterIiEEbEEEE10hipError_tPvRmT1_T2_T3_mmT4_T5_P12ihipStream_tbEUlRKiE_EESR_SV_SW_mSX_S10_bEUlT_E_NS1_11comp_targetILNS1_3genE9ELNS1_11target_archE1100ELNS1_3gpuE3ELNS1_3repE0EEENS1_30default_config_static_selectorELNS0_4arch9wavefront6targetE0EEEvSU_.uses_flat_scratch, 0
	.set _ZN7rocprim17ROCPRIM_400000_NS6detail17trampoline_kernelINS0_14default_configENS1_29binary_search_config_selectorIiiEEZNS1_14transform_implILb0ES3_S5_N6thrust23THRUST_200600_302600_NS6detail15normal_iteratorINS8_7pointerIiNS8_11hip_rocprim3tagENS8_11use_defaultESE_EEEESG_ZNS1_13binary_searchIS3_S5_NSA_INSB_IiSD_NS8_16tagged_referenceIiSD_EESE_EEEESG_SG_NS1_16binary_search_opENS9_16wrapped_functionINS8_7greaterIiEEbEEEE10hipError_tPvRmT1_T2_T3_mmT4_T5_P12ihipStream_tbEUlRKiE_EESR_SV_SW_mSX_S10_bEUlT_E_NS1_11comp_targetILNS1_3genE9ELNS1_11target_archE1100ELNS1_3gpuE3ELNS1_3repE0EEENS1_30default_config_static_selectorELNS0_4arch9wavefront6targetE0EEEvSU_.has_dyn_sized_stack, 0
	.set _ZN7rocprim17ROCPRIM_400000_NS6detail17trampoline_kernelINS0_14default_configENS1_29binary_search_config_selectorIiiEEZNS1_14transform_implILb0ES3_S5_N6thrust23THRUST_200600_302600_NS6detail15normal_iteratorINS8_7pointerIiNS8_11hip_rocprim3tagENS8_11use_defaultESE_EEEESG_ZNS1_13binary_searchIS3_S5_NSA_INSB_IiSD_NS8_16tagged_referenceIiSD_EESE_EEEESG_SG_NS1_16binary_search_opENS9_16wrapped_functionINS8_7greaterIiEEbEEEE10hipError_tPvRmT1_T2_T3_mmT4_T5_P12ihipStream_tbEUlRKiE_EESR_SV_SW_mSX_S10_bEUlT_E_NS1_11comp_targetILNS1_3genE9ELNS1_11target_archE1100ELNS1_3gpuE3ELNS1_3repE0EEENS1_30default_config_static_selectorELNS0_4arch9wavefront6targetE0EEEvSU_.has_recursion, 0
	.set _ZN7rocprim17ROCPRIM_400000_NS6detail17trampoline_kernelINS0_14default_configENS1_29binary_search_config_selectorIiiEEZNS1_14transform_implILb0ES3_S5_N6thrust23THRUST_200600_302600_NS6detail15normal_iteratorINS8_7pointerIiNS8_11hip_rocprim3tagENS8_11use_defaultESE_EEEESG_ZNS1_13binary_searchIS3_S5_NSA_INSB_IiSD_NS8_16tagged_referenceIiSD_EESE_EEEESG_SG_NS1_16binary_search_opENS9_16wrapped_functionINS8_7greaterIiEEbEEEE10hipError_tPvRmT1_T2_T3_mmT4_T5_P12ihipStream_tbEUlRKiE_EESR_SV_SW_mSX_S10_bEUlT_E_NS1_11comp_targetILNS1_3genE9ELNS1_11target_archE1100ELNS1_3gpuE3ELNS1_3repE0EEENS1_30default_config_static_selectorELNS0_4arch9wavefront6targetE0EEEvSU_.has_indirect_call, 0
	.section	.AMDGPU.csdata,"",@progbits
; Kernel info:
; codeLenInByte = 0
; TotalNumSgprs: 0
; NumVgprs: 0
; ScratchSize: 0
; MemoryBound: 0
; FloatMode: 240
; IeeeMode: 1
; LDSByteSize: 0 bytes/workgroup (compile time only)
; SGPRBlocks: 0
; VGPRBlocks: 0
; NumSGPRsForWavesPerEU: 1
; NumVGPRsForWavesPerEU: 1
; NamedBarCnt: 0
; Occupancy: 16
; WaveLimiterHint : 0
; COMPUTE_PGM_RSRC2:SCRATCH_EN: 0
; COMPUTE_PGM_RSRC2:USER_SGPR: 2
; COMPUTE_PGM_RSRC2:TRAP_HANDLER: 0
; COMPUTE_PGM_RSRC2:TGID_X_EN: 1
; COMPUTE_PGM_RSRC2:TGID_Y_EN: 0
; COMPUTE_PGM_RSRC2:TGID_Z_EN: 0
; COMPUTE_PGM_RSRC2:TIDIG_COMP_CNT: 0
	.section	.text._ZN7rocprim17ROCPRIM_400000_NS6detail17trampoline_kernelINS0_14default_configENS1_29binary_search_config_selectorIiiEEZNS1_14transform_implILb0ES3_S5_N6thrust23THRUST_200600_302600_NS6detail15normal_iteratorINS8_7pointerIiNS8_11hip_rocprim3tagENS8_11use_defaultESE_EEEESG_ZNS1_13binary_searchIS3_S5_NSA_INSB_IiSD_NS8_16tagged_referenceIiSD_EESE_EEEESG_SG_NS1_16binary_search_opENS9_16wrapped_functionINS8_7greaterIiEEbEEEE10hipError_tPvRmT1_T2_T3_mmT4_T5_P12ihipStream_tbEUlRKiE_EESR_SV_SW_mSX_S10_bEUlT_E_NS1_11comp_targetILNS1_3genE8ELNS1_11target_archE1030ELNS1_3gpuE2ELNS1_3repE0EEENS1_30default_config_static_selectorELNS0_4arch9wavefront6targetE0EEEvSU_,"axG",@progbits,_ZN7rocprim17ROCPRIM_400000_NS6detail17trampoline_kernelINS0_14default_configENS1_29binary_search_config_selectorIiiEEZNS1_14transform_implILb0ES3_S5_N6thrust23THRUST_200600_302600_NS6detail15normal_iteratorINS8_7pointerIiNS8_11hip_rocprim3tagENS8_11use_defaultESE_EEEESG_ZNS1_13binary_searchIS3_S5_NSA_INSB_IiSD_NS8_16tagged_referenceIiSD_EESE_EEEESG_SG_NS1_16binary_search_opENS9_16wrapped_functionINS8_7greaterIiEEbEEEE10hipError_tPvRmT1_T2_T3_mmT4_T5_P12ihipStream_tbEUlRKiE_EESR_SV_SW_mSX_S10_bEUlT_E_NS1_11comp_targetILNS1_3genE8ELNS1_11target_archE1030ELNS1_3gpuE2ELNS1_3repE0EEENS1_30default_config_static_selectorELNS0_4arch9wavefront6targetE0EEEvSU_,comdat
	.protected	_ZN7rocprim17ROCPRIM_400000_NS6detail17trampoline_kernelINS0_14default_configENS1_29binary_search_config_selectorIiiEEZNS1_14transform_implILb0ES3_S5_N6thrust23THRUST_200600_302600_NS6detail15normal_iteratorINS8_7pointerIiNS8_11hip_rocprim3tagENS8_11use_defaultESE_EEEESG_ZNS1_13binary_searchIS3_S5_NSA_INSB_IiSD_NS8_16tagged_referenceIiSD_EESE_EEEESG_SG_NS1_16binary_search_opENS9_16wrapped_functionINS8_7greaterIiEEbEEEE10hipError_tPvRmT1_T2_T3_mmT4_T5_P12ihipStream_tbEUlRKiE_EESR_SV_SW_mSX_S10_bEUlT_E_NS1_11comp_targetILNS1_3genE8ELNS1_11target_archE1030ELNS1_3gpuE2ELNS1_3repE0EEENS1_30default_config_static_selectorELNS0_4arch9wavefront6targetE0EEEvSU_ ; -- Begin function _ZN7rocprim17ROCPRIM_400000_NS6detail17trampoline_kernelINS0_14default_configENS1_29binary_search_config_selectorIiiEEZNS1_14transform_implILb0ES3_S5_N6thrust23THRUST_200600_302600_NS6detail15normal_iteratorINS8_7pointerIiNS8_11hip_rocprim3tagENS8_11use_defaultESE_EEEESG_ZNS1_13binary_searchIS3_S5_NSA_INSB_IiSD_NS8_16tagged_referenceIiSD_EESE_EEEESG_SG_NS1_16binary_search_opENS9_16wrapped_functionINS8_7greaterIiEEbEEEE10hipError_tPvRmT1_T2_T3_mmT4_T5_P12ihipStream_tbEUlRKiE_EESR_SV_SW_mSX_S10_bEUlT_E_NS1_11comp_targetILNS1_3genE8ELNS1_11target_archE1030ELNS1_3gpuE2ELNS1_3repE0EEENS1_30default_config_static_selectorELNS0_4arch9wavefront6targetE0EEEvSU_
	.globl	_ZN7rocprim17ROCPRIM_400000_NS6detail17trampoline_kernelINS0_14default_configENS1_29binary_search_config_selectorIiiEEZNS1_14transform_implILb0ES3_S5_N6thrust23THRUST_200600_302600_NS6detail15normal_iteratorINS8_7pointerIiNS8_11hip_rocprim3tagENS8_11use_defaultESE_EEEESG_ZNS1_13binary_searchIS3_S5_NSA_INSB_IiSD_NS8_16tagged_referenceIiSD_EESE_EEEESG_SG_NS1_16binary_search_opENS9_16wrapped_functionINS8_7greaterIiEEbEEEE10hipError_tPvRmT1_T2_T3_mmT4_T5_P12ihipStream_tbEUlRKiE_EESR_SV_SW_mSX_S10_bEUlT_E_NS1_11comp_targetILNS1_3genE8ELNS1_11target_archE1030ELNS1_3gpuE2ELNS1_3repE0EEENS1_30default_config_static_selectorELNS0_4arch9wavefront6targetE0EEEvSU_
	.p2align	8
	.type	_ZN7rocprim17ROCPRIM_400000_NS6detail17trampoline_kernelINS0_14default_configENS1_29binary_search_config_selectorIiiEEZNS1_14transform_implILb0ES3_S5_N6thrust23THRUST_200600_302600_NS6detail15normal_iteratorINS8_7pointerIiNS8_11hip_rocprim3tagENS8_11use_defaultESE_EEEESG_ZNS1_13binary_searchIS3_S5_NSA_INSB_IiSD_NS8_16tagged_referenceIiSD_EESE_EEEESG_SG_NS1_16binary_search_opENS9_16wrapped_functionINS8_7greaterIiEEbEEEE10hipError_tPvRmT1_T2_T3_mmT4_T5_P12ihipStream_tbEUlRKiE_EESR_SV_SW_mSX_S10_bEUlT_E_NS1_11comp_targetILNS1_3genE8ELNS1_11target_archE1030ELNS1_3gpuE2ELNS1_3repE0EEENS1_30default_config_static_selectorELNS0_4arch9wavefront6targetE0EEEvSU_,@function
_ZN7rocprim17ROCPRIM_400000_NS6detail17trampoline_kernelINS0_14default_configENS1_29binary_search_config_selectorIiiEEZNS1_14transform_implILb0ES3_S5_N6thrust23THRUST_200600_302600_NS6detail15normal_iteratorINS8_7pointerIiNS8_11hip_rocprim3tagENS8_11use_defaultESE_EEEESG_ZNS1_13binary_searchIS3_S5_NSA_INSB_IiSD_NS8_16tagged_referenceIiSD_EESE_EEEESG_SG_NS1_16binary_search_opENS9_16wrapped_functionINS8_7greaterIiEEbEEEE10hipError_tPvRmT1_T2_T3_mmT4_T5_P12ihipStream_tbEUlRKiE_EESR_SV_SW_mSX_S10_bEUlT_E_NS1_11comp_targetILNS1_3genE8ELNS1_11target_archE1030ELNS1_3gpuE2ELNS1_3repE0EEENS1_30default_config_static_selectorELNS0_4arch9wavefront6targetE0EEEvSU_: ; @_ZN7rocprim17ROCPRIM_400000_NS6detail17trampoline_kernelINS0_14default_configENS1_29binary_search_config_selectorIiiEEZNS1_14transform_implILb0ES3_S5_N6thrust23THRUST_200600_302600_NS6detail15normal_iteratorINS8_7pointerIiNS8_11hip_rocprim3tagENS8_11use_defaultESE_EEEESG_ZNS1_13binary_searchIS3_S5_NSA_INSB_IiSD_NS8_16tagged_referenceIiSD_EESE_EEEESG_SG_NS1_16binary_search_opENS9_16wrapped_functionINS8_7greaterIiEEbEEEE10hipError_tPvRmT1_T2_T3_mmT4_T5_P12ihipStream_tbEUlRKiE_EESR_SV_SW_mSX_S10_bEUlT_E_NS1_11comp_targetILNS1_3genE8ELNS1_11target_archE1030ELNS1_3gpuE2ELNS1_3repE0EEENS1_30default_config_static_selectorELNS0_4arch9wavefront6targetE0EEEvSU_
; %bb.0:
	.section	.rodata,"a",@progbits
	.p2align	6, 0x0
	.amdhsa_kernel _ZN7rocprim17ROCPRIM_400000_NS6detail17trampoline_kernelINS0_14default_configENS1_29binary_search_config_selectorIiiEEZNS1_14transform_implILb0ES3_S5_N6thrust23THRUST_200600_302600_NS6detail15normal_iteratorINS8_7pointerIiNS8_11hip_rocprim3tagENS8_11use_defaultESE_EEEESG_ZNS1_13binary_searchIS3_S5_NSA_INSB_IiSD_NS8_16tagged_referenceIiSD_EESE_EEEESG_SG_NS1_16binary_search_opENS9_16wrapped_functionINS8_7greaterIiEEbEEEE10hipError_tPvRmT1_T2_T3_mmT4_T5_P12ihipStream_tbEUlRKiE_EESR_SV_SW_mSX_S10_bEUlT_E_NS1_11comp_targetILNS1_3genE8ELNS1_11target_archE1030ELNS1_3gpuE2ELNS1_3repE0EEENS1_30default_config_static_selectorELNS0_4arch9wavefront6targetE0EEEvSU_
		.amdhsa_group_segment_fixed_size 0
		.amdhsa_private_segment_fixed_size 0
		.amdhsa_kernarg_size 56
		.amdhsa_user_sgpr_count 2
		.amdhsa_user_sgpr_dispatch_ptr 0
		.amdhsa_user_sgpr_queue_ptr 0
		.amdhsa_user_sgpr_kernarg_segment_ptr 1
		.amdhsa_user_sgpr_dispatch_id 0
		.amdhsa_user_sgpr_kernarg_preload_length 0
		.amdhsa_user_sgpr_kernarg_preload_offset 0
		.amdhsa_user_sgpr_private_segment_size 0
		.amdhsa_wavefront_size32 1
		.amdhsa_uses_dynamic_stack 0
		.amdhsa_enable_private_segment 0
		.amdhsa_system_sgpr_workgroup_id_x 1
		.amdhsa_system_sgpr_workgroup_id_y 0
		.amdhsa_system_sgpr_workgroup_id_z 0
		.amdhsa_system_sgpr_workgroup_info 0
		.amdhsa_system_vgpr_workitem_id 0
		.amdhsa_next_free_vgpr 1
		.amdhsa_next_free_sgpr 1
		.amdhsa_named_barrier_count 0
		.amdhsa_reserve_vcc 0
		.amdhsa_float_round_mode_32 0
		.amdhsa_float_round_mode_16_64 0
		.amdhsa_float_denorm_mode_32 3
		.amdhsa_float_denorm_mode_16_64 3
		.amdhsa_fp16_overflow 0
		.amdhsa_memory_ordered 1
		.amdhsa_forward_progress 1
		.amdhsa_inst_pref_size 0
		.amdhsa_round_robin_scheduling 0
		.amdhsa_exception_fp_ieee_invalid_op 0
		.amdhsa_exception_fp_denorm_src 0
		.amdhsa_exception_fp_ieee_div_zero 0
		.amdhsa_exception_fp_ieee_overflow 0
		.amdhsa_exception_fp_ieee_underflow 0
		.amdhsa_exception_fp_ieee_inexact 0
		.amdhsa_exception_int_div_zero 0
	.end_amdhsa_kernel
	.section	.text._ZN7rocprim17ROCPRIM_400000_NS6detail17trampoline_kernelINS0_14default_configENS1_29binary_search_config_selectorIiiEEZNS1_14transform_implILb0ES3_S5_N6thrust23THRUST_200600_302600_NS6detail15normal_iteratorINS8_7pointerIiNS8_11hip_rocprim3tagENS8_11use_defaultESE_EEEESG_ZNS1_13binary_searchIS3_S5_NSA_INSB_IiSD_NS8_16tagged_referenceIiSD_EESE_EEEESG_SG_NS1_16binary_search_opENS9_16wrapped_functionINS8_7greaterIiEEbEEEE10hipError_tPvRmT1_T2_T3_mmT4_T5_P12ihipStream_tbEUlRKiE_EESR_SV_SW_mSX_S10_bEUlT_E_NS1_11comp_targetILNS1_3genE8ELNS1_11target_archE1030ELNS1_3gpuE2ELNS1_3repE0EEENS1_30default_config_static_selectorELNS0_4arch9wavefront6targetE0EEEvSU_,"axG",@progbits,_ZN7rocprim17ROCPRIM_400000_NS6detail17trampoline_kernelINS0_14default_configENS1_29binary_search_config_selectorIiiEEZNS1_14transform_implILb0ES3_S5_N6thrust23THRUST_200600_302600_NS6detail15normal_iteratorINS8_7pointerIiNS8_11hip_rocprim3tagENS8_11use_defaultESE_EEEESG_ZNS1_13binary_searchIS3_S5_NSA_INSB_IiSD_NS8_16tagged_referenceIiSD_EESE_EEEESG_SG_NS1_16binary_search_opENS9_16wrapped_functionINS8_7greaterIiEEbEEEE10hipError_tPvRmT1_T2_T3_mmT4_T5_P12ihipStream_tbEUlRKiE_EESR_SV_SW_mSX_S10_bEUlT_E_NS1_11comp_targetILNS1_3genE8ELNS1_11target_archE1030ELNS1_3gpuE2ELNS1_3repE0EEENS1_30default_config_static_selectorELNS0_4arch9wavefront6targetE0EEEvSU_,comdat
.Lfunc_end193:
	.size	_ZN7rocprim17ROCPRIM_400000_NS6detail17trampoline_kernelINS0_14default_configENS1_29binary_search_config_selectorIiiEEZNS1_14transform_implILb0ES3_S5_N6thrust23THRUST_200600_302600_NS6detail15normal_iteratorINS8_7pointerIiNS8_11hip_rocprim3tagENS8_11use_defaultESE_EEEESG_ZNS1_13binary_searchIS3_S5_NSA_INSB_IiSD_NS8_16tagged_referenceIiSD_EESE_EEEESG_SG_NS1_16binary_search_opENS9_16wrapped_functionINS8_7greaterIiEEbEEEE10hipError_tPvRmT1_T2_T3_mmT4_T5_P12ihipStream_tbEUlRKiE_EESR_SV_SW_mSX_S10_bEUlT_E_NS1_11comp_targetILNS1_3genE8ELNS1_11target_archE1030ELNS1_3gpuE2ELNS1_3repE0EEENS1_30default_config_static_selectorELNS0_4arch9wavefront6targetE0EEEvSU_, .Lfunc_end193-_ZN7rocprim17ROCPRIM_400000_NS6detail17trampoline_kernelINS0_14default_configENS1_29binary_search_config_selectorIiiEEZNS1_14transform_implILb0ES3_S5_N6thrust23THRUST_200600_302600_NS6detail15normal_iteratorINS8_7pointerIiNS8_11hip_rocprim3tagENS8_11use_defaultESE_EEEESG_ZNS1_13binary_searchIS3_S5_NSA_INSB_IiSD_NS8_16tagged_referenceIiSD_EESE_EEEESG_SG_NS1_16binary_search_opENS9_16wrapped_functionINS8_7greaterIiEEbEEEE10hipError_tPvRmT1_T2_T3_mmT4_T5_P12ihipStream_tbEUlRKiE_EESR_SV_SW_mSX_S10_bEUlT_E_NS1_11comp_targetILNS1_3genE8ELNS1_11target_archE1030ELNS1_3gpuE2ELNS1_3repE0EEENS1_30default_config_static_selectorELNS0_4arch9wavefront6targetE0EEEvSU_
                                        ; -- End function
	.set _ZN7rocprim17ROCPRIM_400000_NS6detail17trampoline_kernelINS0_14default_configENS1_29binary_search_config_selectorIiiEEZNS1_14transform_implILb0ES3_S5_N6thrust23THRUST_200600_302600_NS6detail15normal_iteratorINS8_7pointerIiNS8_11hip_rocprim3tagENS8_11use_defaultESE_EEEESG_ZNS1_13binary_searchIS3_S5_NSA_INSB_IiSD_NS8_16tagged_referenceIiSD_EESE_EEEESG_SG_NS1_16binary_search_opENS9_16wrapped_functionINS8_7greaterIiEEbEEEE10hipError_tPvRmT1_T2_T3_mmT4_T5_P12ihipStream_tbEUlRKiE_EESR_SV_SW_mSX_S10_bEUlT_E_NS1_11comp_targetILNS1_3genE8ELNS1_11target_archE1030ELNS1_3gpuE2ELNS1_3repE0EEENS1_30default_config_static_selectorELNS0_4arch9wavefront6targetE0EEEvSU_.num_vgpr, 0
	.set _ZN7rocprim17ROCPRIM_400000_NS6detail17trampoline_kernelINS0_14default_configENS1_29binary_search_config_selectorIiiEEZNS1_14transform_implILb0ES3_S5_N6thrust23THRUST_200600_302600_NS6detail15normal_iteratorINS8_7pointerIiNS8_11hip_rocprim3tagENS8_11use_defaultESE_EEEESG_ZNS1_13binary_searchIS3_S5_NSA_INSB_IiSD_NS8_16tagged_referenceIiSD_EESE_EEEESG_SG_NS1_16binary_search_opENS9_16wrapped_functionINS8_7greaterIiEEbEEEE10hipError_tPvRmT1_T2_T3_mmT4_T5_P12ihipStream_tbEUlRKiE_EESR_SV_SW_mSX_S10_bEUlT_E_NS1_11comp_targetILNS1_3genE8ELNS1_11target_archE1030ELNS1_3gpuE2ELNS1_3repE0EEENS1_30default_config_static_selectorELNS0_4arch9wavefront6targetE0EEEvSU_.num_agpr, 0
	.set _ZN7rocprim17ROCPRIM_400000_NS6detail17trampoline_kernelINS0_14default_configENS1_29binary_search_config_selectorIiiEEZNS1_14transform_implILb0ES3_S5_N6thrust23THRUST_200600_302600_NS6detail15normal_iteratorINS8_7pointerIiNS8_11hip_rocprim3tagENS8_11use_defaultESE_EEEESG_ZNS1_13binary_searchIS3_S5_NSA_INSB_IiSD_NS8_16tagged_referenceIiSD_EESE_EEEESG_SG_NS1_16binary_search_opENS9_16wrapped_functionINS8_7greaterIiEEbEEEE10hipError_tPvRmT1_T2_T3_mmT4_T5_P12ihipStream_tbEUlRKiE_EESR_SV_SW_mSX_S10_bEUlT_E_NS1_11comp_targetILNS1_3genE8ELNS1_11target_archE1030ELNS1_3gpuE2ELNS1_3repE0EEENS1_30default_config_static_selectorELNS0_4arch9wavefront6targetE0EEEvSU_.numbered_sgpr, 0
	.set _ZN7rocprim17ROCPRIM_400000_NS6detail17trampoline_kernelINS0_14default_configENS1_29binary_search_config_selectorIiiEEZNS1_14transform_implILb0ES3_S5_N6thrust23THRUST_200600_302600_NS6detail15normal_iteratorINS8_7pointerIiNS8_11hip_rocprim3tagENS8_11use_defaultESE_EEEESG_ZNS1_13binary_searchIS3_S5_NSA_INSB_IiSD_NS8_16tagged_referenceIiSD_EESE_EEEESG_SG_NS1_16binary_search_opENS9_16wrapped_functionINS8_7greaterIiEEbEEEE10hipError_tPvRmT1_T2_T3_mmT4_T5_P12ihipStream_tbEUlRKiE_EESR_SV_SW_mSX_S10_bEUlT_E_NS1_11comp_targetILNS1_3genE8ELNS1_11target_archE1030ELNS1_3gpuE2ELNS1_3repE0EEENS1_30default_config_static_selectorELNS0_4arch9wavefront6targetE0EEEvSU_.num_named_barrier, 0
	.set _ZN7rocprim17ROCPRIM_400000_NS6detail17trampoline_kernelINS0_14default_configENS1_29binary_search_config_selectorIiiEEZNS1_14transform_implILb0ES3_S5_N6thrust23THRUST_200600_302600_NS6detail15normal_iteratorINS8_7pointerIiNS8_11hip_rocprim3tagENS8_11use_defaultESE_EEEESG_ZNS1_13binary_searchIS3_S5_NSA_INSB_IiSD_NS8_16tagged_referenceIiSD_EESE_EEEESG_SG_NS1_16binary_search_opENS9_16wrapped_functionINS8_7greaterIiEEbEEEE10hipError_tPvRmT1_T2_T3_mmT4_T5_P12ihipStream_tbEUlRKiE_EESR_SV_SW_mSX_S10_bEUlT_E_NS1_11comp_targetILNS1_3genE8ELNS1_11target_archE1030ELNS1_3gpuE2ELNS1_3repE0EEENS1_30default_config_static_selectorELNS0_4arch9wavefront6targetE0EEEvSU_.private_seg_size, 0
	.set _ZN7rocprim17ROCPRIM_400000_NS6detail17trampoline_kernelINS0_14default_configENS1_29binary_search_config_selectorIiiEEZNS1_14transform_implILb0ES3_S5_N6thrust23THRUST_200600_302600_NS6detail15normal_iteratorINS8_7pointerIiNS8_11hip_rocprim3tagENS8_11use_defaultESE_EEEESG_ZNS1_13binary_searchIS3_S5_NSA_INSB_IiSD_NS8_16tagged_referenceIiSD_EESE_EEEESG_SG_NS1_16binary_search_opENS9_16wrapped_functionINS8_7greaterIiEEbEEEE10hipError_tPvRmT1_T2_T3_mmT4_T5_P12ihipStream_tbEUlRKiE_EESR_SV_SW_mSX_S10_bEUlT_E_NS1_11comp_targetILNS1_3genE8ELNS1_11target_archE1030ELNS1_3gpuE2ELNS1_3repE0EEENS1_30default_config_static_selectorELNS0_4arch9wavefront6targetE0EEEvSU_.uses_vcc, 0
	.set _ZN7rocprim17ROCPRIM_400000_NS6detail17trampoline_kernelINS0_14default_configENS1_29binary_search_config_selectorIiiEEZNS1_14transform_implILb0ES3_S5_N6thrust23THRUST_200600_302600_NS6detail15normal_iteratorINS8_7pointerIiNS8_11hip_rocprim3tagENS8_11use_defaultESE_EEEESG_ZNS1_13binary_searchIS3_S5_NSA_INSB_IiSD_NS8_16tagged_referenceIiSD_EESE_EEEESG_SG_NS1_16binary_search_opENS9_16wrapped_functionINS8_7greaterIiEEbEEEE10hipError_tPvRmT1_T2_T3_mmT4_T5_P12ihipStream_tbEUlRKiE_EESR_SV_SW_mSX_S10_bEUlT_E_NS1_11comp_targetILNS1_3genE8ELNS1_11target_archE1030ELNS1_3gpuE2ELNS1_3repE0EEENS1_30default_config_static_selectorELNS0_4arch9wavefront6targetE0EEEvSU_.uses_flat_scratch, 0
	.set _ZN7rocprim17ROCPRIM_400000_NS6detail17trampoline_kernelINS0_14default_configENS1_29binary_search_config_selectorIiiEEZNS1_14transform_implILb0ES3_S5_N6thrust23THRUST_200600_302600_NS6detail15normal_iteratorINS8_7pointerIiNS8_11hip_rocprim3tagENS8_11use_defaultESE_EEEESG_ZNS1_13binary_searchIS3_S5_NSA_INSB_IiSD_NS8_16tagged_referenceIiSD_EESE_EEEESG_SG_NS1_16binary_search_opENS9_16wrapped_functionINS8_7greaterIiEEbEEEE10hipError_tPvRmT1_T2_T3_mmT4_T5_P12ihipStream_tbEUlRKiE_EESR_SV_SW_mSX_S10_bEUlT_E_NS1_11comp_targetILNS1_3genE8ELNS1_11target_archE1030ELNS1_3gpuE2ELNS1_3repE0EEENS1_30default_config_static_selectorELNS0_4arch9wavefront6targetE0EEEvSU_.has_dyn_sized_stack, 0
	.set _ZN7rocprim17ROCPRIM_400000_NS6detail17trampoline_kernelINS0_14default_configENS1_29binary_search_config_selectorIiiEEZNS1_14transform_implILb0ES3_S5_N6thrust23THRUST_200600_302600_NS6detail15normal_iteratorINS8_7pointerIiNS8_11hip_rocprim3tagENS8_11use_defaultESE_EEEESG_ZNS1_13binary_searchIS3_S5_NSA_INSB_IiSD_NS8_16tagged_referenceIiSD_EESE_EEEESG_SG_NS1_16binary_search_opENS9_16wrapped_functionINS8_7greaterIiEEbEEEE10hipError_tPvRmT1_T2_T3_mmT4_T5_P12ihipStream_tbEUlRKiE_EESR_SV_SW_mSX_S10_bEUlT_E_NS1_11comp_targetILNS1_3genE8ELNS1_11target_archE1030ELNS1_3gpuE2ELNS1_3repE0EEENS1_30default_config_static_selectorELNS0_4arch9wavefront6targetE0EEEvSU_.has_recursion, 0
	.set _ZN7rocprim17ROCPRIM_400000_NS6detail17trampoline_kernelINS0_14default_configENS1_29binary_search_config_selectorIiiEEZNS1_14transform_implILb0ES3_S5_N6thrust23THRUST_200600_302600_NS6detail15normal_iteratorINS8_7pointerIiNS8_11hip_rocprim3tagENS8_11use_defaultESE_EEEESG_ZNS1_13binary_searchIS3_S5_NSA_INSB_IiSD_NS8_16tagged_referenceIiSD_EESE_EEEESG_SG_NS1_16binary_search_opENS9_16wrapped_functionINS8_7greaterIiEEbEEEE10hipError_tPvRmT1_T2_T3_mmT4_T5_P12ihipStream_tbEUlRKiE_EESR_SV_SW_mSX_S10_bEUlT_E_NS1_11comp_targetILNS1_3genE8ELNS1_11target_archE1030ELNS1_3gpuE2ELNS1_3repE0EEENS1_30default_config_static_selectorELNS0_4arch9wavefront6targetE0EEEvSU_.has_indirect_call, 0
	.section	.AMDGPU.csdata,"",@progbits
; Kernel info:
; codeLenInByte = 0
; TotalNumSgprs: 0
; NumVgprs: 0
; ScratchSize: 0
; MemoryBound: 0
; FloatMode: 240
; IeeeMode: 1
; LDSByteSize: 0 bytes/workgroup (compile time only)
; SGPRBlocks: 0
; VGPRBlocks: 0
; NumSGPRsForWavesPerEU: 1
; NumVGPRsForWavesPerEU: 1
; NamedBarCnt: 0
; Occupancy: 16
; WaveLimiterHint : 0
; COMPUTE_PGM_RSRC2:SCRATCH_EN: 0
; COMPUTE_PGM_RSRC2:USER_SGPR: 2
; COMPUTE_PGM_RSRC2:TRAP_HANDLER: 0
; COMPUTE_PGM_RSRC2:TGID_X_EN: 1
; COMPUTE_PGM_RSRC2:TGID_Y_EN: 0
; COMPUTE_PGM_RSRC2:TGID_Z_EN: 0
; COMPUTE_PGM_RSRC2:TIDIG_COMP_CNT: 0
	.section	.text._ZN7rocprim17ROCPRIM_400000_NS6detail17trampoline_kernelINS0_14default_configENS1_29binary_search_config_selectorIiiEEZNS1_14transform_implILb0ES3_S5_N6thrust23THRUST_200600_302600_NS6detail15normal_iteratorINS8_7pointerIiNS8_11hip_rocprim3tagENS8_11use_defaultESE_EEEESG_ZNS1_13binary_searchIS3_S5_NSA_INSB_IiSD_RiSE_EEEESG_SG_NS1_16binary_search_opENS9_16wrapped_functionINS8_7greaterIiEEbEEEE10hipError_tPvRmT1_T2_T3_mmT4_T5_P12ihipStream_tbEUlRKiE_EESQ_SU_SV_mSW_SZ_bEUlT_E_NS1_11comp_targetILNS1_3genE0ELNS1_11target_archE4294967295ELNS1_3gpuE0ELNS1_3repE0EEENS1_30default_config_static_selectorELNS0_4arch9wavefront6targetE0EEEvST_,"axG",@progbits,_ZN7rocprim17ROCPRIM_400000_NS6detail17trampoline_kernelINS0_14default_configENS1_29binary_search_config_selectorIiiEEZNS1_14transform_implILb0ES3_S5_N6thrust23THRUST_200600_302600_NS6detail15normal_iteratorINS8_7pointerIiNS8_11hip_rocprim3tagENS8_11use_defaultESE_EEEESG_ZNS1_13binary_searchIS3_S5_NSA_INSB_IiSD_RiSE_EEEESG_SG_NS1_16binary_search_opENS9_16wrapped_functionINS8_7greaterIiEEbEEEE10hipError_tPvRmT1_T2_T3_mmT4_T5_P12ihipStream_tbEUlRKiE_EESQ_SU_SV_mSW_SZ_bEUlT_E_NS1_11comp_targetILNS1_3genE0ELNS1_11target_archE4294967295ELNS1_3gpuE0ELNS1_3repE0EEENS1_30default_config_static_selectorELNS0_4arch9wavefront6targetE0EEEvST_,comdat
	.protected	_ZN7rocprim17ROCPRIM_400000_NS6detail17trampoline_kernelINS0_14default_configENS1_29binary_search_config_selectorIiiEEZNS1_14transform_implILb0ES3_S5_N6thrust23THRUST_200600_302600_NS6detail15normal_iteratorINS8_7pointerIiNS8_11hip_rocprim3tagENS8_11use_defaultESE_EEEESG_ZNS1_13binary_searchIS3_S5_NSA_INSB_IiSD_RiSE_EEEESG_SG_NS1_16binary_search_opENS9_16wrapped_functionINS8_7greaterIiEEbEEEE10hipError_tPvRmT1_T2_T3_mmT4_T5_P12ihipStream_tbEUlRKiE_EESQ_SU_SV_mSW_SZ_bEUlT_E_NS1_11comp_targetILNS1_3genE0ELNS1_11target_archE4294967295ELNS1_3gpuE0ELNS1_3repE0EEENS1_30default_config_static_selectorELNS0_4arch9wavefront6targetE0EEEvST_ ; -- Begin function _ZN7rocprim17ROCPRIM_400000_NS6detail17trampoline_kernelINS0_14default_configENS1_29binary_search_config_selectorIiiEEZNS1_14transform_implILb0ES3_S5_N6thrust23THRUST_200600_302600_NS6detail15normal_iteratorINS8_7pointerIiNS8_11hip_rocprim3tagENS8_11use_defaultESE_EEEESG_ZNS1_13binary_searchIS3_S5_NSA_INSB_IiSD_RiSE_EEEESG_SG_NS1_16binary_search_opENS9_16wrapped_functionINS8_7greaterIiEEbEEEE10hipError_tPvRmT1_T2_T3_mmT4_T5_P12ihipStream_tbEUlRKiE_EESQ_SU_SV_mSW_SZ_bEUlT_E_NS1_11comp_targetILNS1_3genE0ELNS1_11target_archE4294967295ELNS1_3gpuE0ELNS1_3repE0EEENS1_30default_config_static_selectorELNS0_4arch9wavefront6targetE0EEEvST_
	.globl	_ZN7rocprim17ROCPRIM_400000_NS6detail17trampoline_kernelINS0_14default_configENS1_29binary_search_config_selectorIiiEEZNS1_14transform_implILb0ES3_S5_N6thrust23THRUST_200600_302600_NS6detail15normal_iteratorINS8_7pointerIiNS8_11hip_rocprim3tagENS8_11use_defaultESE_EEEESG_ZNS1_13binary_searchIS3_S5_NSA_INSB_IiSD_RiSE_EEEESG_SG_NS1_16binary_search_opENS9_16wrapped_functionINS8_7greaterIiEEbEEEE10hipError_tPvRmT1_T2_T3_mmT4_T5_P12ihipStream_tbEUlRKiE_EESQ_SU_SV_mSW_SZ_bEUlT_E_NS1_11comp_targetILNS1_3genE0ELNS1_11target_archE4294967295ELNS1_3gpuE0ELNS1_3repE0EEENS1_30default_config_static_selectorELNS0_4arch9wavefront6targetE0EEEvST_
	.p2align	8
	.type	_ZN7rocprim17ROCPRIM_400000_NS6detail17trampoline_kernelINS0_14default_configENS1_29binary_search_config_selectorIiiEEZNS1_14transform_implILb0ES3_S5_N6thrust23THRUST_200600_302600_NS6detail15normal_iteratorINS8_7pointerIiNS8_11hip_rocprim3tagENS8_11use_defaultESE_EEEESG_ZNS1_13binary_searchIS3_S5_NSA_INSB_IiSD_RiSE_EEEESG_SG_NS1_16binary_search_opENS9_16wrapped_functionINS8_7greaterIiEEbEEEE10hipError_tPvRmT1_T2_T3_mmT4_T5_P12ihipStream_tbEUlRKiE_EESQ_SU_SV_mSW_SZ_bEUlT_E_NS1_11comp_targetILNS1_3genE0ELNS1_11target_archE4294967295ELNS1_3gpuE0ELNS1_3repE0EEENS1_30default_config_static_selectorELNS0_4arch9wavefront6targetE0EEEvST_,@function
_ZN7rocprim17ROCPRIM_400000_NS6detail17trampoline_kernelINS0_14default_configENS1_29binary_search_config_selectorIiiEEZNS1_14transform_implILb0ES3_S5_N6thrust23THRUST_200600_302600_NS6detail15normal_iteratorINS8_7pointerIiNS8_11hip_rocprim3tagENS8_11use_defaultESE_EEEESG_ZNS1_13binary_searchIS3_S5_NSA_INSB_IiSD_RiSE_EEEESG_SG_NS1_16binary_search_opENS9_16wrapped_functionINS8_7greaterIiEEbEEEE10hipError_tPvRmT1_T2_T3_mmT4_T5_P12ihipStream_tbEUlRKiE_EESQ_SU_SV_mSW_SZ_bEUlT_E_NS1_11comp_targetILNS1_3genE0ELNS1_11target_archE4294967295ELNS1_3gpuE0ELNS1_3repE0EEENS1_30default_config_static_selectorELNS0_4arch9wavefront6targetE0EEEvST_: ; @_ZN7rocprim17ROCPRIM_400000_NS6detail17trampoline_kernelINS0_14default_configENS1_29binary_search_config_selectorIiiEEZNS1_14transform_implILb0ES3_S5_N6thrust23THRUST_200600_302600_NS6detail15normal_iteratorINS8_7pointerIiNS8_11hip_rocprim3tagENS8_11use_defaultESE_EEEESG_ZNS1_13binary_searchIS3_S5_NSA_INSB_IiSD_RiSE_EEEESG_SG_NS1_16binary_search_opENS9_16wrapped_functionINS8_7greaterIiEEbEEEE10hipError_tPvRmT1_T2_T3_mmT4_T5_P12ihipStream_tbEUlRKiE_EESQ_SU_SV_mSW_SZ_bEUlT_E_NS1_11comp_targetILNS1_3genE0ELNS1_11target_archE4294967295ELNS1_3gpuE0ELNS1_3repE0EEENS1_30default_config_static_selectorELNS0_4arch9wavefront6targetE0EEEvST_
; %bb.0:
	s_clause 0x3
	s_load_b128 s[12:15], s[0:1], 0x0
	s_load_b32 s8, s[0:1], 0x38
	s_load_b64 s[10:11], s[0:1], 0x28
	s_load_b128 s[4:7], s[0:1], 0x18
	s_bfe_u32 s2, ttmp6, 0x4000c
	s_and_b32 s3, ttmp6, 15
	s_add_co_i32 s2, s2, 1
	s_getreg_b32 s9, hwreg(HW_REG_IB_STS2, 6, 4)
	s_mul_i32 s2, ttmp9, s2
	s_delay_alu instid0(SALU_CYCLE_1)
	s_add_co_i32 s16, s3, s2
	s_wait_kmcnt 0x0
	s_lshl_b64 s[2:3], s[14:15], 2
	s_cmp_eq_u32 s9, 0
	s_add_nc_u64 s[12:13], s[12:13], s[2:3]
	s_cselect_b32 s14, ttmp9, s16
	s_add_co_i32 s15, s8, -1
	s_lshl_b32 s8, s14, 8
	s_mov_b32 s9, 0
	s_cmp_lg_u32 s14, s15
	s_mov_b32 s16, -1
	s_cbranch_scc0 .LBB194_6
; %bb.1:
	s_lshl_b64 s[14:15], s[8:9], 2
	v_mov_b64_e32 v[2:3], 0
	s_add_nc_u64 s[14:15], s[12:13], s[14:15]
	v_mov_b32_e32 v1, 0
	flat_load_b32 v6, v0, s[14:15] scale_offset
	s_cmp_eq_u64 s[10:11], 0
	s_cbranch_scc1 .LBB194_5
; %bb.2:
	v_mov_b64_e32 v[4:5], s[10:11]
	s_wait_xcnt 0x0
	s_mov_b32 s14, 0
.LBB194_3:                              ; =>This Inner Loop Header: Depth=1
	s_delay_alu instid0(VALU_DEP_1) | instskip(NEXT) | instid1(VALU_DEP_1)
	v_sub_nc_u64_e32 v[8:9], v[4:5], v[2:3]
	v_lshrrev_b64 v[10:11], 1, v[8:9]
	v_lshrrev_b64 v[8:9], 6, v[8:9]
	s_delay_alu instid0(VALU_DEP_2) | instskip(NEXT) | instid1(VALU_DEP_1)
	v_add_nc_u64_e32 v[10:11], v[10:11], v[2:3]
	v_add_nc_u64_e32 v[8:9], v[10:11], v[8:9]
	s_delay_alu instid0(VALU_DEP_1)
	v_lshl_add_u64 v[10:11], v[8:9], 2, s[6:7]
	global_load_b32 v7, v[10:11], off
	s_wait_xcnt 0x0
	v_add_nc_u64_e32 v[10:11], 1, v[8:9]
	s_wait_loadcnt_dscnt 0x0
	v_cmp_gt_i32_e32 vcc_lo, v7, v6
	v_dual_cndmask_b32 v5, v9, v5 :: v_dual_cndmask_b32 v4, v8, v4
	s_delay_alu instid0(VALU_DEP_3) | instskip(NEXT) | instid1(VALU_DEP_1)
	v_dual_cndmask_b32 v3, v3, v11 :: v_dual_cndmask_b32 v2, v2, v10
	v_cmp_ge_u64_e32 vcc_lo, v[2:3], v[4:5]
	s_or_b32 s14, vcc_lo, s14
	s_delay_alu instid0(SALU_CYCLE_1)
	s_and_not1_b32 exec_lo, exec_lo, s14
	s_cbranch_execnz .LBB194_3
; %bb.4:
	s_or_b32 exec_lo, exec_lo, s14
.LBB194_5:
	s_wait_xcnt 0x0
	v_cmp_eq_u64_e64 s14, s[10:11], v[2:3]
	v_cmp_ne_u64_e64 s15, s[10:11], v[2:3]
	s_branch .LBB194_14
.LBB194_6:
	s_mov_b32 s15, s9
	s_mov_b32 s14, s9
                                        ; implicit-def: $vgpr6
                                        ; implicit-def: $vgpr2_vgpr3
	s_and_b32 vcc_lo, exec_lo, s16
	s_cbranch_vccz .LBB194_14
; %bb.7:
	s_load_b32 s0, s[0:1], 0x10
	s_wait_xcnt 0x0
	s_mov_b32 s1, exec_lo
                                        ; implicit-def: $vgpr6
                                        ; implicit-def: $vgpr2_vgpr3
	s_wait_kmcnt 0x0
	s_sub_co_i32 s0, s0, s8
	s_delay_alu instid0(SALU_CYCLE_1)
	v_cmpx_gt_u32_e64 s0, v0
	s_cbranch_execz .LBB194_13
; %bb.8:
	s_lshl_b64 s[16:17], s[8:9], 2
	v_mov_b64_e32 v[2:3], 0
	s_add_nc_u64 s[12:13], s[12:13], s[16:17]
	v_mov_b32_e32 v1, 0
	s_wait_loadcnt_dscnt 0x0
	flat_load_b32 v6, v0, s[12:13] scale_offset
	s_cmp_eq_u64 s[10:11], 0
	s_cbranch_scc1 .LBB194_12
; %bb.9:
	v_mov_b64_e32 v[4:5], s[10:11]
	s_mov_b32 s0, 0
.LBB194_10:                             ; =>This Inner Loop Header: Depth=1
	s_delay_alu instid0(VALU_DEP_1) | instskip(NEXT) | instid1(VALU_DEP_1)
	v_sub_nc_u64_e32 v[8:9], v[4:5], v[2:3]
	v_lshrrev_b64 v[10:11], 1, v[8:9]
	v_lshrrev_b64 v[8:9], 6, v[8:9]
	s_delay_alu instid0(VALU_DEP_2) | instskip(NEXT) | instid1(VALU_DEP_1)
	v_add_nc_u64_e32 v[10:11], v[10:11], v[2:3]
	v_add_nc_u64_e32 v[8:9], v[10:11], v[8:9]
	s_delay_alu instid0(VALU_DEP_1)
	v_lshl_add_u64 v[10:11], v[8:9], 2, s[6:7]
	global_load_b32 v7, v[10:11], off
	s_wait_xcnt 0x0
	v_add_nc_u64_e32 v[10:11], 1, v[8:9]
	s_wait_loadcnt_dscnt 0x0
	v_cmp_gt_i32_e32 vcc_lo, v7, v6
	v_dual_cndmask_b32 v5, v9, v5 :: v_dual_cndmask_b32 v4, v8, v4
	s_delay_alu instid0(VALU_DEP_3) | instskip(NEXT) | instid1(VALU_DEP_1)
	v_dual_cndmask_b32 v3, v3, v11 :: v_dual_cndmask_b32 v2, v2, v10
	v_cmp_ge_u64_e32 vcc_lo, v[2:3], v[4:5]
	s_or_b32 s0, vcc_lo, s0
	s_delay_alu instid0(SALU_CYCLE_1)
	s_and_not1_b32 exec_lo, exec_lo, s0
	s_cbranch_execnz .LBB194_10
; %bb.11:
	s_or_b32 exec_lo, exec_lo, s0
.LBB194_12:
	v_cmp_eq_u64_e32 vcc_lo, s[10:11], v[2:3]
	v_cmp_ne_u64_e64 s0, s[10:11], v[2:3]
	s_and_not1_b32 s10, s14, exec_lo
	s_and_not1_b32 s11, s15, exec_lo
	s_wait_xcnt 0x0
	s_and_b32 s12, vcc_lo, exec_lo
	s_and_b32 s0, s0, exec_lo
	s_or_b32 s14, s10, s12
	s_or_b32 s15, s11, s0
.LBB194_13:
	s_or_b32 exec_lo, exec_lo, s1
.LBB194_14:
	v_mov_b32_e32 v4, 0
	s_delay_alu instid0(VALU_DEP_2)
	s_and_saveexec_b32 s0, s15
	s_cbranch_execnz .LBB194_17
; %bb.15:
	s_or_b32 exec_lo, exec_lo, s0
	s_and_saveexec_b32 s0, s14
	s_cbranch_execnz .LBB194_18
.LBB194_16:
	s_endpgm
.LBB194_17:
	v_lshl_add_u64 v[2:3], v[2:3], 2, s[6:7]
	s_or_b32 s14, s14, exec_lo
	global_load_b32 v2, v[2:3], off
	s_wait_loadcnt_dscnt 0x0
	v_cmp_le_i32_e32 vcc_lo, v6, v2
	v_cndmask_b32_e64 v4, 0, 1, vcc_lo
	s_or_b32 exec_lo, exec_lo, s0
	s_and_saveexec_b32 s0, s14
	s_cbranch_execz .LBB194_16
.LBB194_18:
	s_add_nc_u64 s[0:1], s[4:5], s[2:3]
	s_lshl_b64 s[2:3], s[8:9], 2
	s_delay_alu instid0(SALU_CYCLE_1) | instskip(NEXT) | instid1(SALU_CYCLE_1)
	s_add_nc_u64 s[0:1], s[0:1], s[2:3]
	v_lshl_add_u64 v[0:1], v[0:1], 2, s[0:1]
	flat_store_b32 v[0:1], v4
	s_endpgm
	.section	.rodata,"a",@progbits
	.p2align	6, 0x0
	.amdhsa_kernel _ZN7rocprim17ROCPRIM_400000_NS6detail17trampoline_kernelINS0_14default_configENS1_29binary_search_config_selectorIiiEEZNS1_14transform_implILb0ES3_S5_N6thrust23THRUST_200600_302600_NS6detail15normal_iteratorINS8_7pointerIiNS8_11hip_rocprim3tagENS8_11use_defaultESE_EEEESG_ZNS1_13binary_searchIS3_S5_NSA_INSB_IiSD_RiSE_EEEESG_SG_NS1_16binary_search_opENS9_16wrapped_functionINS8_7greaterIiEEbEEEE10hipError_tPvRmT1_T2_T3_mmT4_T5_P12ihipStream_tbEUlRKiE_EESQ_SU_SV_mSW_SZ_bEUlT_E_NS1_11comp_targetILNS1_3genE0ELNS1_11target_archE4294967295ELNS1_3gpuE0ELNS1_3repE0EEENS1_30default_config_static_selectorELNS0_4arch9wavefront6targetE0EEEvST_
		.amdhsa_group_segment_fixed_size 0
		.amdhsa_private_segment_fixed_size 0
		.amdhsa_kernarg_size 312
		.amdhsa_user_sgpr_count 2
		.amdhsa_user_sgpr_dispatch_ptr 0
		.amdhsa_user_sgpr_queue_ptr 0
		.amdhsa_user_sgpr_kernarg_segment_ptr 1
		.amdhsa_user_sgpr_dispatch_id 0
		.amdhsa_user_sgpr_kernarg_preload_length 0
		.amdhsa_user_sgpr_kernarg_preload_offset 0
		.amdhsa_user_sgpr_private_segment_size 0
		.amdhsa_wavefront_size32 1
		.amdhsa_uses_dynamic_stack 0
		.amdhsa_enable_private_segment 0
		.amdhsa_system_sgpr_workgroup_id_x 1
		.amdhsa_system_sgpr_workgroup_id_y 0
		.amdhsa_system_sgpr_workgroup_id_z 0
		.amdhsa_system_sgpr_workgroup_info 0
		.amdhsa_system_vgpr_workitem_id 0
		.amdhsa_next_free_vgpr 12
		.amdhsa_next_free_sgpr 18
		.amdhsa_named_barrier_count 0
		.amdhsa_reserve_vcc 1
		.amdhsa_float_round_mode_32 0
		.amdhsa_float_round_mode_16_64 0
		.amdhsa_float_denorm_mode_32 3
		.amdhsa_float_denorm_mode_16_64 3
		.amdhsa_fp16_overflow 0
		.amdhsa_memory_ordered 1
		.amdhsa_forward_progress 1
		.amdhsa_inst_pref_size 6
		.amdhsa_round_robin_scheduling 0
		.amdhsa_exception_fp_ieee_invalid_op 0
		.amdhsa_exception_fp_denorm_src 0
		.amdhsa_exception_fp_ieee_div_zero 0
		.amdhsa_exception_fp_ieee_overflow 0
		.amdhsa_exception_fp_ieee_underflow 0
		.amdhsa_exception_fp_ieee_inexact 0
		.amdhsa_exception_int_div_zero 0
	.end_amdhsa_kernel
	.section	.text._ZN7rocprim17ROCPRIM_400000_NS6detail17trampoline_kernelINS0_14default_configENS1_29binary_search_config_selectorIiiEEZNS1_14transform_implILb0ES3_S5_N6thrust23THRUST_200600_302600_NS6detail15normal_iteratorINS8_7pointerIiNS8_11hip_rocprim3tagENS8_11use_defaultESE_EEEESG_ZNS1_13binary_searchIS3_S5_NSA_INSB_IiSD_RiSE_EEEESG_SG_NS1_16binary_search_opENS9_16wrapped_functionINS8_7greaterIiEEbEEEE10hipError_tPvRmT1_T2_T3_mmT4_T5_P12ihipStream_tbEUlRKiE_EESQ_SU_SV_mSW_SZ_bEUlT_E_NS1_11comp_targetILNS1_3genE0ELNS1_11target_archE4294967295ELNS1_3gpuE0ELNS1_3repE0EEENS1_30default_config_static_selectorELNS0_4arch9wavefront6targetE0EEEvST_,"axG",@progbits,_ZN7rocprim17ROCPRIM_400000_NS6detail17trampoline_kernelINS0_14default_configENS1_29binary_search_config_selectorIiiEEZNS1_14transform_implILb0ES3_S5_N6thrust23THRUST_200600_302600_NS6detail15normal_iteratorINS8_7pointerIiNS8_11hip_rocprim3tagENS8_11use_defaultESE_EEEESG_ZNS1_13binary_searchIS3_S5_NSA_INSB_IiSD_RiSE_EEEESG_SG_NS1_16binary_search_opENS9_16wrapped_functionINS8_7greaterIiEEbEEEE10hipError_tPvRmT1_T2_T3_mmT4_T5_P12ihipStream_tbEUlRKiE_EESQ_SU_SV_mSW_SZ_bEUlT_E_NS1_11comp_targetILNS1_3genE0ELNS1_11target_archE4294967295ELNS1_3gpuE0ELNS1_3repE0EEENS1_30default_config_static_selectorELNS0_4arch9wavefront6targetE0EEEvST_,comdat
.Lfunc_end194:
	.size	_ZN7rocprim17ROCPRIM_400000_NS6detail17trampoline_kernelINS0_14default_configENS1_29binary_search_config_selectorIiiEEZNS1_14transform_implILb0ES3_S5_N6thrust23THRUST_200600_302600_NS6detail15normal_iteratorINS8_7pointerIiNS8_11hip_rocprim3tagENS8_11use_defaultESE_EEEESG_ZNS1_13binary_searchIS3_S5_NSA_INSB_IiSD_RiSE_EEEESG_SG_NS1_16binary_search_opENS9_16wrapped_functionINS8_7greaterIiEEbEEEE10hipError_tPvRmT1_T2_T3_mmT4_T5_P12ihipStream_tbEUlRKiE_EESQ_SU_SV_mSW_SZ_bEUlT_E_NS1_11comp_targetILNS1_3genE0ELNS1_11target_archE4294967295ELNS1_3gpuE0ELNS1_3repE0EEENS1_30default_config_static_selectorELNS0_4arch9wavefront6targetE0EEEvST_, .Lfunc_end194-_ZN7rocprim17ROCPRIM_400000_NS6detail17trampoline_kernelINS0_14default_configENS1_29binary_search_config_selectorIiiEEZNS1_14transform_implILb0ES3_S5_N6thrust23THRUST_200600_302600_NS6detail15normal_iteratorINS8_7pointerIiNS8_11hip_rocprim3tagENS8_11use_defaultESE_EEEESG_ZNS1_13binary_searchIS3_S5_NSA_INSB_IiSD_RiSE_EEEESG_SG_NS1_16binary_search_opENS9_16wrapped_functionINS8_7greaterIiEEbEEEE10hipError_tPvRmT1_T2_T3_mmT4_T5_P12ihipStream_tbEUlRKiE_EESQ_SU_SV_mSW_SZ_bEUlT_E_NS1_11comp_targetILNS1_3genE0ELNS1_11target_archE4294967295ELNS1_3gpuE0ELNS1_3repE0EEENS1_30default_config_static_selectorELNS0_4arch9wavefront6targetE0EEEvST_
                                        ; -- End function
	.set _ZN7rocprim17ROCPRIM_400000_NS6detail17trampoline_kernelINS0_14default_configENS1_29binary_search_config_selectorIiiEEZNS1_14transform_implILb0ES3_S5_N6thrust23THRUST_200600_302600_NS6detail15normal_iteratorINS8_7pointerIiNS8_11hip_rocprim3tagENS8_11use_defaultESE_EEEESG_ZNS1_13binary_searchIS3_S5_NSA_INSB_IiSD_RiSE_EEEESG_SG_NS1_16binary_search_opENS9_16wrapped_functionINS8_7greaterIiEEbEEEE10hipError_tPvRmT1_T2_T3_mmT4_T5_P12ihipStream_tbEUlRKiE_EESQ_SU_SV_mSW_SZ_bEUlT_E_NS1_11comp_targetILNS1_3genE0ELNS1_11target_archE4294967295ELNS1_3gpuE0ELNS1_3repE0EEENS1_30default_config_static_selectorELNS0_4arch9wavefront6targetE0EEEvST_.num_vgpr, 12
	.set _ZN7rocprim17ROCPRIM_400000_NS6detail17trampoline_kernelINS0_14default_configENS1_29binary_search_config_selectorIiiEEZNS1_14transform_implILb0ES3_S5_N6thrust23THRUST_200600_302600_NS6detail15normal_iteratorINS8_7pointerIiNS8_11hip_rocprim3tagENS8_11use_defaultESE_EEEESG_ZNS1_13binary_searchIS3_S5_NSA_INSB_IiSD_RiSE_EEEESG_SG_NS1_16binary_search_opENS9_16wrapped_functionINS8_7greaterIiEEbEEEE10hipError_tPvRmT1_T2_T3_mmT4_T5_P12ihipStream_tbEUlRKiE_EESQ_SU_SV_mSW_SZ_bEUlT_E_NS1_11comp_targetILNS1_3genE0ELNS1_11target_archE4294967295ELNS1_3gpuE0ELNS1_3repE0EEENS1_30default_config_static_selectorELNS0_4arch9wavefront6targetE0EEEvST_.num_agpr, 0
	.set _ZN7rocprim17ROCPRIM_400000_NS6detail17trampoline_kernelINS0_14default_configENS1_29binary_search_config_selectorIiiEEZNS1_14transform_implILb0ES3_S5_N6thrust23THRUST_200600_302600_NS6detail15normal_iteratorINS8_7pointerIiNS8_11hip_rocprim3tagENS8_11use_defaultESE_EEEESG_ZNS1_13binary_searchIS3_S5_NSA_INSB_IiSD_RiSE_EEEESG_SG_NS1_16binary_search_opENS9_16wrapped_functionINS8_7greaterIiEEbEEEE10hipError_tPvRmT1_T2_T3_mmT4_T5_P12ihipStream_tbEUlRKiE_EESQ_SU_SV_mSW_SZ_bEUlT_E_NS1_11comp_targetILNS1_3genE0ELNS1_11target_archE4294967295ELNS1_3gpuE0ELNS1_3repE0EEENS1_30default_config_static_selectorELNS0_4arch9wavefront6targetE0EEEvST_.numbered_sgpr, 18
	.set _ZN7rocprim17ROCPRIM_400000_NS6detail17trampoline_kernelINS0_14default_configENS1_29binary_search_config_selectorIiiEEZNS1_14transform_implILb0ES3_S5_N6thrust23THRUST_200600_302600_NS6detail15normal_iteratorINS8_7pointerIiNS8_11hip_rocprim3tagENS8_11use_defaultESE_EEEESG_ZNS1_13binary_searchIS3_S5_NSA_INSB_IiSD_RiSE_EEEESG_SG_NS1_16binary_search_opENS9_16wrapped_functionINS8_7greaterIiEEbEEEE10hipError_tPvRmT1_T2_T3_mmT4_T5_P12ihipStream_tbEUlRKiE_EESQ_SU_SV_mSW_SZ_bEUlT_E_NS1_11comp_targetILNS1_3genE0ELNS1_11target_archE4294967295ELNS1_3gpuE0ELNS1_3repE0EEENS1_30default_config_static_selectorELNS0_4arch9wavefront6targetE0EEEvST_.num_named_barrier, 0
	.set _ZN7rocprim17ROCPRIM_400000_NS6detail17trampoline_kernelINS0_14default_configENS1_29binary_search_config_selectorIiiEEZNS1_14transform_implILb0ES3_S5_N6thrust23THRUST_200600_302600_NS6detail15normal_iteratorINS8_7pointerIiNS8_11hip_rocprim3tagENS8_11use_defaultESE_EEEESG_ZNS1_13binary_searchIS3_S5_NSA_INSB_IiSD_RiSE_EEEESG_SG_NS1_16binary_search_opENS9_16wrapped_functionINS8_7greaterIiEEbEEEE10hipError_tPvRmT1_T2_T3_mmT4_T5_P12ihipStream_tbEUlRKiE_EESQ_SU_SV_mSW_SZ_bEUlT_E_NS1_11comp_targetILNS1_3genE0ELNS1_11target_archE4294967295ELNS1_3gpuE0ELNS1_3repE0EEENS1_30default_config_static_selectorELNS0_4arch9wavefront6targetE0EEEvST_.private_seg_size, 0
	.set _ZN7rocprim17ROCPRIM_400000_NS6detail17trampoline_kernelINS0_14default_configENS1_29binary_search_config_selectorIiiEEZNS1_14transform_implILb0ES3_S5_N6thrust23THRUST_200600_302600_NS6detail15normal_iteratorINS8_7pointerIiNS8_11hip_rocprim3tagENS8_11use_defaultESE_EEEESG_ZNS1_13binary_searchIS3_S5_NSA_INSB_IiSD_RiSE_EEEESG_SG_NS1_16binary_search_opENS9_16wrapped_functionINS8_7greaterIiEEbEEEE10hipError_tPvRmT1_T2_T3_mmT4_T5_P12ihipStream_tbEUlRKiE_EESQ_SU_SV_mSW_SZ_bEUlT_E_NS1_11comp_targetILNS1_3genE0ELNS1_11target_archE4294967295ELNS1_3gpuE0ELNS1_3repE0EEENS1_30default_config_static_selectorELNS0_4arch9wavefront6targetE0EEEvST_.uses_vcc, 1
	.set _ZN7rocprim17ROCPRIM_400000_NS6detail17trampoline_kernelINS0_14default_configENS1_29binary_search_config_selectorIiiEEZNS1_14transform_implILb0ES3_S5_N6thrust23THRUST_200600_302600_NS6detail15normal_iteratorINS8_7pointerIiNS8_11hip_rocprim3tagENS8_11use_defaultESE_EEEESG_ZNS1_13binary_searchIS3_S5_NSA_INSB_IiSD_RiSE_EEEESG_SG_NS1_16binary_search_opENS9_16wrapped_functionINS8_7greaterIiEEbEEEE10hipError_tPvRmT1_T2_T3_mmT4_T5_P12ihipStream_tbEUlRKiE_EESQ_SU_SV_mSW_SZ_bEUlT_E_NS1_11comp_targetILNS1_3genE0ELNS1_11target_archE4294967295ELNS1_3gpuE0ELNS1_3repE0EEENS1_30default_config_static_selectorELNS0_4arch9wavefront6targetE0EEEvST_.uses_flat_scratch, 0
	.set _ZN7rocprim17ROCPRIM_400000_NS6detail17trampoline_kernelINS0_14default_configENS1_29binary_search_config_selectorIiiEEZNS1_14transform_implILb0ES3_S5_N6thrust23THRUST_200600_302600_NS6detail15normal_iteratorINS8_7pointerIiNS8_11hip_rocprim3tagENS8_11use_defaultESE_EEEESG_ZNS1_13binary_searchIS3_S5_NSA_INSB_IiSD_RiSE_EEEESG_SG_NS1_16binary_search_opENS9_16wrapped_functionINS8_7greaterIiEEbEEEE10hipError_tPvRmT1_T2_T3_mmT4_T5_P12ihipStream_tbEUlRKiE_EESQ_SU_SV_mSW_SZ_bEUlT_E_NS1_11comp_targetILNS1_3genE0ELNS1_11target_archE4294967295ELNS1_3gpuE0ELNS1_3repE0EEENS1_30default_config_static_selectorELNS0_4arch9wavefront6targetE0EEEvST_.has_dyn_sized_stack, 0
	.set _ZN7rocprim17ROCPRIM_400000_NS6detail17trampoline_kernelINS0_14default_configENS1_29binary_search_config_selectorIiiEEZNS1_14transform_implILb0ES3_S5_N6thrust23THRUST_200600_302600_NS6detail15normal_iteratorINS8_7pointerIiNS8_11hip_rocprim3tagENS8_11use_defaultESE_EEEESG_ZNS1_13binary_searchIS3_S5_NSA_INSB_IiSD_RiSE_EEEESG_SG_NS1_16binary_search_opENS9_16wrapped_functionINS8_7greaterIiEEbEEEE10hipError_tPvRmT1_T2_T3_mmT4_T5_P12ihipStream_tbEUlRKiE_EESQ_SU_SV_mSW_SZ_bEUlT_E_NS1_11comp_targetILNS1_3genE0ELNS1_11target_archE4294967295ELNS1_3gpuE0ELNS1_3repE0EEENS1_30default_config_static_selectorELNS0_4arch9wavefront6targetE0EEEvST_.has_recursion, 0
	.set _ZN7rocprim17ROCPRIM_400000_NS6detail17trampoline_kernelINS0_14default_configENS1_29binary_search_config_selectorIiiEEZNS1_14transform_implILb0ES3_S5_N6thrust23THRUST_200600_302600_NS6detail15normal_iteratorINS8_7pointerIiNS8_11hip_rocprim3tagENS8_11use_defaultESE_EEEESG_ZNS1_13binary_searchIS3_S5_NSA_INSB_IiSD_RiSE_EEEESG_SG_NS1_16binary_search_opENS9_16wrapped_functionINS8_7greaterIiEEbEEEE10hipError_tPvRmT1_T2_T3_mmT4_T5_P12ihipStream_tbEUlRKiE_EESQ_SU_SV_mSW_SZ_bEUlT_E_NS1_11comp_targetILNS1_3genE0ELNS1_11target_archE4294967295ELNS1_3gpuE0ELNS1_3repE0EEENS1_30default_config_static_selectorELNS0_4arch9wavefront6targetE0EEEvST_.has_indirect_call, 0
	.section	.AMDGPU.csdata,"",@progbits
; Kernel info:
; codeLenInByte = 696
; TotalNumSgprs: 20
; NumVgprs: 12
; ScratchSize: 0
; MemoryBound: 0
; FloatMode: 240
; IeeeMode: 1
; LDSByteSize: 0 bytes/workgroup (compile time only)
; SGPRBlocks: 0
; VGPRBlocks: 0
; NumSGPRsForWavesPerEU: 20
; NumVGPRsForWavesPerEU: 12
; NamedBarCnt: 0
; Occupancy: 16
; WaveLimiterHint : 0
; COMPUTE_PGM_RSRC2:SCRATCH_EN: 0
; COMPUTE_PGM_RSRC2:USER_SGPR: 2
; COMPUTE_PGM_RSRC2:TRAP_HANDLER: 0
; COMPUTE_PGM_RSRC2:TGID_X_EN: 1
; COMPUTE_PGM_RSRC2:TGID_Y_EN: 0
; COMPUTE_PGM_RSRC2:TGID_Z_EN: 0
; COMPUTE_PGM_RSRC2:TIDIG_COMP_CNT: 0
	.section	.text._ZN7rocprim17ROCPRIM_400000_NS6detail17trampoline_kernelINS0_14default_configENS1_29binary_search_config_selectorIiiEEZNS1_14transform_implILb0ES3_S5_N6thrust23THRUST_200600_302600_NS6detail15normal_iteratorINS8_7pointerIiNS8_11hip_rocprim3tagENS8_11use_defaultESE_EEEESG_ZNS1_13binary_searchIS3_S5_NSA_INSB_IiSD_RiSE_EEEESG_SG_NS1_16binary_search_opENS9_16wrapped_functionINS8_7greaterIiEEbEEEE10hipError_tPvRmT1_T2_T3_mmT4_T5_P12ihipStream_tbEUlRKiE_EESQ_SU_SV_mSW_SZ_bEUlT_E_NS1_11comp_targetILNS1_3genE5ELNS1_11target_archE942ELNS1_3gpuE9ELNS1_3repE0EEENS1_30default_config_static_selectorELNS0_4arch9wavefront6targetE0EEEvST_,"axG",@progbits,_ZN7rocprim17ROCPRIM_400000_NS6detail17trampoline_kernelINS0_14default_configENS1_29binary_search_config_selectorIiiEEZNS1_14transform_implILb0ES3_S5_N6thrust23THRUST_200600_302600_NS6detail15normal_iteratorINS8_7pointerIiNS8_11hip_rocprim3tagENS8_11use_defaultESE_EEEESG_ZNS1_13binary_searchIS3_S5_NSA_INSB_IiSD_RiSE_EEEESG_SG_NS1_16binary_search_opENS9_16wrapped_functionINS8_7greaterIiEEbEEEE10hipError_tPvRmT1_T2_T3_mmT4_T5_P12ihipStream_tbEUlRKiE_EESQ_SU_SV_mSW_SZ_bEUlT_E_NS1_11comp_targetILNS1_3genE5ELNS1_11target_archE942ELNS1_3gpuE9ELNS1_3repE0EEENS1_30default_config_static_selectorELNS0_4arch9wavefront6targetE0EEEvST_,comdat
	.protected	_ZN7rocprim17ROCPRIM_400000_NS6detail17trampoline_kernelINS0_14default_configENS1_29binary_search_config_selectorIiiEEZNS1_14transform_implILb0ES3_S5_N6thrust23THRUST_200600_302600_NS6detail15normal_iteratorINS8_7pointerIiNS8_11hip_rocprim3tagENS8_11use_defaultESE_EEEESG_ZNS1_13binary_searchIS3_S5_NSA_INSB_IiSD_RiSE_EEEESG_SG_NS1_16binary_search_opENS9_16wrapped_functionINS8_7greaterIiEEbEEEE10hipError_tPvRmT1_T2_T3_mmT4_T5_P12ihipStream_tbEUlRKiE_EESQ_SU_SV_mSW_SZ_bEUlT_E_NS1_11comp_targetILNS1_3genE5ELNS1_11target_archE942ELNS1_3gpuE9ELNS1_3repE0EEENS1_30default_config_static_selectorELNS0_4arch9wavefront6targetE0EEEvST_ ; -- Begin function _ZN7rocprim17ROCPRIM_400000_NS6detail17trampoline_kernelINS0_14default_configENS1_29binary_search_config_selectorIiiEEZNS1_14transform_implILb0ES3_S5_N6thrust23THRUST_200600_302600_NS6detail15normal_iteratorINS8_7pointerIiNS8_11hip_rocprim3tagENS8_11use_defaultESE_EEEESG_ZNS1_13binary_searchIS3_S5_NSA_INSB_IiSD_RiSE_EEEESG_SG_NS1_16binary_search_opENS9_16wrapped_functionINS8_7greaterIiEEbEEEE10hipError_tPvRmT1_T2_T3_mmT4_T5_P12ihipStream_tbEUlRKiE_EESQ_SU_SV_mSW_SZ_bEUlT_E_NS1_11comp_targetILNS1_3genE5ELNS1_11target_archE942ELNS1_3gpuE9ELNS1_3repE0EEENS1_30default_config_static_selectorELNS0_4arch9wavefront6targetE0EEEvST_
	.globl	_ZN7rocprim17ROCPRIM_400000_NS6detail17trampoline_kernelINS0_14default_configENS1_29binary_search_config_selectorIiiEEZNS1_14transform_implILb0ES3_S5_N6thrust23THRUST_200600_302600_NS6detail15normal_iteratorINS8_7pointerIiNS8_11hip_rocprim3tagENS8_11use_defaultESE_EEEESG_ZNS1_13binary_searchIS3_S5_NSA_INSB_IiSD_RiSE_EEEESG_SG_NS1_16binary_search_opENS9_16wrapped_functionINS8_7greaterIiEEbEEEE10hipError_tPvRmT1_T2_T3_mmT4_T5_P12ihipStream_tbEUlRKiE_EESQ_SU_SV_mSW_SZ_bEUlT_E_NS1_11comp_targetILNS1_3genE5ELNS1_11target_archE942ELNS1_3gpuE9ELNS1_3repE0EEENS1_30default_config_static_selectorELNS0_4arch9wavefront6targetE0EEEvST_
	.p2align	8
	.type	_ZN7rocprim17ROCPRIM_400000_NS6detail17trampoline_kernelINS0_14default_configENS1_29binary_search_config_selectorIiiEEZNS1_14transform_implILb0ES3_S5_N6thrust23THRUST_200600_302600_NS6detail15normal_iteratorINS8_7pointerIiNS8_11hip_rocprim3tagENS8_11use_defaultESE_EEEESG_ZNS1_13binary_searchIS3_S5_NSA_INSB_IiSD_RiSE_EEEESG_SG_NS1_16binary_search_opENS9_16wrapped_functionINS8_7greaterIiEEbEEEE10hipError_tPvRmT1_T2_T3_mmT4_T5_P12ihipStream_tbEUlRKiE_EESQ_SU_SV_mSW_SZ_bEUlT_E_NS1_11comp_targetILNS1_3genE5ELNS1_11target_archE942ELNS1_3gpuE9ELNS1_3repE0EEENS1_30default_config_static_selectorELNS0_4arch9wavefront6targetE0EEEvST_,@function
_ZN7rocprim17ROCPRIM_400000_NS6detail17trampoline_kernelINS0_14default_configENS1_29binary_search_config_selectorIiiEEZNS1_14transform_implILb0ES3_S5_N6thrust23THRUST_200600_302600_NS6detail15normal_iteratorINS8_7pointerIiNS8_11hip_rocprim3tagENS8_11use_defaultESE_EEEESG_ZNS1_13binary_searchIS3_S5_NSA_INSB_IiSD_RiSE_EEEESG_SG_NS1_16binary_search_opENS9_16wrapped_functionINS8_7greaterIiEEbEEEE10hipError_tPvRmT1_T2_T3_mmT4_T5_P12ihipStream_tbEUlRKiE_EESQ_SU_SV_mSW_SZ_bEUlT_E_NS1_11comp_targetILNS1_3genE5ELNS1_11target_archE942ELNS1_3gpuE9ELNS1_3repE0EEENS1_30default_config_static_selectorELNS0_4arch9wavefront6targetE0EEEvST_: ; @_ZN7rocprim17ROCPRIM_400000_NS6detail17trampoline_kernelINS0_14default_configENS1_29binary_search_config_selectorIiiEEZNS1_14transform_implILb0ES3_S5_N6thrust23THRUST_200600_302600_NS6detail15normal_iteratorINS8_7pointerIiNS8_11hip_rocprim3tagENS8_11use_defaultESE_EEEESG_ZNS1_13binary_searchIS3_S5_NSA_INSB_IiSD_RiSE_EEEESG_SG_NS1_16binary_search_opENS9_16wrapped_functionINS8_7greaterIiEEbEEEE10hipError_tPvRmT1_T2_T3_mmT4_T5_P12ihipStream_tbEUlRKiE_EESQ_SU_SV_mSW_SZ_bEUlT_E_NS1_11comp_targetILNS1_3genE5ELNS1_11target_archE942ELNS1_3gpuE9ELNS1_3repE0EEENS1_30default_config_static_selectorELNS0_4arch9wavefront6targetE0EEEvST_
; %bb.0:
	.section	.rodata,"a",@progbits
	.p2align	6, 0x0
	.amdhsa_kernel _ZN7rocprim17ROCPRIM_400000_NS6detail17trampoline_kernelINS0_14default_configENS1_29binary_search_config_selectorIiiEEZNS1_14transform_implILb0ES3_S5_N6thrust23THRUST_200600_302600_NS6detail15normal_iteratorINS8_7pointerIiNS8_11hip_rocprim3tagENS8_11use_defaultESE_EEEESG_ZNS1_13binary_searchIS3_S5_NSA_INSB_IiSD_RiSE_EEEESG_SG_NS1_16binary_search_opENS9_16wrapped_functionINS8_7greaterIiEEbEEEE10hipError_tPvRmT1_T2_T3_mmT4_T5_P12ihipStream_tbEUlRKiE_EESQ_SU_SV_mSW_SZ_bEUlT_E_NS1_11comp_targetILNS1_3genE5ELNS1_11target_archE942ELNS1_3gpuE9ELNS1_3repE0EEENS1_30default_config_static_selectorELNS0_4arch9wavefront6targetE0EEEvST_
		.amdhsa_group_segment_fixed_size 0
		.amdhsa_private_segment_fixed_size 0
		.amdhsa_kernarg_size 56
		.amdhsa_user_sgpr_count 2
		.amdhsa_user_sgpr_dispatch_ptr 0
		.amdhsa_user_sgpr_queue_ptr 0
		.amdhsa_user_sgpr_kernarg_segment_ptr 1
		.amdhsa_user_sgpr_dispatch_id 0
		.amdhsa_user_sgpr_kernarg_preload_length 0
		.amdhsa_user_sgpr_kernarg_preload_offset 0
		.amdhsa_user_sgpr_private_segment_size 0
		.amdhsa_wavefront_size32 1
		.amdhsa_uses_dynamic_stack 0
		.amdhsa_enable_private_segment 0
		.amdhsa_system_sgpr_workgroup_id_x 1
		.amdhsa_system_sgpr_workgroup_id_y 0
		.amdhsa_system_sgpr_workgroup_id_z 0
		.amdhsa_system_sgpr_workgroup_info 0
		.amdhsa_system_vgpr_workitem_id 0
		.amdhsa_next_free_vgpr 1
		.amdhsa_next_free_sgpr 1
		.amdhsa_named_barrier_count 0
		.amdhsa_reserve_vcc 0
		.amdhsa_float_round_mode_32 0
		.amdhsa_float_round_mode_16_64 0
		.amdhsa_float_denorm_mode_32 3
		.amdhsa_float_denorm_mode_16_64 3
		.amdhsa_fp16_overflow 0
		.amdhsa_memory_ordered 1
		.amdhsa_forward_progress 1
		.amdhsa_inst_pref_size 0
		.amdhsa_round_robin_scheduling 0
		.amdhsa_exception_fp_ieee_invalid_op 0
		.amdhsa_exception_fp_denorm_src 0
		.amdhsa_exception_fp_ieee_div_zero 0
		.amdhsa_exception_fp_ieee_overflow 0
		.amdhsa_exception_fp_ieee_underflow 0
		.amdhsa_exception_fp_ieee_inexact 0
		.amdhsa_exception_int_div_zero 0
	.end_amdhsa_kernel
	.section	.text._ZN7rocprim17ROCPRIM_400000_NS6detail17trampoline_kernelINS0_14default_configENS1_29binary_search_config_selectorIiiEEZNS1_14transform_implILb0ES3_S5_N6thrust23THRUST_200600_302600_NS6detail15normal_iteratorINS8_7pointerIiNS8_11hip_rocprim3tagENS8_11use_defaultESE_EEEESG_ZNS1_13binary_searchIS3_S5_NSA_INSB_IiSD_RiSE_EEEESG_SG_NS1_16binary_search_opENS9_16wrapped_functionINS8_7greaterIiEEbEEEE10hipError_tPvRmT1_T2_T3_mmT4_T5_P12ihipStream_tbEUlRKiE_EESQ_SU_SV_mSW_SZ_bEUlT_E_NS1_11comp_targetILNS1_3genE5ELNS1_11target_archE942ELNS1_3gpuE9ELNS1_3repE0EEENS1_30default_config_static_selectorELNS0_4arch9wavefront6targetE0EEEvST_,"axG",@progbits,_ZN7rocprim17ROCPRIM_400000_NS6detail17trampoline_kernelINS0_14default_configENS1_29binary_search_config_selectorIiiEEZNS1_14transform_implILb0ES3_S5_N6thrust23THRUST_200600_302600_NS6detail15normal_iteratorINS8_7pointerIiNS8_11hip_rocprim3tagENS8_11use_defaultESE_EEEESG_ZNS1_13binary_searchIS3_S5_NSA_INSB_IiSD_RiSE_EEEESG_SG_NS1_16binary_search_opENS9_16wrapped_functionINS8_7greaterIiEEbEEEE10hipError_tPvRmT1_T2_T3_mmT4_T5_P12ihipStream_tbEUlRKiE_EESQ_SU_SV_mSW_SZ_bEUlT_E_NS1_11comp_targetILNS1_3genE5ELNS1_11target_archE942ELNS1_3gpuE9ELNS1_3repE0EEENS1_30default_config_static_selectorELNS0_4arch9wavefront6targetE0EEEvST_,comdat
.Lfunc_end195:
	.size	_ZN7rocprim17ROCPRIM_400000_NS6detail17trampoline_kernelINS0_14default_configENS1_29binary_search_config_selectorIiiEEZNS1_14transform_implILb0ES3_S5_N6thrust23THRUST_200600_302600_NS6detail15normal_iteratorINS8_7pointerIiNS8_11hip_rocprim3tagENS8_11use_defaultESE_EEEESG_ZNS1_13binary_searchIS3_S5_NSA_INSB_IiSD_RiSE_EEEESG_SG_NS1_16binary_search_opENS9_16wrapped_functionINS8_7greaterIiEEbEEEE10hipError_tPvRmT1_T2_T3_mmT4_T5_P12ihipStream_tbEUlRKiE_EESQ_SU_SV_mSW_SZ_bEUlT_E_NS1_11comp_targetILNS1_3genE5ELNS1_11target_archE942ELNS1_3gpuE9ELNS1_3repE0EEENS1_30default_config_static_selectorELNS0_4arch9wavefront6targetE0EEEvST_, .Lfunc_end195-_ZN7rocprim17ROCPRIM_400000_NS6detail17trampoline_kernelINS0_14default_configENS1_29binary_search_config_selectorIiiEEZNS1_14transform_implILb0ES3_S5_N6thrust23THRUST_200600_302600_NS6detail15normal_iteratorINS8_7pointerIiNS8_11hip_rocprim3tagENS8_11use_defaultESE_EEEESG_ZNS1_13binary_searchIS3_S5_NSA_INSB_IiSD_RiSE_EEEESG_SG_NS1_16binary_search_opENS9_16wrapped_functionINS8_7greaterIiEEbEEEE10hipError_tPvRmT1_T2_T3_mmT4_T5_P12ihipStream_tbEUlRKiE_EESQ_SU_SV_mSW_SZ_bEUlT_E_NS1_11comp_targetILNS1_3genE5ELNS1_11target_archE942ELNS1_3gpuE9ELNS1_3repE0EEENS1_30default_config_static_selectorELNS0_4arch9wavefront6targetE0EEEvST_
                                        ; -- End function
	.set _ZN7rocprim17ROCPRIM_400000_NS6detail17trampoline_kernelINS0_14default_configENS1_29binary_search_config_selectorIiiEEZNS1_14transform_implILb0ES3_S5_N6thrust23THRUST_200600_302600_NS6detail15normal_iteratorINS8_7pointerIiNS8_11hip_rocprim3tagENS8_11use_defaultESE_EEEESG_ZNS1_13binary_searchIS3_S5_NSA_INSB_IiSD_RiSE_EEEESG_SG_NS1_16binary_search_opENS9_16wrapped_functionINS8_7greaterIiEEbEEEE10hipError_tPvRmT1_T2_T3_mmT4_T5_P12ihipStream_tbEUlRKiE_EESQ_SU_SV_mSW_SZ_bEUlT_E_NS1_11comp_targetILNS1_3genE5ELNS1_11target_archE942ELNS1_3gpuE9ELNS1_3repE0EEENS1_30default_config_static_selectorELNS0_4arch9wavefront6targetE0EEEvST_.num_vgpr, 0
	.set _ZN7rocprim17ROCPRIM_400000_NS6detail17trampoline_kernelINS0_14default_configENS1_29binary_search_config_selectorIiiEEZNS1_14transform_implILb0ES3_S5_N6thrust23THRUST_200600_302600_NS6detail15normal_iteratorINS8_7pointerIiNS8_11hip_rocprim3tagENS8_11use_defaultESE_EEEESG_ZNS1_13binary_searchIS3_S5_NSA_INSB_IiSD_RiSE_EEEESG_SG_NS1_16binary_search_opENS9_16wrapped_functionINS8_7greaterIiEEbEEEE10hipError_tPvRmT1_T2_T3_mmT4_T5_P12ihipStream_tbEUlRKiE_EESQ_SU_SV_mSW_SZ_bEUlT_E_NS1_11comp_targetILNS1_3genE5ELNS1_11target_archE942ELNS1_3gpuE9ELNS1_3repE0EEENS1_30default_config_static_selectorELNS0_4arch9wavefront6targetE0EEEvST_.num_agpr, 0
	.set _ZN7rocprim17ROCPRIM_400000_NS6detail17trampoline_kernelINS0_14default_configENS1_29binary_search_config_selectorIiiEEZNS1_14transform_implILb0ES3_S5_N6thrust23THRUST_200600_302600_NS6detail15normal_iteratorINS8_7pointerIiNS8_11hip_rocprim3tagENS8_11use_defaultESE_EEEESG_ZNS1_13binary_searchIS3_S5_NSA_INSB_IiSD_RiSE_EEEESG_SG_NS1_16binary_search_opENS9_16wrapped_functionINS8_7greaterIiEEbEEEE10hipError_tPvRmT1_T2_T3_mmT4_T5_P12ihipStream_tbEUlRKiE_EESQ_SU_SV_mSW_SZ_bEUlT_E_NS1_11comp_targetILNS1_3genE5ELNS1_11target_archE942ELNS1_3gpuE9ELNS1_3repE0EEENS1_30default_config_static_selectorELNS0_4arch9wavefront6targetE0EEEvST_.numbered_sgpr, 0
	.set _ZN7rocprim17ROCPRIM_400000_NS6detail17trampoline_kernelINS0_14default_configENS1_29binary_search_config_selectorIiiEEZNS1_14transform_implILb0ES3_S5_N6thrust23THRUST_200600_302600_NS6detail15normal_iteratorINS8_7pointerIiNS8_11hip_rocprim3tagENS8_11use_defaultESE_EEEESG_ZNS1_13binary_searchIS3_S5_NSA_INSB_IiSD_RiSE_EEEESG_SG_NS1_16binary_search_opENS9_16wrapped_functionINS8_7greaterIiEEbEEEE10hipError_tPvRmT1_T2_T3_mmT4_T5_P12ihipStream_tbEUlRKiE_EESQ_SU_SV_mSW_SZ_bEUlT_E_NS1_11comp_targetILNS1_3genE5ELNS1_11target_archE942ELNS1_3gpuE9ELNS1_3repE0EEENS1_30default_config_static_selectorELNS0_4arch9wavefront6targetE0EEEvST_.num_named_barrier, 0
	.set _ZN7rocprim17ROCPRIM_400000_NS6detail17trampoline_kernelINS0_14default_configENS1_29binary_search_config_selectorIiiEEZNS1_14transform_implILb0ES3_S5_N6thrust23THRUST_200600_302600_NS6detail15normal_iteratorINS8_7pointerIiNS8_11hip_rocprim3tagENS8_11use_defaultESE_EEEESG_ZNS1_13binary_searchIS3_S5_NSA_INSB_IiSD_RiSE_EEEESG_SG_NS1_16binary_search_opENS9_16wrapped_functionINS8_7greaterIiEEbEEEE10hipError_tPvRmT1_T2_T3_mmT4_T5_P12ihipStream_tbEUlRKiE_EESQ_SU_SV_mSW_SZ_bEUlT_E_NS1_11comp_targetILNS1_3genE5ELNS1_11target_archE942ELNS1_3gpuE9ELNS1_3repE0EEENS1_30default_config_static_selectorELNS0_4arch9wavefront6targetE0EEEvST_.private_seg_size, 0
	.set _ZN7rocprim17ROCPRIM_400000_NS6detail17trampoline_kernelINS0_14default_configENS1_29binary_search_config_selectorIiiEEZNS1_14transform_implILb0ES3_S5_N6thrust23THRUST_200600_302600_NS6detail15normal_iteratorINS8_7pointerIiNS8_11hip_rocprim3tagENS8_11use_defaultESE_EEEESG_ZNS1_13binary_searchIS3_S5_NSA_INSB_IiSD_RiSE_EEEESG_SG_NS1_16binary_search_opENS9_16wrapped_functionINS8_7greaterIiEEbEEEE10hipError_tPvRmT1_T2_T3_mmT4_T5_P12ihipStream_tbEUlRKiE_EESQ_SU_SV_mSW_SZ_bEUlT_E_NS1_11comp_targetILNS1_3genE5ELNS1_11target_archE942ELNS1_3gpuE9ELNS1_3repE0EEENS1_30default_config_static_selectorELNS0_4arch9wavefront6targetE0EEEvST_.uses_vcc, 0
	.set _ZN7rocprim17ROCPRIM_400000_NS6detail17trampoline_kernelINS0_14default_configENS1_29binary_search_config_selectorIiiEEZNS1_14transform_implILb0ES3_S5_N6thrust23THRUST_200600_302600_NS6detail15normal_iteratorINS8_7pointerIiNS8_11hip_rocprim3tagENS8_11use_defaultESE_EEEESG_ZNS1_13binary_searchIS3_S5_NSA_INSB_IiSD_RiSE_EEEESG_SG_NS1_16binary_search_opENS9_16wrapped_functionINS8_7greaterIiEEbEEEE10hipError_tPvRmT1_T2_T3_mmT4_T5_P12ihipStream_tbEUlRKiE_EESQ_SU_SV_mSW_SZ_bEUlT_E_NS1_11comp_targetILNS1_3genE5ELNS1_11target_archE942ELNS1_3gpuE9ELNS1_3repE0EEENS1_30default_config_static_selectorELNS0_4arch9wavefront6targetE0EEEvST_.uses_flat_scratch, 0
	.set _ZN7rocprim17ROCPRIM_400000_NS6detail17trampoline_kernelINS0_14default_configENS1_29binary_search_config_selectorIiiEEZNS1_14transform_implILb0ES3_S5_N6thrust23THRUST_200600_302600_NS6detail15normal_iteratorINS8_7pointerIiNS8_11hip_rocprim3tagENS8_11use_defaultESE_EEEESG_ZNS1_13binary_searchIS3_S5_NSA_INSB_IiSD_RiSE_EEEESG_SG_NS1_16binary_search_opENS9_16wrapped_functionINS8_7greaterIiEEbEEEE10hipError_tPvRmT1_T2_T3_mmT4_T5_P12ihipStream_tbEUlRKiE_EESQ_SU_SV_mSW_SZ_bEUlT_E_NS1_11comp_targetILNS1_3genE5ELNS1_11target_archE942ELNS1_3gpuE9ELNS1_3repE0EEENS1_30default_config_static_selectorELNS0_4arch9wavefront6targetE0EEEvST_.has_dyn_sized_stack, 0
	.set _ZN7rocprim17ROCPRIM_400000_NS6detail17trampoline_kernelINS0_14default_configENS1_29binary_search_config_selectorIiiEEZNS1_14transform_implILb0ES3_S5_N6thrust23THRUST_200600_302600_NS6detail15normal_iteratorINS8_7pointerIiNS8_11hip_rocprim3tagENS8_11use_defaultESE_EEEESG_ZNS1_13binary_searchIS3_S5_NSA_INSB_IiSD_RiSE_EEEESG_SG_NS1_16binary_search_opENS9_16wrapped_functionINS8_7greaterIiEEbEEEE10hipError_tPvRmT1_T2_T3_mmT4_T5_P12ihipStream_tbEUlRKiE_EESQ_SU_SV_mSW_SZ_bEUlT_E_NS1_11comp_targetILNS1_3genE5ELNS1_11target_archE942ELNS1_3gpuE9ELNS1_3repE0EEENS1_30default_config_static_selectorELNS0_4arch9wavefront6targetE0EEEvST_.has_recursion, 0
	.set _ZN7rocprim17ROCPRIM_400000_NS6detail17trampoline_kernelINS0_14default_configENS1_29binary_search_config_selectorIiiEEZNS1_14transform_implILb0ES3_S5_N6thrust23THRUST_200600_302600_NS6detail15normal_iteratorINS8_7pointerIiNS8_11hip_rocprim3tagENS8_11use_defaultESE_EEEESG_ZNS1_13binary_searchIS3_S5_NSA_INSB_IiSD_RiSE_EEEESG_SG_NS1_16binary_search_opENS9_16wrapped_functionINS8_7greaterIiEEbEEEE10hipError_tPvRmT1_T2_T3_mmT4_T5_P12ihipStream_tbEUlRKiE_EESQ_SU_SV_mSW_SZ_bEUlT_E_NS1_11comp_targetILNS1_3genE5ELNS1_11target_archE942ELNS1_3gpuE9ELNS1_3repE0EEENS1_30default_config_static_selectorELNS0_4arch9wavefront6targetE0EEEvST_.has_indirect_call, 0
	.section	.AMDGPU.csdata,"",@progbits
; Kernel info:
; codeLenInByte = 0
; TotalNumSgprs: 0
; NumVgprs: 0
; ScratchSize: 0
; MemoryBound: 0
; FloatMode: 240
; IeeeMode: 1
; LDSByteSize: 0 bytes/workgroup (compile time only)
; SGPRBlocks: 0
; VGPRBlocks: 0
; NumSGPRsForWavesPerEU: 1
; NumVGPRsForWavesPerEU: 1
; NamedBarCnt: 0
; Occupancy: 16
; WaveLimiterHint : 0
; COMPUTE_PGM_RSRC2:SCRATCH_EN: 0
; COMPUTE_PGM_RSRC2:USER_SGPR: 2
; COMPUTE_PGM_RSRC2:TRAP_HANDLER: 0
; COMPUTE_PGM_RSRC2:TGID_X_EN: 1
; COMPUTE_PGM_RSRC2:TGID_Y_EN: 0
; COMPUTE_PGM_RSRC2:TGID_Z_EN: 0
; COMPUTE_PGM_RSRC2:TIDIG_COMP_CNT: 0
	.section	.text._ZN7rocprim17ROCPRIM_400000_NS6detail17trampoline_kernelINS0_14default_configENS1_29binary_search_config_selectorIiiEEZNS1_14transform_implILb0ES3_S5_N6thrust23THRUST_200600_302600_NS6detail15normal_iteratorINS8_7pointerIiNS8_11hip_rocprim3tagENS8_11use_defaultESE_EEEESG_ZNS1_13binary_searchIS3_S5_NSA_INSB_IiSD_RiSE_EEEESG_SG_NS1_16binary_search_opENS9_16wrapped_functionINS8_7greaterIiEEbEEEE10hipError_tPvRmT1_T2_T3_mmT4_T5_P12ihipStream_tbEUlRKiE_EESQ_SU_SV_mSW_SZ_bEUlT_E_NS1_11comp_targetILNS1_3genE4ELNS1_11target_archE910ELNS1_3gpuE8ELNS1_3repE0EEENS1_30default_config_static_selectorELNS0_4arch9wavefront6targetE0EEEvST_,"axG",@progbits,_ZN7rocprim17ROCPRIM_400000_NS6detail17trampoline_kernelINS0_14default_configENS1_29binary_search_config_selectorIiiEEZNS1_14transform_implILb0ES3_S5_N6thrust23THRUST_200600_302600_NS6detail15normal_iteratorINS8_7pointerIiNS8_11hip_rocprim3tagENS8_11use_defaultESE_EEEESG_ZNS1_13binary_searchIS3_S5_NSA_INSB_IiSD_RiSE_EEEESG_SG_NS1_16binary_search_opENS9_16wrapped_functionINS8_7greaterIiEEbEEEE10hipError_tPvRmT1_T2_T3_mmT4_T5_P12ihipStream_tbEUlRKiE_EESQ_SU_SV_mSW_SZ_bEUlT_E_NS1_11comp_targetILNS1_3genE4ELNS1_11target_archE910ELNS1_3gpuE8ELNS1_3repE0EEENS1_30default_config_static_selectorELNS0_4arch9wavefront6targetE0EEEvST_,comdat
	.protected	_ZN7rocprim17ROCPRIM_400000_NS6detail17trampoline_kernelINS0_14default_configENS1_29binary_search_config_selectorIiiEEZNS1_14transform_implILb0ES3_S5_N6thrust23THRUST_200600_302600_NS6detail15normal_iteratorINS8_7pointerIiNS8_11hip_rocprim3tagENS8_11use_defaultESE_EEEESG_ZNS1_13binary_searchIS3_S5_NSA_INSB_IiSD_RiSE_EEEESG_SG_NS1_16binary_search_opENS9_16wrapped_functionINS8_7greaterIiEEbEEEE10hipError_tPvRmT1_T2_T3_mmT4_T5_P12ihipStream_tbEUlRKiE_EESQ_SU_SV_mSW_SZ_bEUlT_E_NS1_11comp_targetILNS1_3genE4ELNS1_11target_archE910ELNS1_3gpuE8ELNS1_3repE0EEENS1_30default_config_static_selectorELNS0_4arch9wavefront6targetE0EEEvST_ ; -- Begin function _ZN7rocprim17ROCPRIM_400000_NS6detail17trampoline_kernelINS0_14default_configENS1_29binary_search_config_selectorIiiEEZNS1_14transform_implILb0ES3_S5_N6thrust23THRUST_200600_302600_NS6detail15normal_iteratorINS8_7pointerIiNS8_11hip_rocprim3tagENS8_11use_defaultESE_EEEESG_ZNS1_13binary_searchIS3_S5_NSA_INSB_IiSD_RiSE_EEEESG_SG_NS1_16binary_search_opENS9_16wrapped_functionINS8_7greaterIiEEbEEEE10hipError_tPvRmT1_T2_T3_mmT4_T5_P12ihipStream_tbEUlRKiE_EESQ_SU_SV_mSW_SZ_bEUlT_E_NS1_11comp_targetILNS1_3genE4ELNS1_11target_archE910ELNS1_3gpuE8ELNS1_3repE0EEENS1_30default_config_static_selectorELNS0_4arch9wavefront6targetE0EEEvST_
	.globl	_ZN7rocprim17ROCPRIM_400000_NS6detail17trampoline_kernelINS0_14default_configENS1_29binary_search_config_selectorIiiEEZNS1_14transform_implILb0ES3_S5_N6thrust23THRUST_200600_302600_NS6detail15normal_iteratorINS8_7pointerIiNS8_11hip_rocprim3tagENS8_11use_defaultESE_EEEESG_ZNS1_13binary_searchIS3_S5_NSA_INSB_IiSD_RiSE_EEEESG_SG_NS1_16binary_search_opENS9_16wrapped_functionINS8_7greaterIiEEbEEEE10hipError_tPvRmT1_T2_T3_mmT4_T5_P12ihipStream_tbEUlRKiE_EESQ_SU_SV_mSW_SZ_bEUlT_E_NS1_11comp_targetILNS1_3genE4ELNS1_11target_archE910ELNS1_3gpuE8ELNS1_3repE0EEENS1_30default_config_static_selectorELNS0_4arch9wavefront6targetE0EEEvST_
	.p2align	8
	.type	_ZN7rocprim17ROCPRIM_400000_NS6detail17trampoline_kernelINS0_14default_configENS1_29binary_search_config_selectorIiiEEZNS1_14transform_implILb0ES3_S5_N6thrust23THRUST_200600_302600_NS6detail15normal_iteratorINS8_7pointerIiNS8_11hip_rocprim3tagENS8_11use_defaultESE_EEEESG_ZNS1_13binary_searchIS3_S5_NSA_INSB_IiSD_RiSE_EEEESG_SG_NS1_16binary_search_opENS9_16wrapped_functionINS8_7greaterIiEEbEEEE10hipError_tPvRmT1_T2_T3_mmT4_T5_P12ihipStream_tbEUlRKiE_EESQ_SU_SV_mSW_SZ_bEUlT_E_NS1_11comp_targetILNS1_3genE4ELNS1_11target_archE910ELNS1_3gpuE8ELNS1_3repE0EEENS1_30default_config_static_selectorELNS0_4arch9wavefront6targetE0EEEvST_,@function
_ZN7rocprim17ROCPRIM_400000_NS6detail17trampoline_kernelINS0_14default_configENS1_29binary_search_config_selectorIiiEEZNS1_14transform_implILb0ES3_S5_N6thrust23THRUST_200600_302600_NS6detail15normal_iteratorINS8_7pointerIiNS8_11hip_rocprim3tagENS8_11use_defaultESE_EEEESG_ZNS1_13binary_searchIS3_S5_NSA_INSB_IiSD_RiSE_EEEESG_SG_NS1_16binary_search_opENS9_16wrapped_functionINS8_7greaterIiEEbEEEE10hipError_tPvRmT1_T2_T3_mmT4_T5_P12ihipStream_tbEUlRKiE_EESQ_SU_SV_mSW_SZ_bEUlT_E_NS1_11comp_targetILNS1_3genE4ELNS1_11target_archE910ELNS1_3gpuE8ELNS1_3repE0EEENS1_30default_config_static_selectorELNS0_4arch9wavefront6targetE0EEEvST_: ; @_ZN7rocprim17ROCPRIM_400000_NS6detail17trampoline_kernelINS0_14default_configENS1_29binary_search_config_selectorIiiEEZNS1_14transform_implILb0ES3_S5_N6thrust23THRUST_200600_302600_NS6detail15normal_iteratorINS8_7pointerIiNS8_11hip_rocprim3tagENS8_11use_defaultESE_EEEESG_ZNS1_13binary_searchIS3_S5_NSA_INSB_IiSD_RiSE_EEEESG_SG_NS1_16binary_search_opENS9_16wrapped_functionINS8_7greaterIiEEbEEEE10hipError_tPvRmT1_T2_T3_mmT4_T5_P12ihipStream_tbEUlRKiE_EESQ_SU_SV_mSW_SZ_bEUlT_E_NS1_11comp_targetILNS1_3genE4ELNS1_11target_archE910ELNS1_3gpuE8ELNS1_3repE0EEENS1_30default_config_static_selectorELNS0_4arch9wavefront6targetE0EEEvST_
; %bb.0:
	.section	.rodata,"a",@progbits
	.p2align	6, 0x0
	.amdhsa_kernel _ZN7rocprim17ROCPRIM_400000_NS6detail17trampoline_kernelINS0_14default_configENS1_29binary_search_config_selectorIiiEEZNS1_14transform_implILb0ES3_S5_N6thrust23THRUST_200600_302600_NS6detail15normal_iteratorINS8_7pointerIiNS8_11hip_rocprim3tagENS8_11use_defaultESE_EEEESG_ZNS1_13binary_searchIS3_S5_NSA_INSB_IiSD_RiSE_EEEESG_SG_NS1_16binary_search_opENS9_16wrapped_functionINS8_7greaterIiEEbEEEE10hipError_tPvRmT1_T2_T3_mmT4_T5_P12ihipStream_tbEUlRKiE_EESQ_SU_SV_mSW_SZ_bEUlT_E_NS1_11comp_targetILNS1_3genE4ELNS1_11target_archE910ELNS1_3gpuE8ELNS1_3repE0EEENS1_30default_config_static_selectorELNS0_4arch9wavefront6targetE0EEEvST_
		.amdhsa_group_segment_fixed_size 0
		.amdhsa_private_segment_fixed_size 0
		.amdhsa_kernarg_size 56
		.amdhsa_user_sgpr_count 2
		.amdhsa_user_sgpr_dispatch_ptr 0
		.amdhsa_user_sgpr_queue_ptr 0
		.amdhsa_user_sgpr_kernarg_segment_ptr 1
		.amdhsa_user_sgpr_dispatch_id 0
		.amdhsa_user_sgpr_kernarg_preload_length 0
		.amdhsa_user_sgpr_kernarg_preload_offset 0
		.amdhsa_user_sgpr_private_segment_size 0
		.amdhsa_wavefront_size32 1
		.amdhsa_uses_dynamic_stack 0
		.amdhsa_enable_private_segment 0
		.amdhsa_system_sgpr_workgroup_id_x 1
		.amdhsa_system_sgpr_workgroup_id_y 0
		.amdhsa_system_sgpr_workgroup_id_z 0
		.amdhsa_system_sgpr_workgroup_info 0
		.amdhsa_system_vgpr_workitem_id 0
		.amdhsa_next_free_vgpr 1
		.amdhsa_next_free_sgpr 1
		.amdhsa_named_barrier_count 0
		.amdhsa_reserve_vcc 0
		.amdhsa_float_round_mode_32 0
		.amdhsa_float_round_mode_16_64 0
		.amdhsa_float_denorm_mode_32 3
		.amdhsa_float_denorm_mode_16_64 3
		.amdhsa_fp16_overflow 0
		.amdhsa_memory_ordered 1
		.amdhsa_forward_progress 1
		.amdhsa_inst_pref_size 0
		.amdhsa_round_robin_scheduling 0
		.amdhsa_exception_fp_ieee_invalid_op 0
		.amdhsa_exception_fp_denorm_src 0
		.amdhsa_exception_fp_ieee_div_zero 0
		.amdhsa_exception_fp_ieee_overflow 0
		.amdhsa_exception_fp_ieee_underflow 0
		.amdhsa_exception_fp_ieee_inexact 0
		.amdhsa_exception_int_div_zero 0
	.end_amdhsa_kernel
	.section	.text._ZN7rocprim17ROCPRIM_400000_NS6detail17trampoline_kernelINS0_14default_configENS1_29binary_search_config_selectorIiiEEZNS1_14transform_implILb0ES3_S5_N6thrust23THRUST_200600_302600_NS6detail15normal_iteratorINS8_7pointerIiNS8_11hip_rocprim3tagENS8_11use_defaultESE_EEEESG_ZNS1_13binary_searchIS3_S5_NSA_INSB_IiSD_RiSE_EEEESG_SG_NS1_16binary_search_opENS9_16wrapped_functionINS8_7greaterIiEEbEEEE10hipError_tPvRmT1_T2_T3_mmT4_T5_P12ihipStream_tbEUlRKiE_EESQ_SU_SV_mSW_SZ_bEUlT_E_NS1_11comp_targetILNS1_3genE4ELNS1_11target_archE910ELNS1_3gpuE8ELNS1_3repE0EEENS1_30default_config_static_selectorELNS0_4arch9wavefront6targetE0EEEvST_,"axG",@progbits,_ZN7rocprim17ROCPRIM_400000_NS6detail17trampoline_kernelINS0_14default_configENS1_29binary_search_config_selectorIiiEEZNS1_14transform_implILb0ES3_S5_N6thrust23THRUST_200600_302600_NS6detail15normal_iteratorINS8_7pointerIiNS8_11hip_rocprim3tagENS8_11use_defaultESE_EEEESG_ZNS1_13binary_searchIS3_S5_NSA_INSB_IiSD_RiSE_EEEESG_SG_NS1_16binary_search_opENS9_16wrapped_functionINS8_7greaterIiEEbEEEE10hipError_tPvRmT1_T2_T3_mmT4_T5_P12ihipStream_tbEUlRKiE_EESQ_SU_SV_mSW_SZ_bEUlT_E_NS1_11comp_targetILNS1_3genE4ELNS1_11target_archE910ELNS1_3gpuE8ELNS1_3repE0EEENS1_30default_config_static_selectorELNS0_4arch9wavefront6targetE0EEEvST_,comdat
.Lfunc_end196:
	.size	_ZN7rocprim17ROCPRIM_400000_NS6detail17trampoline_kernelINS0_14default_configENS1_29binary_search_config_selectorIiiEEZNS1_14transform_implILb0ES3_S5_N6thrust23THRUST_200600_302600_NS6detail15normal_iteratorINS8_7pointerIiNS8_11hip_rocprim3tagENS8_11use_defaultESE_EEEESG_ZNS1_13binary_searchIS3_S5_NSA_INSB_IiSD_RiSE_EEEESG_SG_NS1_16binary_search_opENS9_16wrapped_functionINS8_7greaterIiEEbEEEE10hipError_tPvRmT1_T2_T3_mmT4_T5_P12ihipStream_tbEUlRKiE_EESQ_SU_SV_mSW_SZ_bEUlT_E_NS1_11comp_targetILNS1_3genE4ELNS1_11target_archE910ELNS1_3gpuE8ELNS1_3repE0EEENS1_30default_config_static_selectorELNS0_4arch9wavefront6targetE0EEEvST_, .Lfunc_end196-_ZN7rocprim17ROCPRIM_400000_NS6detail17trampoline_kernelINS0_14default_configENS1_29binary_search_config_selectorIiiEEZNS1_14transform_implILb0ES3_S5_N6thrust23THRUST_200600_302600_NS6detail15normal_iteratorINS8_7pointerIiNS8_11hip_rocprim3tagENS8_11use_defaultESE_EEEESG_ZNS1_13binary_searchIS3_S5_NSA_INSB_IiSD_RiSE_EEEESG_SG_NS1_16binary_search_opENS9_16wrapped_functionINS8_7greaterIiEEbEEEE10hipError_tPvRmT1_T2_T3_mmT4_T5_P12ihipStream_tbEUlRKiE_EESQ_SU_SV_mSW_SZ_bEUlT_E_NS1_11comp_targetILNS1_3genE4ELNS1_11target_archE910ELNS1_3gpuE8ELNS1_3repE0EEENS1_30default_config_static_selectorELNS0_4arch9wavefront6targetE0EEEvST_
                                        ; -- End function
	.set _ZN7rocprim17ROCPRIM_400000_NS6detail17trampoline_kernelINS0_14default_configENS1_29binary_search_config_selectorIiiEEZNS1_14transform_implILb0ES3_S5_N6thrust23THRUST_200600_302600_NS6detail15normal_iteratorINS8_7pointerIiNS8_11hip_rocprim3tagENS8_11use_defaultESE_EEEESG_ZNS1_13binary_searchIS3_S5_NSA_INSB_IiSD_RiSE_EEEESG_SG_NS1_16binary_search_opENS9_16wrapped_functionINS8_7greaterIiEEbEEEE10hipError_tPvRmT1_T2_T3_mmT4_T5_P12ihipStream_tbEUlRKiE_EESQ_SU_SV_mSW_SZ_bEUlT_E_NS1_11comp_targetILNS1_3genE4ELNS1_11target_archE910ELNS1_3gpuE8ELNS1_3repE0EEENS1_30default_config_static_selectorELNS0_4arch9wavefront6targetE0EEEvST_.num_vgpr, 0
	.set _ZN7rocprim17ROCPRIM_400000_NS6detail17trampoline_kernelINS0_14default_configENS1_29binary_search_config_selectorIiiEEZNS1_14transform_implILb0ES3_S5_N6thrust23THRUST_200600_302600_NS6detail15normal_iteratorINS8_7pointerIiNS8_11hip_rocprim3tagENS8_11use_defaultESE_EEEESG_ZNS1_13binary_searchIS3_S5_NSA_INSB_IiSD_RiSE_EEEESG_SG_NS1_16binary_search_opENS9_16wrapped_functionINS8_7greaterIiEEbEEEE10hipError_tPvRmT1_T2_T3_mmT4_T5_P12ihipStream_tbEUlRKiE_EESQ_SU_SV_mSW_SZ_bEUlT_E_NS1_11comp_targetILNS1_3genE4ELNS1_11target_archE910ELNS1_3gpuE8ELNS1_3repE0EEENS1_30default_config_static_selectorELNS0_4arch9wavefront6targetE0EEEvST_.num_agpr, 0
	.set _ZN7rocprim17ROCPRIM_400000_NS6detail17trampoline_kernelINS0_14default_configENS1_29binary_search_config_selectorIiiEEZNS1_14transform_implILb0ES3_S5_N6thrust23THRUST_200600_302600_NS6detail15normal_iteratorINS8_7pointerIiNS8_11hip_rocprim3tagENS8_11use_defaultESE_EEEESG_ZNS1_13binary_searchIS3_S5_NSA_INSB_IiSD_RiSE_EEEESG_SG_NS1_16binary_search_opENS9_16wrapped_functionINS8_7greaterIiEEbEEEE10hipError_tPvRmT1_T2_T3_mmT4_T5_P12ihipStream_tbEUlRKiE_EESQ_SU_SV_mSW_SZ_bEUlT_E_NS1_11comp_targetILNS1_3genE4ELNS1_11target_archE910ELNS1_3gpuE8ELNS1_3repE0EEENS1_30default_config_static_selectorELNS0_4arch9wavefront6targetE0EEEvST_.numbered_sgpr, 0
	.set _ZN7rocprim17ROCPRIM_400000_NS6detail17trampoline_kernelINS0_14default_configENS1_29binary_search_config_selectorIiiEEZNS1_14transform_implILb0ES3_S5_N6thrust23THRUST_200600_302600_NS6detail15normal_iteratorINS8_7pointerIiNS8_11hip_rocprim3tagENS8_11use_defaultESE_EEEESG_ZNS1_13binary_searchIS3_S5_NSA_INSB_IiSD_RiSE_EEEESG_SG_NS1_16binary_search_opENS9_16wrapped_functionINS8_7greaterIiEEbEEEE10hipError_tPvRmT1_T2_T3_mmT4_T5_P12ihipStream_tbEUlRKiE_EESQ_SU_SV_mSW_SZ_bEUlT_E_NS1_11comp_targetILNS1_3genE4ELNS1_11target_archE910ELNS1_3gpuE8ELNS1_3repE0EEENS1_30default_config_static_selectorELNS0_4arch9wavefront6targetE0EEEvST_.num_named_barrier, 0
	.set _ZN7rocprim17ROCPRIM_400000_NS6detail17trampoline_kernelINS0_14default_configENS1_29binary_search_config_selectorIiiEEZNS1_14transform_implILb0ES3_S5_N6thrust23THRUST_200600_302600_NS6detail15normal_iteratorINS8_7pointerIiNS8_11hip_rocprim3tagENS8_11use_defaultESE_EEEESG_ZNS1_13binary_searchIS3_S5_NSA_INSB_IiSD_RiSE_EEEESG_SG_NS1_16binary_search_opENS9_16wrapped_functionINS8_7greaterIiEEbEEEE10hipError_tPvRmT1_T2_T3_mmT4_T5_P12ihipStream_tbEUlRKiE_EESQ_SU_SV_mSW_SZ_bEUlT_E_NS1_11comp_targetILNS1_3genE4ELNS1_11target_archE910ELNS1_3gpuE8ELNS1_3repE0EEENS1_30default_config_static_selectorELNS0_4arch9wavefront6targetE0EEEvST_.private_seg_size, 0
	.set _ZN7rocprim17ROCPRIM_400000_NS6detail17trampoline_kernelINS0_14default_configENS1_29binary_search_config_selectorIiiEEZNS1_14transform_implILb0ES3_S5_N6thrust23THRUST_200600_302600_NS6detail15normal_iteratorINS8_7pointerIiNS8_11hip_rocprim3tagENS8_11use_defaultESE_EEEESG_ZNS1_13binary_searchIS3_S5_NSA_INSB_IiSD_RiSE_EEEESG_SG_NS1_16binary_search_opENS9_16wrapped_functionINS8_7greaterIiEEbEEEE10hipError_tPvRmT1_T2_T3_mmT4_T5_P12ihipStream_tbEUlRKiE_EESQ_SU_SV_mSW_SZ_bEUlT_E_NS1_11comp_targetILNS1_3genE4ELNS1_11target_archE910ELNS1_3gpuE8ELNS1_3repE0EEENS1_30default_config_static_selectorELNS0_4arch9wavefront6targetE0EEEvST_.uses_vcc, 0
	.set _ZN7rocprim17ROCPRIM_400000_NS6detail17trampoline_kernelINS0_14default_configENS1_29binary_search_config_selectorIiiEEZNS1_14transform_implILb0ES3_S5_N6thrust23THRUST_200600_302600_NS6detail15normal_iteratorINS8_7pointerIiNS8_11hip_rocprim3tagENS8_11use_defaultESE_EEEESG_ZNS1_13binary_searchIS3_S5_NSA_INSB_IiSD_RiSE_EEEESG_SG_NS1_16binary_search_opENS9_16wrapped_functionINS8_7greaterIiEEbEEEE10hipError_tPvRmT1_T2_T3_mmT4_T5_P12ihipStream_tbEUlRKiE_EESQ_SU_SV_mSW_SZ_bEUlT_E_NS1_11comp_targetILNS1_3genE4ELNS1_11target_archE910ELNS1_3gpuE8ELNS1_3repE0EEENS1_30default_config_static_selectorELNS0_4arch9wavefront6targetE0EEEvST_.uses_flat_scratch, 0
	.set _ZN7rocprim17ROCPRIM_400000_NS6detail17trampoline_kernelINS0_14default_configENS1_29binary_search_config_selectorIiiEEZNS1_14transform_implILb0ES3_S5_N6thrust23THRUST_200600_302600_NS6detail15normal_iteratorINS8_7pointerIiNS8_11hip_rocprim3tagENS8_11use_defaultESE_EEEESG_ZNS1_13binary_searchIS3_S5_NSA_INSB_IiSD_RiSE_EEEESG_SG_NS1_16binary_search_opENS9_16wrapped_functionINS8_7greaterIiEEbEEEE10hipError_tPvRmT1_T2_T3_mmT4_T5_P12ihipStream_tbEUlRKiE_EESQ_SU_SV_mSW_SZ_bEUlT_E_NS1_11comp_targetILNS1_3genE4ELNS1_11target_archE910ELNS1_3gpuE8ELNS1_3repE0EEENS1_30default_config_static_selectorELNS0_4arch9wavefront6targetE0EEEvST_.has_dyn_sized_stack, 0
	.set _ZN7rocprim17ROCPRIM_400000_NS6detail17trampoline_kernelINS0_14default_configENS1_29binary_search_config_selectorIiiEEZNS1_14transform_implILb0ES3_S5_N6thrust23THRUST_200600_302600_NS6detail15normal_iteratorINS8_7pointerIiNS8_11hip_rocprim3tagENS8_11use_defaultESE_EEEESG_ZNS1_13binary_searchIS3_S5_NSA_INSB_IiSD_RiSE_EEEESG_SG_NS1_16binary_search_opENS9_16wrapped_functionINS8_7greaterIiEEbEEEE10hipError_tPvRmT1_T2_T3_mmT4_T5_P12ihipStream_tbEUlRKiE_EESQ_SU_SV_mSW_SZ_bEUlT_E_NS1_11comp_targetILNS1_3genE4ELNS1_11target_archE910ELNS1_3gpuE8ELNS1_3repE0EEENS1_30default_config_static_selectorELNS0_4arch9wavefront6targetE0EEEvST_.has_recursion, 0
	.set _ZN7rocprim17ROCPRIM_400000_NS6detail17trampoline_kernelINS0_14default_configENS1_29binary_search_config_selectorIiiEEZNS1_14transform_implILb0ES3_S5_N6thrust23THRUST_200600_302600_NS6detail15normal_iteratorINS8_7pointerIiNS8_11hip_rocprim3tagENS8_11use_defaultESE_EEEESG_ZNS1_13binary_searchIS3_S5_NSA_INSB_IiSD_RiSE_EEEESG_SG_NS1_16binary_search_opENS9_16wrapped_functionINS8_7greaterIiEEbEEEE10hipError_tPvRmT1_T2_T3_mmT4_T5_P12ihipStream_tbEUlRKiE_EESQ_SU_SV_mSW_SZ_bEUlT_E_NS1_11comp_targetILNS1_3genE4ELNS1_11target_archE910ELNS1_3gpuE8ELNS1_3repE0EEENS1_30default_config_static_selectorELNS0_4arch9wavefront6targetE0EEEvST_.has_indirect_call, 0
	.section	.AMDGPU.csdata,"",@progbits
; Kernel info:
; codeLenInByte = 0
; TotalNumSgprs: 0
; NumVgprs: 0
; ScratchSize: 0
; MemoryBound: 0
; FloatMode: 240
; IeeeMode: 1
; LDSByteSize: 0 bytes/workgroup (compile time only)
; SGPRBlocks: 0
; VGPRBlocks: 0
; NumSGPRsForWavesPerEU: 1
; NumVGPRsForWavesPerEU: 1
; NamedBarCnt: 0
; Occupancy: 16
; WaveLimiterHint : 0
; COMPUTE_PGM_RSRC2:SCRATCH_EN: 0
; COMPUTE_PGM_RSRC2:USER_SGPR: 2
; COMPUTE_PGM_RSRC2:TRAP_HANDLER: 0
; COMPUTE_PGM_RSRC2:TGID_X_EN: 1
; COMPUTE_PGM_RSRC2:TGID_Y_EN: 0
; COMPUTE_PGM_RSRC2:TGID_Z_EN: 0
; COMPUTE_PGM_RSRC2:TIDIG_COMP_CNT: 0
	.section	.text._ZN7rocprim17ROCPRIM_400000_NS6detail17trampoline_kernelINS0_14default_configENS1_29binary_search_config_selectorIiiEEZNS1_14transform_implILb0ES3_S5_N6thrust23THRUST_200600_302600_NS6detail15normal_iteratorINS8_7pointerIiNS8_11hip_rocprim3tagENS8_11use_defaultESE_EEEESG_ZNS1_13binary_searchIS3_S5_NSA_INSB_IiSD_RiSE_EEEESG_SG_NS1_16binary_search_opENS9_16wrapped_functionINS8_7greaterIiEEbEEEE10hipError_tPvRmT1_T2_T3_mmT4_T5_P12ihipStream_tbEUlRKiE_EESQ_SU_SV_mSW_SZ_bEUlT_E_NS1_11comp_targetILNS1_3genE3ELNS1_11target_archE908ELNS1_3gpuE7ELNS1_3repE0EEENS1_30default_config_static_selectorELNS0_4arch9wavefront6targetE0EEEvST_,"axG",@progbits,_ZN7rocprim17ROCPRIM_400000_NS6detail17trampoline_kernelINS0_14default_configENS1_29binary_search_config_selectorIiiEEZNS1_14transform_implILb0ES3_S5_N6thrust23THRUST_200600_302600_NS6detail15normal_iteratorINS8_7pointerIiNS8_11hip_rocprim3tagENS8_11use_defaultESE_EEEESG_ZNS1_13binary_searchIS3_S5_NSA_INSB_IiSD_RiSE_EEEESG_SG_NS1_16binary_search_opENS9_16wrapped_functionINS8_7greaterIiEEbEEEE10hipError_tPvRmT1_T2_T3_mmT4_T5_P12ihipStream_tbEUlRKiE_EESQ_SU_SV_mSW_SZ_bEUlT_E_NS1_11comp_targetILNS1_3genE3ELNS1_11target_archE908ELNS1_3gpuE7ELNS1_3repE0EEENS1_30default_config_static_selectorELNS0_4arch9wavefront6targetE0EEEvST_,comdat
	.protected	_ZN7rocprim17ROCPRIM_400000_NS6detail17trampoline_kernelINS0_14default_configENS1_29binary_search_config_selectorIiiEEZNS1_14transform_implILb0ES3_S5_N6thrust23THRUST_200600_302600_NS6detail15normal_iteratorINS8_7pointerIiNS8_11hip_rocprim3tagENS8_11use_defaultESE_EEEESG_ZNS1_13binary_searchIS3_S5_NSA_INSB_IiSD_RiSE_EEEESG_SG_NS1_16binary_search_opENS9_16wrapped_functionINS8_7greaterIiEEbEEEE10hipError_tPvRmT1_T2_T3_mmT4_T5_P12ihipStream_tbEUlRKiE_EESQ_SU_SV_mSW_SZ_bEUlT_E_NS1_11comp_targetILNS1_3genE3ELNS1_11target_archE908ELNS1_3gpuE7ELNS1_3repE0EEENS1_30default_config_static_selectorELNS0_4arch9wavefront6targetE0EEEvST_ ; -- Begin function _ZN7rocprim17ROCPRIM_400000_NS6detail17trampoline_kernelINS0_14default_configENS1_29binary_search_config_selectorIiiEEZNS1_14transform_implILb0ES3_S5_N6thrust23THRUST_200600_302600_NS6detail15normal_iteratorINS8_7pointerIiNS8_11hip_rocprim3tagENS8_11use_defaultESE_EEEESG_ZNS1_13binary_searchIS3_S5_NSA_INSB_IiSD_RiSE_EEEESG_SG_NS1_16binary_search_opENS9_16wrapped_functionINS8_7greaterIiEEbEEEE10hipError_tPvRmT1_T2_T3_mmT4_T5_P12ihipStream_tbEUlRKiE_EESQ_SU_SV_mSW_SZ_bEUlT_E_NS1_11comp_targetILNS1_3genE3ELNS1_11target_archE908ELNS1_3gpuE7ELNS1_3repE0EEENS1_30default_config_static_selectorELNS0_4arch9wavefront6targetE0EEEvST_
	.globl	_ZN7rocprim17ROCPRIM_400000_NS6detail17trampoline_kernelINS0_14default_configENS1_29binary_search_config_selectorIiiEEZNS1_14transform_implILb0ES3_S5_N6thrust23THRUST_200600_302600_NS6detail15normal_iteratorINS8_7pointerIiNS8_11hip_rocprim3tagENS8_11use_defaultESE_EEEESG_ZNS1_13binary_searchIS3_S5_NSA_INSB_IiSD_RiSE_EEEESG_SG_NS1_16binary_search_opENS9_16wrapped_functionINS8_7greaterIiEEbEEEE10hipError_tPvRmT1_T2_T3_mmT4_T5_P12ihipStream_tbEUlRKiE_EESQ_SU_SV_mSW_SZ_bEUlT_E_NS1_11comp_targetILNS1_3genE3ELNS1_11target_archE908ELNS1_3gpuE7ELNS1_3repE0EEENS1_30default_config_static_selectorELNS0_4arch9wavefront6targetE0EEEvST_
	.p2align	8
	.type	_ZN7rocprim17ROCPRIM_400000_NS6detail17trampoline_kernelINS0_14default_configENS1_29binary_search_config_selectorIiiEEZNS1_14transform_implILb0ES3_S5_N6thrust23THRUST_200600_302600_NS6detail15normal_iteratorINS8_7pointerIiNS8_11hip_rocprim3tagENS8_11use_defaultESE_EEEESG_ZNS1_13binary_searchIS3_S5_NSA_INSB_IiSD_RiSE_EEEESG_SG_NS1_16binary_search_opENS9_16wrapped_functionINS8_7greaterIiEEbEEEE10hipError_tPvRmT1_T2_T3_mmT4_T5_P12ihipStream_tbEUlRKiE_EESQ_SU_SV_mSW_SZ_bEUlT_E_NS1_11comp_targetILNS1_3genE3ELNS1_11target_archE908ELNS1_3gpuE7ELNS1_3repE0EEENS1_30default_config_static_selectorELNS0_4arch9wavefront6targetE0EEEvST_,@function
_ZN7rocprim17ROCPRIM_400000_NS6detail17trampoline_kernelINS0_14default_configENS1_29binary_search_config_selectorIiiEEZNS1_14transform_implILb0ES3_S5_N6thrust23THRUST_200600_302600_NS6detail15normal_iteratorINS8_7pointerIiNS8_11hip_rocprim3tagENS8_11use_defaultESE_EEEESG_ZNS1_13binary_searchIS3_S5_NSA_INSB_IiSD_RiSE_EEEESG_SG_NS1_16binary_search_opENS9_16wrapped_functionINS8_7greaterIiEEbEEEE10hipError_tPvRmT1_T2_T3_mmT4_T5_P12ihipStream_tbEUlRKiE_EESQ_SU_SV_mSW_SZ_bEUlT_E_NS1_11comp_targetILNS1_3genE3ELNS1_11target_archE908ELNS1_3gpuE7ELNS1_3repE0EEENS1_30default_config_static_selectorELNS0_4arch9wavefront6targetE0EEEvST_: ; @_ZN7rocprim17ROCPRIM_400000_NS6detail17trampoline_kernelINS0_14default_configENS1_29binary_search_config_selectorIiiEEZNS1_14transform_implILb0ES3_S5_N6thrust23THRUST_200600_302600_NS6detail15normal_iteratorINS8_7pointerIiNS8_11hip_rocprim3tagENS8_11use_defaultESE_EEEESG_ZNS1_13binary_searchIS3_S5_NSA_INSB_IiSD_RiSE_EEEESG_SG_NS1_16binary_search_opENS9_16wrapped_functionINS8_7greaterIiEEbEEEE10hipError_tPvRmT1_T2_T3_mmT4_T5_P12ihipStream_tbEUlRKiE_EESQ_SU_SV_mSW_SZ_bEUlT_E_NS1_11comp_targetILNS1_3genE3ELNS1_11target_archE908ELNS1_3gpuE7ELNS1_3repE0EEENS1_30default_config_static_selectorELNS0_4arch9wavefront6targetE0EEEvST_
; %bb.0:
	.section	.rodata,"a",@progbits
	.p2align	6, 0x0
	.amdhsa_kernel _ZN7rocprim17ROCPRIM_400000_NS6detail17trampoline_kernelINS0_14default_configENS1_29binary_search_config_selectorIiiEEZNS1_14transform_implILb0ES3_S5_N6thrust23THRUST_200600_302600_NS6detail15normal_iteratorINS8_7pointerIiNS8_11hip_rocprim3tagENS8_11use_defaultESE_EEEESG_ZNS1_13binary_searchIS3_S5_NSA_INSB_IiSD_RiSE_EEEESG_SG_NS1_16binary_search_opENS9_16wrapped_functionINS8_7greaterIiEEbEEEE10hipError_tPvRmT1_T2_T3_mmT4_T5_P12ihipStream_tbEUlRKiE_EESQ_SU_SV_mSW_SZ_bEUlT_E_NS1_11comp_targetILNS1_3genE3ELNS1_11target_archE908ELNS1_3gpuE7ELNS1_3repE0EEENS1_30default_config_static_selectorELNS0_4arch9wavefront6targetE0EEEvST_
		.amdhsa_group_segment_fixed_size 0
		.amdhsa_private_segment_fixed_size 0
		.amdhsa_kernarg_size 56
		.amdhsa_user_sgpr_count 2
		.amdhsa_user_sgpr_dispatch_ptr 0
		.amdhsa_user_sgpr_queue_ptr 0
		.amdhsa_user_sgpr_kernarg_segment_ptr 1
		.amdhsa_user_sgpr_dispatch_id 0
		.amdhsa_user_sgpr_kernarg_preload_length 0
		.amdhsa_user_sgpr_kernarg_preload_offset 0
		.amdhsa_user_sgpr_private_segment_size 0
		.amdhsa_wavefront_size32 1
		.amdhsa_uses_dynamic_stack 0
		.amdhsa_enable_private_segment 0
		.amdhsa_system_sgpr_workgroup_id_x 1
		.amdhsa_system_sgpr_workgroup_id_y 0
		.amdhsa_system_sgpr_workgroup_id_z 0
		.amdhsa_system_sgpr_workgroup_info 0
		.amdhsa_system_vgpr_workitem_id 0
		.amdhsa_next_free_vgpr 1
		.amdhsa_next_free_sgpr 1
		.amdhsa_named_barrier_count 0
		.amdhsa_reserve_vcc 0
		.amdhsa_float_round_mode_32 0
		.amdhsa_float_round_mode_16_64 0
		.amdhsa_float_denorm_mode_32 3
		.amdhsa_float_denorm_mode_16_64 3
		.amdhsa_fp16_overflow 0
		.amdhsa_memory_ordered 1
		.amdhsa_forward_progress 1
		.amdhsa_inst_pref_size 0
		.amdhsa_round_robin_scheduling 0
		.amdhsa_exception_fp_ieee_invalid_op 0
		.amdhsa_exception_fp_denorm_src 0
		.amdhsa_exception_fp_ieee_div_zero 0
		.amdhsa_exception_fp_ieee_overflow 0
		.amdhsa_exception_fp_ieee_underflow 0
		.amdhsa_exception_fp_ieee_inexact 0
		.amdhsa_exception_int_div_zero 0
	.end_amdhsa_kernel
	.section	.text._ZN7rocprim17ROCPRIM_400000_NS6detail17trampoline_kernelINS0_14default_configENS1_29binary_search_config_selectorIiiEEZNS1_14transform_implILb0ES3_S5_N6thrust23THRUST_200600_302600_NS6detail15normal_iteratorINS8_7pointerIiNS8_11hip_rocprim3tagENS8_11use_defaultESE_EEEESG_ZNS1_13binary_searchIS3_S5_NSA_INSB_IiSD_RiSE_EEEESG_SG_NS1_16binary_search_opENS9_16wrapped_functionINS8_7greaterIiEEbEEEE10hipError_tPvRmT1_T2_T3_mmT4_T5_P12ihipStream_tbEUlRKiE_EESQ_SU_SV_mSW_SZ_bEUlT_E_NS1_11comp_targetILNS1_3genE3ELNS1_11target_archE908ELNS1_3gpuE7ELNS1_3repE0EEENS1_30default_config_static_selectorELNS0_4arch9wavefront6targetE0EEEvST_,"axG",@progbits,_ZN7rocprim17ROCPRIM_400000_NS6detail17trampoline_kernelINS0_14default_configENS1_29binary_search_config_selectorIiiEEZNS1_14transform_implILb0ES3_S5_N6thrust23THRUST_200600_302600_NS6detail15normal_iteratorINS8_7pointerIiNS8_11hip_rocprim3tagENS8_11use_defaultESE_EEEESG_ZNS1_13binary_searchIS3_S5_NSA_INSB_IiSD_RiSE_EEEESG_SG_NS1_16binary_search_opENS9_16wrapped_functionINS8_7greaterIiEEbEEEE10hipError_tPvRmT1_T2_T3_mmT4_T5_P12ihipStream_tbEUlRKiE_EESQ_SU_SV_mSW_SZ_bEUlT_E_NS1_11comp_targetILNS1_3genE3ELNS1_11target_archE908ELNS1_3gpuE7ELNS1_3repE0EEENS1_30default_config_static_selectorELNS0_4arch9wavefront6targetE0EEEvST_,comdat
.Lfunc_end197:
	.size	_ZN7rocprim17ROCPRIM_400000_NS6detail17trampoline_kernelINS0_14default_configENS1_29binary_search_config_selectorIiiEEZNS1_14transform_implILb0ES3_S5_N6thrust23THRUST_200600_302600_NS6detail15normal_iteratorINS8_7pointerIiNS8_11hip_rocprim3tagENS8_11use_defaultESE_EEEESG_ZNS1_13binary_searchIS3_S5_NSA_INSB_IiSD_RiSE_EEEESG_SG_NS1_16binary_search_opENS9_16wrapped_functionINS8_7greaterIiEEbEEEE10hipError_tPvRmT1_T2_T3_mmT4_T5_P12ihipStream_tbEUlRKiE_EESQ_SU_SV_mSW_SZ_bEUlT_E_NS1_11comp_targetILNS1_3genE3ELNS1_11target_archE908ELNS1_3gpuE7ELNS1_3repE0EEENS1_30default_config_static_selectorELNS0_4arch9wavefront6targetE0EEEvST_, .Lfunc_end197-_ZN7rocprim17ROCPRIM_400000_NS6detail17trampoline_kernelINS0_14default_configENS1_29binary_search_config_selectorIiiEEZNS1_14transform_implILb0ES3_S5_N6thrust23THRUST_200600_302600_NS6detail15normal_iteratorINS8_7pointerIiNS8_11hip_rocprim3tagENS8_11use_defaultESE_EEEESG_ZNS1_13binary_searchIS3_S5_NSA_INSB_IiSD_RiSE_EEEESG_SG_NS1_16binary_search_opENS9_16wrapped_functionINS8_7greaterIiEEbEEEE10hipError_tPvRmT1_T2_T3_mmT4_T5_P12ihipStream_tbEUlRKiE_EESQ_SU_SV_mSW_SZ_bEUlT_E_NS1_11comp_targetILNS1_3genE3ELNS1_11target_archE908ELNS1_3gpuE7ELNS1_3repE0EEENS1_30default_config_static_selectorELNS0_4arch9wavefront6targetE0EEEvST_
                                        ; -- End function
	.set _ZN7rocprim17ROCPRIM_400000_NS6detail17trampoline_kernelINS0_14default_configENS1_29binary_search_config_selectorIiiEEZNS1_14transform_implILb0ES3_S5_N6thrust23THRUST_200600_302600_NS6detail15normal_iteratorINS8_7pointerIiNS8_11hip_rocprim3tagENS8_11use_defaultESE_EEEESG_ZNS1_13binary_searchIS3_S5_NSA_INSB_IiSD_RiSE_EEEESG_SG_NS1_16binary_search_opENS9_16wrapped_functionINS8_7greaterIiEEbEEEE10hipError_tPvRmT1_T2_T3_mmT4_T5_P12ihipStream_tbEUlRKiE_EESQ_SU_SV_mSW_SZ_bEUlT_E_NS1_11comp_targetILNS1_3genE3ELNS1_11target_archE908ELNS1_3gpuE7ELNS1_3repE0EEENS1_30default_config_static_selectorELNS0_4arch9wavefront6targetE0EEEvST_.num_vgpr, 0
	.set _ZN7rocprim17ROCPRIM_400000_NS6detail17trampoline_kernelINS0_14default_configENS1_29binary_search_config_selectorIiiEEZNS1_14transform_implILb0ES3_S5_N6thrust23THRUST_200600_302600_NS6detail15normal_iteratorINS8_7pointerIiNS8_11hip_rocprim3tagENS8_11use_defaultESE_EEEESG_ZNS1_13binary_searchIS3_S5_NSA_INSB_IiSD_RiSE_EEEESG_SG_NS1_16binary_search_opENS9_16wrapped_functionINS8_7greaterIiEEbEEEE10hipError_tPvRmT1_T2_T3_mmT4_T5_P12ihipStream_tbEUlRKiE_EESQ_SU_SV_mSW_SZ_bEUlT_E_NS1_11comp_targetILNS1_3genE3ELNS1_11target_archE908ELNS1_3gpuE7ELNS1_3repE0EEENS1_30default_config_static_selectorELNS0_4arch9wavefront6targetE0EEEvST_.num_agpr, 0
	.set _ZN7rocprim17ROCPRIM_400000_NS6detail17trampoline_kernelINS0_14default_configENS1_29binary_search_config_selectorIiiEEZNS1_14transform_implILb0ES3_S5_N6thrust23THRUST_200600_302600_NS6detail15normal_iteratorINS8_7pointerIiNS8_11hip_rocprim3tagENS8_11use_defaultESE_EEEESG_ZNS1_13binary_searchIS3_S5_NSA_INSB_IiSD_RiSE_EEEESG_SG_NS1_16binary_search_opENS9_16wrapped_functionINS8_7greaterIiEEbEEEE10hipError_tPvRmT1_T2_T3_mmT4_T5_P12ihipStream_tbEUlRKiE_EESQ_SU_SV_mSW_SZ_bEUlT_E_NS1_11comp_targetILNS1_3genE3ELNS1_11target_archE908ELNS1_3gpuE7ELNS1_3repE0EEENS1_30default_config_static_selectorELNS0_4arch9wavefront6targetE0EEEvST_.numbered_sgpr, 0
	.set _ZN7rocprim17ROCPRIM_400000_NS6detail17trampoline_kernelINS0_14default_configENS1_29binary_search_config_selectorIiiEEZNS1_14transform_implILb0ES3_S5_N6thrust23THRUST_200600_302600_NS6detail15normal_iteratorINS8_7pointerIiNS8_11hip_rocprim3tagENS8_11use_defaultESE_EEEESG_ZNS1_13binary_searchIS3_S5_NSA_INSB_IiSD_RiSE_EEEESG_SG_NS1_16binary_search_opENS9_16wrapped_functionINS8_7greaterIiEEbEEEE10hipError_tPvRmT1_T2_T3_mmT4_T5_P12ihipStream_tbEUlRKiE_EESQ_SU_SV_mSW_SZ_bEUlT_E_NS1_11comp_targetILNS1_3genE3ELNS1_11target_archE908ELNS1_3gpuE7ELNS1_3repE0EEENS1_30default_config_static_selectorELNS0_4arch9wavefront6targetE0EEEvST_.num_named_barrier, 0
	.set _ZN7rocprim17ROCPRIM_400000_NS6detail17trampoline_kernelINS0_14default_configENS1_29binary_search_config_selectorIiiEEZNS1_14transform_implILb0ES3_S5_N6thrust23THRUST_200600_302600_NS6detail15normal_iteratorINS8_7pointerIiNS8_11hip_rocprim3tagENS8_11use_defaultESE_EEEESG_ZNS1_13binary_searchIS3_S5_NSA_INSB_IiSD_RiSE_EEEESG_SG_NS1_16binary_search_opENS9_16wrapped_functionINS8_7greaterIiEEbEEEE10hipError_tPvRmT1_T2_T3_mmT4_T5_P12ihipStream_tbEUlRKiE_EESQ_SU_SV_mSW_SZ_bEUlT_E_NS1_11comp_targetILNS1_3genE3ELNS1_11target_archE908ELNS1_3gpuE7ELNS1_3repE0EEENS1_30default_config_static_selectorELNS0_4arch9wavefront6targetE0EEEvST_.private_seg_size, 0
	.set _ZN7rocprim17ROCPRIM_400000_NS6detail17trampoline_kernelINS0_14default_configENS1_29binary_search_config_selectorIiiEEZNS1_14transform_implILb0ES3_S5_N6thrust23THRUST_200600_302600_NS6detail15normal_iteratorINS8_7pointerIiNS8_11hip_rocprim3tagENS8_11use_defaultESE_EEEESG_ZNS1_13binary_searchIS3_S5_NSA_INSB_IiSD_RiSE_EEEESG_SG_NS1_16binary_search_opENS9_16wrapped_functionINS8_7greaterIiEEbEEEE10hipError_tPvRmT1_T2_T3_mmT4_T5_P12ihipStream_tbEUlRKiE_EESQ_SU_SV_mSW_SZ_bEUlT_E_NS1_11comp_targetILNS1_3genE3ELNS1_11target_archE908ELNS1_3gpuE7ELNS1_3repE0EEENS1_30default_config_static_selectorELNS0_4arch9wavefront6targetE0EEEvST_.uses_vcc, 0
	.set _ZN7rocprim17ROCPRIM_400000_NS6detail17trampoline_kernelINS0_14default_configENS1_29binary_search_config_selectorIiiEEZNS1_14transform_implILb0ES3_S5_N6thrust23THRUST_200600_302600_NS6detail15normal_iteratorINS8_7pointerIiNS8_11hip_rocprim3tagENS8_11use_defaultESE_EEEESG_ZNS1_13binary_searchIS3_S5_NSA_INSB_IiSD_RiSE_EEEESG_SG_NS1_16binary_search_opENS9_16wrapped_functionINS8_7greaterIiEEbEEEE10hipError_tPvRmT1_T2_T3_mmT4_T5_P12ihipStream_tbEUlRKiE_EESQ_SU_SV_mSW_SZ_bEUlT_E_NS1_11comp_targetILNS1_3genE3ELNS1_11target_archE908ELNS1_3gpuE7ELNS1_3repE0EEENS1_30default_config_static_selectorELNS0_4arch9wavefront6targetE0EEEvST_.uses_flat_scratch, 0
	.set _ZN7rocprim17ROCPRIM_400000_NS6detail17trampoline_kernelINS0_14default_configENS1_29binary_search_config_selectorIiiEEZNS1_14transform_implILb0ES3_S5_N6thrust23THRUST_200600_302600_NS6detail15normal_iteratorINS8_7pointerIiNS8_11hip_rocprim3tagENS8_11use_defaultESE_EEEESG_ZNS1_13binary_searchIS3_S5_NSA_INSB_IiSD_RiSE_EEEESG_SG_NS1_16binary_search_opENS9_16wrapped_functionINS8_7greaterIiEEbEEEE10hipError_tPvRmT1_T2_T3_mmT4_T5_P12ihipStream_tbEUlRKiE_EESQ_SU_SV_mSW_SZ_bEUlT_E_NS1_11comp_targetILNS1_3genE3ELNS1_11target_archE908ELNS1_3gpuE7ELNS1_3repE0EEENS1_30default_config_static_selectorELNS0_4arch9wavefront6targetE0EEEvST_.has_dyn_sized_stack, 0
	.set _ZN7rocprim17ROCPRIM_400000_NS6detail17trampoline_kernelINS0_14default_configENS1_29binary_search_config_selectorIiiEEZNS1_14transform_implILb0ES3_S5_N6thrust23THRUST_200600_302600_NS6detail15normal_iteratorINS8_7pointerIiNS8_11hip_rocprim3tagENS8_11use_defaultESE_EEEESG_ZNS1_13binary_searchIS3_S5_NSA_INSB_IiSD_RiSE_EEEESG_SG_NS1_16binary_search_opENS9_16wrapped_functionINS8_7greaterIiEEbEEEE10hipError_tPvRmT1_T2_T3_mmT4_T5_P12ihipStream_tbEUlRKiE_EESQ_SU_SV_mSW_SZ_bEUlT_E_NS1_11comp_targetILNS1_3genE3ELNS1_11target_archE908ELNS1_3gpuE7ELNS1_3repE0EEENS1_30default_config_static_selectorELNS0_4arch9wavefront6targetE0EEEvST_.has_recursion, 0
	.set _ZN7rocprim17ROCPRIM_400000_NS6detail17trampoline_kernelINS0_14default_configENS1_29binary_search_config_selectorIiiEEZNS1_14transform_implILb0ES3_S5_N6thrust23THRUST_200600_302600_NS6detail15normal_iteratorINS8_7pointerIiNS8_11hip_rocprim3tagENS8_11use_defaultESE_EEEESG_ZNS1_13binary_searchIS3_S5_NSA_INSB_IiSD_RiSE_EEEESG_SG_NS1_16binary_search_opENS9_16wrapped_functionINS8_7greaterIiEEbEEEE10hipError_tPvRmT1_T2_T3_mmT4_T5_P12ihipStream_tbEUlRKiE_EESQ_SU_SV_mSW_SZ_bEUlT_E_NS1_11comp_targetILNS1_3genE3ELNS1_11target_archE908ELNS1_3gpuE7ELNS1_3repE0EEENS1_30default_config_static_selectorELNS0_4arch9wavefront6targetE0EEEvST_.has_indirect_call, 0
	.section	.AMDGPU.csdata,"",@progbits
; Kernel info:
; codeLenInByte = 0
; TotalNumSgprs: 0
; NumVgprs: 0
; ScratchSize: 0
; MemoryBound: 0
; FloatMode: 240
; IeeeMode: 1
; LDSByteSize: 0 bytes/workgroup (compile time only)
; SGPRBlocks: 0
; VGPRBlocks: 0
; NumSGPRsForWavesPerEU: 1
; NumVGPRsForWavesPerEU: 1
; NamedBarCnt: 0
; Occupancy: 16
; WaveLimiterHint : 0
; COMPUTE_PGM_RSRC2:SCRATCH_EN: 0
; COMPUTE_PGM_RSRC2:USER_SGPR: 2
; COMPUTE_PGM_RSRC2:TRAP_HANDLER: 0
; COMPUTE_PGM_RSRC2:TGID_X_EN: 1
; COMPUTE_PGM_RSRC2:TGID_Y_EN: 0
; COMPUTE_PGM_RSRC2:TGID_Z_EN: 0
; COMPUTE_PGM_RSRC2:TIDIG_COMP_CNT: 0
	.section	.text._ZN7rocprim17ROCPRIM_400000_NS6detail17trampoline_kernelINS0_14default_configENS1_29binary_search_config_selectorIiiEEZNS1_14transform_implILb0ES3_S5_N6thrust23THRUST_200600_302600_NS6detail15normal_iteratorINS8_7pointerIiNS8_11hip_rocprim3tagENS8_11use_defaultESE_EEEESG_ZNS1_13binary_searchIS3_S5_NSA_INSB_IiSD_RiSE_EEEESG_SG_NS1_16binary_search_opENS9_16wrapped_functionINS8_7greaterIiEEbEEEE10hipError_tPvRmT1_T2_T3_mmT4_T5_P12ihipStream_tbEUlRKiE_EESQ_SU_SV_mSW_SZ_bEUlT_E_NS1_11comp_targetILNS1_3genE2ELNS1_11target_archE906ELNS1_3gpuE6ELNS1_3repE0EEENS1_30default_config_static_selectorELNS0_4arch9wavefront6targetE0EEEvST_,"axG",@progbits,_ZN7rocprim17ROCPRIM_400000_NS6detail17trampoline_kernelINS0_14default_configENS1_29binary_search_config_selectorIiiEEZNS1_14transform_implILb0ES3_S5_N6thrust23THRUST_200600_302600_NS6detail15normal_iteratorINS8_7pointerIiNS8_11hip_rocprim3tagENS8_11use_defaultESE_EEEESG_ZNS1_13binary_searchIS3_S5_NSA_INSB_IiSD_RiSE_EEEESG_SG_NS1_16binary_search_opENS9_16wrapped_functionINS8_7greaterIiEEbEEEE10hipError_tPvRmT1_T2_T3_mmT4_T5_P12ihipStream_tbEUlRKiE_EESQ_SU_SV_mSW_SZ_bEUlT_E_NS1_11comp_targetILNS1_3genE2ELNS1_11target_archE906ELNS1_3gpuE6ELNS1_3repE0EEENS1_30default_config_static_selectorELNS0_4arch9wavefront6targetE0EEEvST_,comdat
	.protected	_ZN7rocprim17ROCPRIM_400000_NS6detail17trampoline_kernelINS0_14default_configENS1_29binary_search_config_selectorIiiEEZNS1_14transform_implILb0ES3_S5_N6thrust23THRUST_200600_302600_NS6detail15normal_iteratorINS8_7pointerIiNS8_11hip_rocprim3tagENS8_11use_defaultESE_EEEESG_ZNS1_13binary_searchIS3_S5_NSA_INSB_IiSD_RiSE_EEEESG_SG_NS1_16binary_search_opENS9_16wrapped_functionINS8_7greaterIiEEbEEEE10hipError_tPvRmT1_T2_T3_mmT4_T5_P12ihipStream_tbEUlRKiE_EESQ_SU_SV_mSW_SZ_bEUlT_E_NS1_11comp_targetILNS1_3genE2ELNS1_11target_archE906ELNS1_3gpuE6ELNS1_3repE0EEENS1_30default_config_static_selectorELNS0_4arch9wavefront6targetE0EEEvST_ ; -- Begin function _ZN7rocprim17ROCPRIM_400000_NS6detail17trampoline_kernelINS0_14default_configENS1_29binary_search_config_selectorIiiEEZNS1_14transform_implILb0ES3_S5_N6thrust23THRUST_200600_302600_NS6detail15normal_iteratorINS8_7pointerIiNS8_11hip_rocprim3tagENS8_11use_defaultESE_EEEESG_ZNS1_13binary_searchIS3_S5_NSA_INSB_IiSD_RiSE_EEEESG_SG_NS1_16binary_search_opENS9_16wrapped_functionINS8_7greaterIiEEbEEEE10hipError_tPvRmT1_T2_T3_mmT4_T5_P12ihipStream_tbEUlRKiE_EESQ_SU_SV_mSW_SZ_bEUlT_E_NS1_11comp_targetILNS1_3genE2ELNS1_11target_archE906ELNS1_3gpuE6ELNS1_3repE0EEENS1_30default_config_static_selectorELNS0_4arch9wavefront6targetE0EEEvST_
	.globl	_ZN7rocprim17ROCPRIM_400000_NS6detail17trampoline_kernelINS0_14default_configENS1_29binary_search_config_selectorIiiEEZNS1_14transform_implILb0ES3_S5_N6thrust23THRUST_200600_302600_NS6detail15normal_iteratorINS8_7pointerIiNS8_11hip_rocprim3tagENS8_11use_defaultESE_EEEESG_ZNS1_13binary_searchIS3_S5_NSA_INSB_IiSD_RiSE_EEEESG_SG_NS1_16binary_search_opENS9_16wrapped_functionINS8_7greaterIiEEbEEEE10hipError_tPvRmT1_T2_T3_mmT4_T5_P12ihipStream_tbEUlRKiE_EESQ_SU_SV_mSW_SZ_bEUlT_E_NS1_11comp_targetILNS1_3genE2ELNS1_11target_archE906ELNS1_3gpuE6ELNS1_3repE0EEENS1_30default_config_static_selectorELNS0_4arch9wavefront6targetE0EEEvST_
	.p2align	8
	.type	_ZN7rocprim17ROCPRIM_400000_NS6detail17trampoline_kernelINS0_14default_configENS1_29binary_search_config_selectorIiiEEZNS1_14transform_implILb0ES3_S5_N6thrust23THRUST_200600_302600_NS6detail15normal_iteratorINS8_7pointerIiNS8_11hip_rocprim3tagENS8_11use_defaultESE_EEEESG_ZNS1_13binary_searchIS3_S5_NSA_INSB_IiSD_RiSE_EEEESG_SG_NS1_16binary_search_opENS9_16wrapped_functionINS8_7greaterIiEEbEEEE10hipError_tPvRmT1_T2_T3_mmT4_T5_P12ihipStream_tbEUlRKiE_EESQ_SU_SV_mSW_SZ_bEUlT_E_NS1_11comp_targetILNS1_3genE2ELNS1_11target_archE906ELNS1_3gpuE6ELNS1_3repE0EEENS1_30default_config_static_selectorELNS0_4arch9wavefront6targetE0EEEvST_,@function
_ZN7rocprim17ROCPRIM_400000_NS6detail17trampoline_kernelINS0_14default_configENS1_29binary_search_config_selectorIiiEEZNS1_14transform_implILb0ES3_S5_N6thrust23THRUST_200600_302600_NS6detail15normal_iteratorINS8_7pointerIiNS8_11hip_rocprim3tagENS8_11use_defaultESE_EEEESG_ZNS1_13binary_searchIS3_S5_NSA_INSB_IiSD_RiSE_EEEESG_SG_NS1_16binary_search_opENS9_16wrapped_functionINS8_7greaterIiEEbEEEE10hipError_tPvRmT1_T2_T3_mmT4_T5_P12ihipStream_tbEUlRKiE_EESQ_SU_SV_mSW_SZ_bEUlT_E_NS1_11comp_targetILNS1_3genE2ELNS1_11target_archE906ELNS1_3gpuE6ELNS1_3repE0EEENS1_30default_config_static_selectorELNS0_4arch9wavefront6targetE0EEEvST_: ; @_ZN7rocprim17ROCPRIM_400000_NS6detail17trampoline_kernelINS0_14default_configENS1_29binary_search_config_selectorIiiEEZNS1_14transform_implILb0ES3_S5_N6thrust23THRUST_200600_302600_NS6detail15normal_iteratorINS8_7pointerIiNS8_11hip_rocprim3tagENS8_11use_defaultESE_EEEESG_ZNS1_13binary_searchIS3_S5_NSA_INSB_IiSD_RiSE_EEEESG_SG_NS1_16binary_search_opENS9_16wrapped_functionINS8_7greaterIiEEbEEEE10hipError_tPvRmT1_T2_T3_mmT4_T5_P12ihipStream_tbEUlRKiE_EESQ_SU_SV_mSW_SZ_bEUlT_E_NS1_11comp_targetILNS1_3genE2ELNS1_11target_archE906ELNS1_3gpuE6ELNS1_3repE0EEENS1_30default_config_static_selectorELNS0_4arch9wavefront6targetE0EEEvST_
; %bb.0:
	.section	.rodata,"a",@progbits
	.p2align	6, 0x0
	.amdhsa_kernel _ZN7rocprim17ROCPRIM_400000_NS6detail17trampoline_kernelINS0_14default_configENS1_29binary_search_config_selectorIiiEEZNS1_14transform_implILb0ES3_S5_N6thrust23THRUST_200600_302600_NS6detail15normal_iteratorINS8_7pointerIiNS8_11hip_rocprim3tagENS8_11use_defaultESE_EEEESG_ZNS1_13binary_searchIS3_S5_NSA_INSB_IiSD_RiSE_EEEESG_SG_NS1_16binary_search_opENS9_16wrapped_functionINS8_7greaterIiEEbEEEE10hipError_tPvRmT1_T2_T3_mmT4_T5_P12ihipStream_tbEUlRKiE_EESQ_SU_SV_mSW_SZ_bEUlT_E_NS1_11comp_targetILNS1_3genE2ELNS1_11target_archE906ELNS1_3gpuE6ELNS1_3repE0EEENS1_30default_config_static_selectorELNS0_4arch9wavefront6targetE0EEEvST_
		.amdhsa_group_segment_fixed_size 0
		.amdhsa_private_segment_fixed_size 0
		.amdhsa_kernarg_size 56
		.amdhsa_user_sgpr_count 2
		.amdhsa_user_sgpr_dispatch_ptr 0
		.amdhsa_user_sgpr_queue_ptr 0
		.amdhsa_user_sgpr_kernarg_segment_ptr 1
		.amdhsa_user_sgpr_dispatch_id 0
		.amdhsa_user_sgpr_kernarg_preload_length 0
		.amdhsa_user_sgpr_kernarg_preload_offset 0
		.amdhsa_user_sgpr_private_segment_size 0
		.amdhsa_wavefront_size32 1
		.amdhsa_uses_dynamic_stack 0
		.amdhsa_enable_private_segment 0
		.amdhsa_system_sgpr_workgroup_id_x 1
		.amdhsa_system_sgpr_workgroup_id_y 0
		.amdhsa_system_sgpr_workgroup_id_z 0
		.amdhsa_system_sgpr_workgroup_info 0
		.amdhsa_system_vgpr_workitem_id 0
		.amdhsa_next_free_vgpr 1
		.amdhsa_next_free_sgpr 1
		.amdhsa_named_barrier_count 0
		.amdhsa_reserve_vcc 0
		.amdhsa_float_round_mode_32 0
		.amdhsa_float_round_mode_16_64 0
		.amdhsa_float_denorm_mode_32 3
		.amdhsa_float_denorm_mode_16_64 3
		.amdhsa_fp16_overflow 0
		.amdhsa_memory_ordered 1
		.amdhsa_forward_progress 1
		.amdhsa_inst_pref_size 0
		.amdhsa_round_robin_scheduling 0
		.amdhsa_exception_fp_ieee_invalid_op 0
		.amdhsa_exception_fp_denorm_src 0
		.amdhsa_exception_fp_ieee_div_zero 0
		.amdhsa_exception_fp_ieee_overflow 0
		.amdhsa_exception_fp_ieee_underflow 0
		.amdhsa_exception_fp_ieee_inexact 0
		.amdhsa_exception_int_div_zero 0
	.end_amdhsa_kernel
	.section	.text._ZN7rocprim17ROCPRIM_400000_NS6detail17trampoline_kernelINS0_14default_configENS1_29binary_search_config_selectorIiiEEZNS1_14transform_implILb0ES3_S5_N6thrust23THRUST_200600_302600_NS6detail15normal_iteratorINS8_7pointerIiNS8_11hip_rocprim3tagENS8_11use_defaultESE_EEEESG_ZNS1_13binary_searchIS3_S5_NSA_INSB_IiSD_RiSE_EEEESG_SG_NS1_16binary_search_opENS9_16wrapped_functionINS8_7greaterIiEEbEEEE10hipError_tPvRmT1_T2_T3_mmT4_T5_P12ihipStream_tbEUlRKiE_EESQ_SU_SV_mSW_SZ_bEUlT_E_NS1_11comp_targetILNS1_3genE2ELNS1_11target_archE906ELNS1_3gpuE6ELNS1_3repE0EEENS1_30default_config_static_selectorELNS0_4arch9wavefront6targetE0EEEvST_,"axG",@progbits,_ZN7rocprim17ROCPRIM_400000_NS6detail17trampoline_kernelINS0_14default_configENS1_29binary_search_config_selectorIiiEEZNS1_14transform_implILb0ES3_S5_N6thrust23THRUST_200600_302600_NS6detail15normal_iteratorINS8_7pointerIiNS8_11hip_rocprim3tagENS8_11use_defaultESE_EEEESG_ZNS1_13binary_searchIS3_S5_NSA_INSB_IiSD_RiSE_EEEESG_SG_NS1_16binary_search_opENS9_16wrapped_functionINS8_7greaterIiEEbEEEE10hipError_tPvRmT1_T2_T3_mmT4_T5_P12ihipStream_tbEUlRKiE_EESQ_SU_SV_mSW_SZ_bEUlT_E_NS1_11comp_targetILNS1_3genE2ELNS1_11target_archE906ELNS1_3gpuE6ELNS1_3repE0EEENS1_30default_config_static_selectorELNS0_4arch9wavefront6targetE0EEEvST_,comdat
.Lfunc_end198:
	.size	_ZN7rocprim17ROCPRIM_400000_NS6detail17trampoline_kernelINS0_14default_configENS1_29binary_search_config_selectorIiiEEZNS1_14transform_implILb0ES3_S5_N6thrust23THRUST_200600_302600_NS6detail15normal_iteratorINS8_7pointerIiNS8_11hip_rocprim3tagENS8_11use_defaultESE_EEEESG_ZNS1_13binary_searchIS3_S5_NSA_INSB_IiSD_RiSE_EEEESG_SG_NS1_16binary_search_opENS9_16wrapped_functionINS8_7greaterIiEEbEEEE10hipError_tPvRmT1_T2_T3_mmT4_T5_P12ihipStream_tbEUlRKiE_EESQ_SU_SV_mSW_SZ_bEUlT_E_NS1_11comp_targetILNS1_3genE2ELNS1_11target_archE906ELNS1_3gpuE6ELNS1_3repE0EEENS1_30default_config_static_selectorELNS0_4arch9wavefront6targetE0EEEvST_, .Lfunc_end198-_ZN7rocprim17ROCPRIM_400000_NS6detail17trampoline_kernelINS0_14default_configENS1_29binary_search_config_selectorIiiEEZNS1_14transform_implILb0ES3_S5_N6thrust23THRUST_200600_302600_NS6detail15normal_iteratorINS8_7pointerIiNS8_11hip_rocprim3tagENS8_11use_defaultESE_EEEESG_ZNS1_13binary_searchIS3_S5_NSA_INSB_IiSD_RiSE_EEEESG_SG_NS1_16binary_search_opENS9_16wrapped_functionINS8_7greaterIiEEbEEEE10hipError_tPvRmT1_T2_T3_mmT4_T5_P12ihipStream_tbEUlRKiE_EESQ_SU_SV_mSW_SZ_bEUlT_E_NS1_11comp_targetILNS1_3genE2ELNS1_11target_archE906ELNS1_3gpuE6ELNS1_3repE0EEENS1_30default_config_static_selectorELNS0_4arch9wavefront6targetE0EEEvST_
                                        ; -- End function
	.set _ZN7rocprim17ROCPRIM_400000_NS6detail17trampoline_kernelINS0_14default_configENS1_29binary_search_config_selectorIiiEEZNS1_14transform_implILb0ES3_S5_N6thrust23THRUST_200600_302600_NS6detail15normal_iteratorINS8_7pointerIiNS8_11hip_rocprim3tagENS8_11use_defaultESE_EEEESG_ZNS1_13binary_searchIS3_S5_NSA_INSB_IiSD_RiSE_EEEESG_SG_NS1_16binary_search_opENS9_16wrapped_functionINS8_7greaterIiEEbEEEE10hipError_tPvRmT1_T2_T3_mmT4_T5_P12ihipStream_tbEUlRKiE_EESQ_SU_SV_mSW_SZ_bEUlT_E_NS1_11comp_targetILNS1_3genE2ELNS1_11target_archE906ELNS1_3gpuE6ELNS1_3repE0EEENS1_30default_config_static_selectorELNS0_4arch9wavefront6targetE0EEEvST_.num_vgpr, 0
	.set _ZN7rocprim17ROCPRIM_400000_NS6detail17trampoline_kernelINS0_14default_configENS1_29binary_search_config_selectorIiiEEZNS1_14transform_implILb0ES3_S5_N6thrust23THRUST_200600_302600_NS6detail15normal_iteratorINS8_7pointerIiNS8_11hip_rocprim3tagENS8_11use_defaultESE_EEEESG_ZNS1_13binary_searchIS3_S5_NSA_INSB_IiSD_RiSE_EEEESG_SG_NS1_16binary_search_opENS9_16wrapped_functionINS8_7greaterIiEEbEEEE10hipError_tPvRmT1_T2_T3_mmT4_T5_P12ihipStream_tbEUlRKiE_EESQ_SU_SV_mSW_SZ_bEUlT_E_NS1_11comp_targetILNS1_3genE2ELNS1_11target_archE906ELNS1_3gpuE6ELNS1_3repE0EEENS1_30default_config_static_selectorELNS0_4arch9wavefront6targetE0EEEvST_.num_agpr, 0
	.set _ZN7rocprim17ROCPRIM_400000_NS6detail17trampoline_kernelINS0_14default_configENS1_29binary_search_config_selectorIiiEEZNS1_14transform_implILb0ES3_S5_N6thrust23THRUST_200600_302600_NS6detail15normal_iteratorINS8_7pointerIiNS8_11hip_rocprim3tagENS8_11use_defaultESE_EEEESG_ZNS1_13binary_searchIS3_S5_NSA_INSB_IiSD_RiSE_EEEESG_SG_NS1_16binary_search_opENS9_16wrapped_functionINS8_7greaterIiEEbEEEE10hipError_tPvRmT1_T2_T3_mmT4_T5_P12ihipStream_tbEUlRKiE_EESQ_SU_SV_mSW_SZ_bEUlT_E_NS1_11comp_targetILNS1_3genE2ELNS1_11target_archE906ELNS1_3gpuE6ELNS1_3repE0EEENS1_30default_config_static_selectorELNS0_4arch9wavefront6targetE0EEEvST_.numbered_sgpr, 0
	.set _ZN7rocprim17ROCPRIM_400000_NS6detail17trampoline_kernelINS0_14default_configENS1_29binary_search_config_selectorIiiEEZNS1_14transform_implILb0ES3_S5_N6thrust23THRUST_200600_302600_NS6detail15normal_iteratorINS8_7pointerIiNS8_11hip_rocprim3tagENS8_11use_defaultESE_EEEESG_ZNS1_13binary_searchIS3_S5_NSA_INSB_IiSD_RiSE_EEEESG_SG_NS1_16binary_search_opENS9_16wrapped_functionINS8_7greaterIiEEbEEEE10hipError_tPvRmT1_T2_T3_mmT4_T5_P12ihipStream_tbEUlRKiE_EESQ_SU_SV_mSW_SZ_bEUlT_E_NS1_11comp_targetILNS1_3genE2ELNS1_11target_archE906ELNS1_3gpuE6ELNS1_3repE0EEENS1_30default_config_static_selectorELNS0_4arch9wavefront6targetE0EEEvST_.num_named_barrier, 0
	.set _ZN7rocprim17ROCPRIM_400000_NS6detail17trampoline_kernelINS0_14default_configENS1_29binary_search_config_selectorIiiEEZNS1_14transform_implILb0ES3_S5_N6thrust23THRUST_200600_302600_NS6detail15normal_iteratorINS8_7pointerIiNS8_11hip_rocprim3tagENS8_11use_defaultESE_EEEESG_ZNS1_13binary_searchIS3_S5_NSA_INSB_IiSD_RiSE_EEEESG_SG_NS1_16binary_search_opENS9_16wrapped_functionINS8_7greaterIiEEbEEEE10hipError_tPvRmT1_T2_T3_mmT4_T5_P12ihipStream_tbEUlRKiE_EESQ_SU_SV_mSW_SZ_bEUlT_E_NS1_11comp_targetILNS1_3genE2ELNS1_11target_archE906ELNS1_3gpuE6ELNS1_3repE0EEENS1_30default_config_static_selectorELNS0_4arch9wavefront6targetE0EEEvST_.private_seg_size, 0
	.set _ZN7rocprim17ROCPRIM_400000_NS6detail17trampoline_kernelINS0_14default_configENS1_29binary_search_config_selectorIiiEEZNS1_14transform_implILb0ES3_S5_N6thrust23THRUST_200600_302600_NS6detail15normal_iteratorINS8_7pointerIiNS8_11hip_rocprim3tagENS8_11use_defaultESE_EEEESG_ZNS1_13binary_searchIS3_S5_NSA_INSB_IiSD_RiSE_EEEESG_SG_NS1_16binary_search_opENS9_16wrapped_functionINS8_7greaterIiEEbEEEE10hipError_tPvRmT1_T2_T3_mmT4_T5_P12ihipStream_tbEUlRKiE_EESQ_SU_SV_mSW_SZ_bEUlT_E_NS1_11comp_targetILNS1_3genE2ELNS1_11target_archE906ELNS1_3gpuE6ELNS1_3repE0EEENS1_30default_config_static_selectorELNS0_4arch9wavefront6targetE0EEEvST_.uses_vcc, 0
	.set _ZN7rocprim17ROCPRIM_400000_NS6detail17trampoline_kernelINS0_14default_configENS1_29binary_search_config_selectorIiiEEZNS1_14transform_implILb0ES3_S5_N6thrust23THRUST_200600_302600_NS6detail15normal_iteratorINS8_7pointerIiNS8_11hip_rocprim3tagENS8_11use_defaultESE_EEEESG_ZNS1_13binary_searchIS3_S5_NSA_INSB_IiSD_RiSE_EEEESG_SG_NS1_16binary_search_opENS9_16wrapped_functionINS8_7greaterIiEEbEEEE10hipError_tPvRmT1_T2_T3_mmT4_T5_P12ihipStream_tbEUlRKiE_EESQ_SU_SV_mSW_SZ_bEUlT_E_NS1_11comp_targetILNS1_3genE2ELNS1_11target_archE906ELNS1_3gpuE6ELNS1_3repE0EEENS1_30default_config_static_selectorELNS0_4arch9wavefront6targetE0EEEvST_.uses_flat_scratch, 0
	.set _ZN7rocprim17ROCPRIM_400000_NS6detail17trampoline_kernelINS0_14default_configENS1_29binary_search_config_selectorIiiEEZNS1_14transform_implILb0ES3_S5_N6thrust23THRUST_200600_302600_NS6detail15normal_iteratorINS8_7pointerIiNS8_11hip_rocprim3tagENS8_11use_defaultESE_EEEESG_ZNS1_13binary_searchIS3_S5_NSA_INSB_IiSD_RiSE_EEEESG_SG_NS1_16binary_search_opENS9_16wrapped_functionINS8_7greaterIiEEbEEEE10hipError_tPvRmT1_T2_T3_mmT4_T5_P12ihipStream_tbEUlRKiE_EESQ_SU_SV_mSW_SZ_bEUlT_E_NS1_11comp_targetILNS1_3genE2ELNS1_11target_archE906ELNS1_3gpuE6ELNS1_3repE0EEENS1_30default_config_static_selectorELNS0_4arch9wavefront6targetE0EEEvST_.has_dyn_sized_stack, 0
	.set _ZN7rocprim17ROCPRIM_400000_NS6detail17trampoline_kernelINS0_14default_configENS1_29binary_search_config_selectorIiiEEZNS1_14transform_implILb0ES3_S5_N6thrust23THRUST_200600_302600_NS6detail15normal_iteratorINS8_7pointerIiNS8_11hip_rocprim3tagENS8_11use_defaultESE_EEEESG_ZNS1_13binary_searchIS3_S5_NSA_INSB_IiSD_RiSE_EEEESG_SG_NS1_16binary_search_opENS9_16wrapped_functionINS8_7greaterIiEEbEEEE10hipError_tPvRmT1_T2_T3_mmT4_T5_P12ihipStream_tbEUlRKiE_EESQ_SU_SV_mSW_SZ_bEUlT_E_NS1_11comp_targetILNS1_3genE2ELNS1_11target_archE906ELNS1_3gpuE6ELNS1_3repE0EEENS1_30default_config_static_selectorELNS0_4arch9wavefront6targetE0EEEvST_.has_recursion, 0
	.set _ZN7rocprim17ROCPRIM_400000_NS6detail17trampoline_kernelINS0_14default_configENS1_29binary_search_config_selectorIiiEEZNS1_14transform_implILb0ES3_S5_N6thrust23THRUST_200600_302600_NS6detail15normal_iteratorINS8_7pointerIiNS8_11hip_rocprim3tagENS8_11use_defaultESE_EEEESG_ZNS1_13binary_searchIS3_S5_NSA_INSB_IiSD_RiSE_EEEESG_SG_NS1_16binary_search_opENS9_16wrapped_functionINS8_7greaterIiEEbEEEE10hipError_tPvRmT1_T2_T3_mmT4_T5_P12ihipStream_tbEUlRKiE_EESQ_SU_SV_mSW_SZ_bEUlT_E_NS1_11comp_targetILNS1_3genE2ELNS1_11target_archE906ELNS1_3gpuE6ELNS1_3repE0EEENS1_30default_config_static_selectorELNS0_4arch9wavefront6targetE0EEEvST_.has_indirect_call, 0
	.section	.AMDGPU.csdata,"",@progbits
; Kernel info:
; codeLenInByte = 0
; TotalNumSgprs: 0
; NumVgprs: 0
; ScratchSize: 0
; MemoryBound: 0
; FloatMode: 240
; IeeeMode: 1
; LDSByteSize: 0 bytes/workgroup (compile time only)
; SGPRBlocks: 0
; VGPRBlocks: 0
; NumSGPRsForWavesPerEU: 1
; NumVGPRsForWavesPerEU: 1
; NamedBarCnt: 0
; Occupancy: 16
; WaveLimiterHint : 0
; COMPUTE_PGM_RSRC2:SCRATCH_EN: 0
; COMPUTE_PGM_RSRC2:USER_SGPR: 2
; COMPUTE_PGM_RSRC2:TRAP_HANDLER: 0
; COMPUTE_PGM_RSRC2:TGID_X_EN: 1
; COMPUTE_PGM_RSRC2:TGID_Y_EN: 0
; COMPUTE_PGM_RSRC2:TGID_Z_EN: 0
; COMPUTE_PGM_RSRC2:TIDIG_COMP_CNT: 0
	.section	.text._ZN7rocprim17ROCPRIM_400000_NS6detail17trampoline_kernelINS0_14default_configENS1_29binary_search_config_selectorIiiEEZNS1_14transform_implILb0ES3_S5_N6thrust23THRUST_200600_302600_NS6detail15normal_iteratorINS8_7pointerIiNS8_11hip_rocprim3tagENS8_11use_defaultESE_EEEESG_ZNS1_13binary_searchIS3_S5_NSA_INSB_IiSD_RiSE_EEEESG_SG_NS1_16binary_search_opENS9_16wrapped_functionINS8_7greaterIiEEbEEEE10hipError_tPvRmT1_T2_T3_mmT4_T5_P12ihipStream_tbEUlRKiE_EESQ_SU_SV_mSW_SZ_bEUlT_E_NS1_11comp_targetILNS1_3genE10ELNS1_11target_archE1201ELNS1_3gpuE5ELNS1_3repE0EEENS1_30default_config_static_selectorELNS0_4arch9wavefront6targetE0EEEvST_,"axG",@progbits,_ZN7rocprim17ROCPRIM_400000_NS6detail17trampoline_kernelINS0_14default_configENS1_29binary_search_config_selectorIiiEEZNS1_14transform_implILb0ES3_S5_N6thrust23THRUST_200600_302600_NS6detail15normal_iteratorINS8_7pointerIiNS8_11hip_rocprim3tagENS8_11use_defaultESE_EEEESG_ZNS1_13binary_searchIS3_S5_NSA_INSB_IiSD_RiSE_EEEESG_SG_NS1_16binary_search_opENS9_16wrapped_functionINS8_7greaterIiEEbEEEE10hipError_tPvRmT1_T2_T3_mmT4_T5_P12ihipStream_tbEUlRKiE_EESQ_SU_SV_mSW_SZ_bEUlT_E_NS1_11comp_targetILNS1_3genE10ELNS1_11target_archE1201ELNS1_3gpuE5ELNS1_3repE0EEENS1_30default_config_static_selectorELNS0_4arch9wavefront6targetE0EEEvST_,comdat
	.protected	_ZN7rocprim17ROCPRIM_400000_NS6detail17trampoline_kernelINS0_14default_configENS1_29binary_search_config_selectorIiiEEZNS1_14transform_implILb0ES3_S5_N6thrust23THRUST_200600_302600_NS6detail15normal_iteratorINS8_7pointerIiNS8_11hip_rocprim3tagENS8_11use_defaultESE_EEEESG_ZNS1_13binary_searchIS3_S5_NSA_INSB_IiSD_RiSE_EEEESG_SG_NS1_16binary_search_opENS9_16wrapped_functionINS8_7greaterIiEEbEEEE10hipError_tPvRmT1_T2_T3_mmT4_T5_P12ihipStream_tbEUlRKiE_EESQ_SU_SV_mSW_SZ_bEUlT_E_NS1_11comp_targetILNS1_3genE10ELNS1_11target_archE1201ELNS1_3gpuE5ELNS1_3repE0EEENS1_30default_config_static_selectorELNS0_4arch9wavefront6targetE0EEEvST_ ; -- Begin function _ZN7rocprim17ROCPRIM_400000_NS6detail17trampoline_kernelINS0_14default_configENS1_29binary_search_config_selectorIiiEEZNS1_14transform_implILb0ES3_S5_N6thrust23THRUST_200600_302600_NS6detail15normal_iteratorINS8_7pointerIiNS8_11hip_rocprim3tagENS8_11use_defaultESE_EEEESG_ZNS1_13binary_searchIS3_S5_NSA_INSB_IiSD_RiSE_EEEESG_SG_NS1_16binary_search_opENS9_16wrapped_functionINS8_7greaterIiEEbEEEE10hipError_tPvRmT1_T2_T3_mmT4_T5_P12ihipStream_tbEUlRKiE_EESQ_SU_SV_mSW_SZ_bEUlT_E_NS1_11comp_targetILNS1_3genE10ELNS1_11target_archE1201ELNS1_3gpuE5ELNS1_3repE0EEENS1_30default_config_static_selectorELNS0_4arch9wavefront6targetE0EEEvST_
	.globl	_ZN7rocprim17ROCPRIM_400000_NS6detail17trampoline_kernelINS0_14default_configENS1_29binary_search_config_selectorIiiEEZNS1_14transform_implILb0ES3_S5_N6thrust23THRUST_200600_302600_NS6detail15normal_iteratorINS8_7pointerIiNS8_11hip_rocprim3tagENS8_11use_defaultESE_EEEESG_ZNS1_13binary_searchIS3_S5_NSA_INSB_IiSD_RiSE_EEEESG_SG_NS1_16binary_search_opENS9_16wrapped_functionINS8_7greaterIiEEbEEEE10hipError_tPvRmT1_T2_T3_mmT4_T5_P12ihipStream_tbEUlRKiE_EESQ_SU_SV_mSW_SZ_bEUlT_E_NS1_11comp_targetILNS1_3genE10ELNS1_11target_archE1201ELNS1_3gpuE5ELNS1_3repE0EEENS1_30default_config_static_selectorELNS0_4arch9wavefront6targetE0EEEvST_
	.p2align	8
	.type	_ZN7rocprim17ROCPRIM_400000_NS6detail17trampoline_kernelINS0_14default_configENS1_29binary_search_config_selectorIiiEEZNS1_14transform_implILb0ES3_S5_N6thrust23THRUST_200600_302600_NS6detail15normal_iteratorINS8_7pointerIiNS8_11hip_rocprim3tagENS8_11use_defaultESE_EEEESG_ZNS1_13binary_searchIS3_S5_NSA_INSB_IiSD_RiSE_EEEESG_SG_NS1_16binary_search_opENS9_16wrapped_functionINS8_7greaterIiEEbEEEE10hipError_tPvRmT1_T2_T3_mmT4_T5_P12ihipStream_tbEUlRKiE_EESQ_SU_SV_mSW_SZ_bEUlT_E_NS1_11comp_targetILNS1_3genE10ELNS1_11target_archE1201ELNS1_3gpuE5ELNS1_3repE0EEENS1_30default_config_static_selectorELNS0_4arch9wavefront6targetE0EEEvST_,@function
_ZN7rocprim17ROCPRIM_400000_NS6detail17trampoline_kernelINS0_14default_configENS1_29binary_search_config_selectorIiiEEZNS1_14transform_implILb0ES3_S5_N6thrust23THRUST_200600_302600_NS6detail15normal_iteratorINS8_7pointerIiNS8_11hip_rocprim3tagENS8_11use_defaultESE_EEEESG_ZNS1_13binary_searchIS3_S5_NSA_INSB_IiSD_RiSE_EEEESG_SG_NS1_16binary_search_opENS9_16wrapped_functionINS8_7greaterIiEEbEEEE10hipError_tPvRmT1_T2_T3_mmT4_T5_P12ihipStream_tbEUlRKiE_EESQ_SU_SV_mSW_SZ_bEUlT_E_NS1_11comp_targetILNS1_3genE10ELNS1_11target_archE1201ELNS1_3gpuE5ELNS1_3repE0EEENS1_30default_config_static_selectorELNS0_4arch9wavefront6targetE0EEEvST_: ; @_ZN7rocprim17ROCPRIM_400000_NS6detail17trampoline_kernelINS0_14default_configENS1_29binary_search_config_selectorIiiEEZNS1_14transform_implILb0ES3_S5_N6thrust23THRUST_200600_302600_NS6detail15normal_iteratorINS8_7pointerIiNS8_11hip_rocprim3tagENS8_11use_defaultESE_EEEESG_ZNS1_13binary_searchIS3_S5_NSA_INSB_IiSD_RiSE_EEEESG_SG_NS1_16binary_search_opENS9_16wrapped_functionINS8_7greaterIiEEbEEEE10hipError_tPvRmT1_T2_T3_mmT4_T5_P12ihipStream_tbEUlRKiE_EESQ_SU_SV_mSW_SZ_bEUlT_E_NS1_11comp_targetILNS1_3genE10ELNS1_11target_archE1201ELNS1_3gpuE5ELNS1_3repE0EEENS1_30default_config_static_selectorELNS0_4arch9wavefront6targetE0EEEvST_
; %bb.0:
	.section	.rodata,"a",@progbits
	.p2align	6, 0x0
	.amdhsa_kernel _ZN7rocprim17ROCPRIM_400000_NS6detail17trampoline_kernelINS0_14default_configENS1_29binary_search_config_selectorIiiEEZNS1_14transform_implILb0ES3_S5_N6thrust23THRUST_200600_302600_NS6detail15normal_iteratorINS8_7pointerIiNS8_11hip_rocprim3tagENS8_11use_defaultESE_EEEESG_ZNS1_13binary_searchIS3_S5_NSA_INSB_IiSD_RiSE_EEEESG_SG_NS1_16binary_search_opENS9_16wrapped_functionINS8_7greaterIiEEbEEEE10hipError_tPvRmT1_T2_T3_mmT4_T5_P12ihipStream_tbEUlRKiE_EESQ_SU_SV_mSW_SZ_bEUlT_E_NS1_11comp_targetILNS1_3genE10ELNS1_11target_archE1201ELNS1_3gpuE5ELNS1_3repE0EEENS1_30default_config_static_selectorELNS0_4arch9wavefront6targetE0EEEvST_
		.amdhsa_group_segment_fixed_size 0
		.amdhsa_private_segment_fixed_size 0
		.amdhsa_kernarg_size 56
		.amdhsa_user_sgpr_count 2
		.amdhsa_user_sgpr_dispatch_ptr 0
		.amdhsa_user_sgpr_queue_ptr 0
		.amdhsa_user_sgpr_kernarg_segment_ptr 1
		.amdhsa_user_sgpr_dispatch_id 0
		.amdhsa_user_sgpr_kernarg_preload_length 0
		.amdhsa_user_sgpr_kernarg_preload_offset 0
		.amdhsa_user_sgpr_private_segment_size 0
		.amdhsa_wavefront_size32 1
		.amdhsa_uses_dynamic_stack 0
		.amdhsa_enable_private_segment 0
		.amdhsa_system_sgpr_workgroup_id_x 1
		.amdhsa_system_sgpr_workgroup_id_y 0
		.amdhsa_system_sgpr_workgroup_id_z 0
		.amdhsa_system_sgpr_workgroup_info 0
		.amdhsa_system_vgpr_workitem_id 0
		.amdhsa_next_free_vgpr 1
		.amdhsa_next_free_sgpr 1
		.amdhsa_named_barrier_count 0
		.amdhsa_reserve_vcc 0
		.amdhsa_float_round_mode_32 0
		.amdhsa_float_round_mode_16_64 0
		.amdhsa_float_denorm_mode_32 3
		.amdhsa_float_denorm_mode_16_64 3
		.amdhsa_fp16_overflow 0
		.amdhsa_memory_ordered 1
		.amdhsa_forward_progress 1
		.amdhsa_inst_pref_size 0
		.amdhsa_round_robin_scheduling 0
		.amdhsa_exception_fp_ieee_invalid_op 0
		.amdhsa_exception_fp_denorm_src 0
		.amdhsa_exception_fp_ieee_div_zero 0
		.amdhsa_exception_fp_ieee_overflow 0
		.amdhsa_exception_fp_ieee_underflow 0
		.amdhsa_exception_fp_ieee_inexact 0
		.amdhsa_exception_int_div_zero 0
	.end_amdhsa_kernel
	.section	.text._ZN7rocprim17ROCPRIM_400000_NS6detail17trampoline_kernelINS0_14default_configENS1_29binary_search_config_selectorIiiEEZNS1_14transform_implILb0ES3_S5_N6thrust23THRUST_200600_302600_NS6detail15normal_iteratorINS8_7pointerIiNS8_11hip_rocprim3tagENS8_11use_defaultESE_EEEESG_ZNS1_13binary_searchIS3_S5_NSA_INSB_IiSD_RiSE_EEEESG_SG_NS1_16binary_search_opENS9_16wrapped_functionINS8_7greaterIiEEbEEEE10hipError_tPvRmT1_T2_T3_mmT4_T5_P12ihipStream_tbEUlRKiE_EESQ_SU_SV_mSW_SZ_bEUlT_E_NS1_11comp_targetILNS1_3genE10ELNS1_11target_archE1201ELNS1_3gpuE5ELNS1_3repE0EEENS1_30default_config_static_selectorELNS0_4arch9wavefront6targetE0EEEvST_,"axG",@progbits,_ZN7rocprim17ROCPRIM_400000_NS6detail17trampoline_kernelINS0_14default_configENS1_29binary_search_config_selectorIiiEEZNS1_14transform_implILb0ES3_S5_N6thrust23THRUST_200600_302600_NS6detail15normal_iteratorINS8_7pointerIiNS8_11hip_rocprim3tagENS8_11use_defaultESE_EEEESG_ZNS1_13binary_searchIS3_S5_NSA_INSB_IiSD_RiSE_EEEESG_SG_NS1_16binary_search_opENS9_16wrapped_functionINS8_7greaterIiEEbEEEE10hipError_tPvRmT1_T2_T3_mmT4_T5_P12ihipStream_tbEUlRKiE_EESQ_SU_SV_mSW_SZ_bEUlT_E_NS1_11comp_targetILNS1_3genE10ELNS1_11target_archE1201ELNS1_3gpuE5ELNS1_3repE0EEENS1_30default_config_static_selectorELNS0_4arch9wavefront6targetE0EEEvST_,comdat
.Lfunc_end199:
	.size	_ZN7rocprim17ROCPRIM_400000_NS6detail17trampoline_kernelINS0_14default_configENS1_29binary_search_config_selectorIiiEEZNS1_14transform_implILb0ES3_S5_N6thrust23THRUST_200600_302600_NS6detail15normal_iteratorINS8_7pointerIiNS8_11hip_rocprim3tagENS8_11use_defaultESE_EEEESG_ZNS1_13binary_searchIS3_S5_NSA_INSB_IiSD_RiSE_EEEESG_SG_NS1_16binary_search_opENS9_16wrapped_functionINS8_7greaterIiEEbEEEE10hipError_tPvRmT1_T2_T3_mmT4_T5_P12ihipStream_tbEUlRKiE_EESQ_SU_SV_mSW_SZ_bEUlT_E_NS1_11comp_targetILNS1_3genE10ELNS1_11target_archE1201ELNS1_3gpuE5ELNS1_3repE0EEENS1_30default_config_static_selectorELNS0_4arch9wavefront6targetE0EEEvST_, .Lfunc_end199-_ZN7rocprim17ROCPRIM_400000_NS6detail17trampoline_kernelINS0_14default_configENS1_29binary_search_config_selectorIiiEEZNS1_14transform_implILb0ES3_S5_N6thrust23THRUST_200600_302600_NS6detail15normal_iteratorINS8_7pointerIiNS8_11hip_rocprim3tagENS8_11use_defaultESE_EEEESG_ZNS1_13binary_searchIS3_S5_NSA_INSB_IiSD_RiSE_EEEESG_SG_NS1_16binary_search_opENS9_16wrapped_functionINS8_7greaterIiEEbEEEE10hipError_tPvRmT1_T2_T3_mmT4_T5_P12ihipStream_tbEUlRKiE_EESQ_SU_SV_mSW_SZ_bEUlT_E_NS1_11comp_targetILNS1_3genE10ELNS1_11target_archE1201ELNS1_3gpuE5ELNS1_3repE0EEENS1_30default_config_static_selectorELNS0_4arch9wavefront6targetE0EEEvST_
                                        ; -- End function
	.set _ZN7rocprim17ROCPRIM_400000_NS6detail17trampoline_kernelINS0_14default_configENS1_29binary_search_config_selectorIiiEEZNS1_14transform_implILb0ES3_S5_N6thrust23THRUST_200600_302600_NS6detail15normal_iteratorINS8_7pointerIiNS8_11hip_rocprim3tagENS8_11use_defaultESE_EEEESG_ZNS1_13binary_searchIS3_S5_NSA_INSB_IiSD_RiSE_EEEESG_SG_NS1_16binary_search_opENS9_16wrapped_functionINS8_7greaterIiEEbEEEE10hipError_tPvRmT1_T2_T3_mmT4_T5_P12ihipStream_tbEUlRKiE_EESQ_SU_SV_mSW_SZ_bEUlT_E_NS1_11comp_targetILNS1_3genE10ELNS1_11target_archE1201ELNS1_3gpuE5ELNS1_3repE0EEENS1_30default_config_static_selectorELNS0_4arch9wavefront6targetE0EEEvST_.num_vgpr, 0
	.set _ZN7rocprim17ROCPRIM_400000_NS6detail17trampoline_kernelINS0_14default_configENS1_29binary_search_config_selectorIiiEEZNS1_14transform_implILb0ES3_S5_N6thrust23THRUST_200600_302600_NS6detail15normal_iteratorINS8_7pointerIiNS8_11hip_rocprim3tagENS8_11use_defaultESE_EEEESG_ZNS1_13binary_searchIS3_S5_NSA_INSB_IiSD_RiSE_EEEESG_SG_NS1_16binary_search_opENS9_16wrapped_functionINS8_7greaterIiEEbEEEE10hipError_tPvRmT1_T2_T3_mmT4_T5_P12ihipStream_tbEUlRKiE_EESQ_SU_SV_mSW_SZ_bEUlT_E_NS1_11comp_targetILNS1_3genE10ELNS1_11target_archE1201ELNS1_3gpuE5ELNS1_3repE0EEENS1_30default_config_static_selectorELNS0_4arch9wavefront6targetE0EEEvST_.num_agpr, 0
	.set _ZN7rocprim17ROCPRIM_400000_NS6detail17trampoline_kernelINS0_14default_configENS1_29binary_search_config_selectorIiiEEZNS1_14transform_implILb0ES3_S5_N6thrust23THRUST_200600_302600_NS6detail15normal_iteratorINS8_7pointerIiNS8_11hip_rocprim3tagENS8_11use_defaultESE_EEEESG_ZNS1_13binary_searchIS3_S5_NSA_INSB_IiSD_RiSE_EEEESG_SG_NS1_16binary_search_opENS9_16wrapped_functionINS8_7greaterIiEEbEEEE10hipError_tPvRmT1_T2_T3_mmT4_T5_P12ihipStream_tbEUlRKiE_EESQ_SU_SV_mSW_SZ_bEUlT_E_NS1_11comp_targetILNS1_3genE10ELNS1_11target_archE1201ELNS1_3gpuE5ELNS1_3repE0EEENS1_30default_config_static_selectorELNS0_4arch9wavefront6targetE0EEEvST_.numbered_sgpr, 0
	.set _ZN7rocprim17ROCPRIM_400000_NS6detail17trampoline_kernelINS0_14default_configENS1_29binary_search_config_selectorIiiEEZNS1_14transform_implILb0ES3_S5_N6thrust23THRUST_200600_302600_NS6detail15normal_iteratorINS8_7pointerIiNS8_11hip_rocprim3tagENS8_11use_defaultESE_EEEESG_ZNS1_13binary_searchIS3_S5_NSA_INSB_IiSD_RiSE_EEEESG_SG_NS1_16binary_search_opENS9_16wrapped_functionINS8_7greaterIiEEbEEEE10hipError_tPvRmT1_T2_T3_mmT4_T5_P12ihipStream_tbEUlRKiE_EESQ_SU_SV_mSW_SZ_bEUlT_E_NS1_11comp_targetILNS1_3genE10ELNS1_11target_archE1201ELNS1_3gpuE5ELNS1_3repE0EEENS1_30default_config_static_selectorELNS0_4arch9wavefront6targetE0EEEvST_.num_named_barrier, 0
	.set _ZN7rocprim17ROCPRIM_400000_NS6detail17trampoline_kernelINS0_14default_configENS1_29binary_search_config_selectorIiiEEZNS1_14transform_implILb0ES3_S5_N6thrust23THRUST_200600_302600_NS6detail15normal_iteratorINS8_7pointerIiNS8_11hip_rocprim3tagENS8_11use_defaultESE_EEEESG_ZNS1_13binary_searchIS3_S5_NSA_INSB_IiSD_RiSE_EEEESG_SG_NS1_16binary_search_opENS9_16wrapped_functionINS8_7greaterIiEEbEEEE10hipError_tPvRmT1_T2_T3_mmT4_T5_P12ihipStream_tbEUlRKiE_EESQ_SU_SV_mSW_SZ_bEUlT_E_NS1_11comp_targetILNS1_3genE10ELNS1_11target_archE1201ELNS1_3gpuE5ELNS1_3repE0EEENS1_30default_config_static_selectorELNS0_4arch9wavefront6targetE0EEEvST_.private_seg_size, 0
	.set _ZN7rocprim17ROCPRIM_400000_NS6detail17trampoline_kernelINS0_14default_configENS1_29binary_search_config_selectorIiiEEZNS1_14transform_implILb0ES3_S5_N6thrust23THRUST_200600_302600_NS6detail15normal_iteratorINS8_7pointerIiNS8_11hip_rocprim3tagENS8_11use_defaultESE_EEEESG_ZNS1_13binary_searchIS3_S5_NSA_INSB_IiSD_RiSE_EEEESG_SG_NS1_16binary_search_opENS9_16wrapped_functionINS8_7greaterIiEEbEEEE10hipError_tPvRmT1_T2_T3_mmT4_T5_P12ihipStream_tbEUlRKiE_EESQ_SU_SV_mSW_SZ_bEUlT_E_NS1_11comp_targetILNS1_3genE10ELNS1_11target_archE1201ELNS1_3gpuE5ELNS1_3repE0EEENS1_30default_config_static_selectorELNS0_4arch9wavefront6targetE0EEEvST_.uses_vcc, 0
	.set _ZN7rocprim17ROCPRIM_400000_NS6detail17trampoline_kernelINS0_14default_configENS1_29binary_search_config_selectorIiiEEZNS1_14transform_implILb0ES3_S5_N6thrust23THRUST_200600_302600_NS6detail15normal_iteratorINS8_7pointerIiNS8_11hip_rocprim3tagENS8_11use_defaultESE_EEEESG_ZNS1_13binary_searchIS3_S5_NSA_INSB_IiSD_RiSE_EEEESG_SG_NS1_16binary_search_opENS9_16wrapped_functionINS8_7greaterIiEEbEEEE10hipError_tPvRmT1_T2_T3_mmT4_T5_P12ihipStream_tbEUlRKiE_EESQ_SU_SV_mSW_SZ_bEUlT_E_NS1_11comp_targetILNS1_3genE10ELNS1_11target_archE1201ELNS1_3gpuE5ELNS1_3repE0EEENS1_30default_config_static_selectorELNS0_4arch9wavefront6targetE0EEEvST_.uses_flat_scratch, 0
	.set _ZN7rocprim17ROCPRIM_400000_NS6detail17trampoline_kernelINS0_14default_configENS1_29binary_search_config_selectorIiiEEZNS1_14transform_implILb0ES3_S5_N6thrust23THRUST_200600_302600_NS6detail15normal_iteratorINS8_7pointerIiNS8_11hip_rocprim3tagENS8_11use_defaultESE_EEEESG_ZNS1_13binary_searchIS3_S5_NSA_INSB_IiSD_RiSE_EEEESG_SG_NS1_16binary_search_opENS9_16wrapped_functionINS8_7greaterIiEEbEEEE10hipError_tPvRmT1_T2_T3_mmT4_T5_P12ihipStream_tbEUlRKiE_EESQ_SU_SV_mSW_SZ_bEUlT_E_NS1_11comp_targetILNS1_3genE10ELNS1_11target_archE1201ELNS1_3gpuE5ELNS1_3repE0EEENS1_30default_config_static_selectorELNS0_4arch9wavefront6targetE0EEEvST_.has_dyn_sized_stack, 0
	.set _ZN7rocprim17ROCPRIM_400000_NS6detail17trampoline_kernelINS0_14default_configENS1_29binary_search_config_selectorIiiEEZNS1_14transform_implILb0ES3_S5_N6thrust23THRUST_200600_302600_NS6detail15normal_iteratorINS8_7pointerIiNS8_11hip_rocprim3tagENS8_11use_defaultESE_EEEESG_ZNS1_13binary_searchIS3_S5_NSA_INSB_IiSD_RiSE_EEEESG_SG_NS1_16binary_search_opENS9_16wrapped_functionINS8_7greaterIiEEbEEEE10hipError_tPvRmT1_T2_T3_mmT4_T5_P12ihipStream_tbEUlRKiE_EESQ_SU_SV_mSW_SZ_bEUlT_E_NS1_11comp_targetILNS1_3genE10ELNS1_11target_archE1201ELNS1_3gpuE5ELNS1_3repE0EEENS1_30default_config_static_selectorELNS0_4arch9wavefront6targetE0EEEvST_.has_recursion, 0
	.set _ZN7rocprim17ROCPRIM_400000_NS6detail17trampoline_kernelINS0_14default_configENS1_29binary_search_config_selectorIiiEEZNS1_14transform_implILb0ES3_S5_N6thrust23THRUST_200600_302600_NS6detail15normal_iteratorINS8_7pointerIiNS8_11hip_rocprim3tagENS8_11use_defaultESE_EEEESG_ZNS1_13binary_searchIS3_S5_NSA_INSB_IiSD_RiSE_EEEESG_SG_NS1_16binary_search_opENS9_16wrapped_functionINS8_7greaterIiEEbEEEE10hipError_tPvRmT1_T2_T3_mmT4_T5_P12ihipStream_tbEUlRKiE_EESQ_SU_SV_mSW_SZ_bEUlT_E_NS1_11comp_targetILNS1_3genE10ELNS1_11target_archE1201ELNS1_3gpuE5ELNS1_3repE0EEENS1_30default_config_static_selectorELNS0_4arch9wavefront6targetE0EEEvST_.has_indirect_call, 0
	.section	.AMDGPU.csdata,"",@progbits
; Kernel info:
; codeLenInByte = 0
; TotalNumSgprs: 0
; NumVgprs: 0
; ScratchSize: 0
; MemoryBound: 0
; FloatMode: 240
; IeeeMode: 1
; LDSByteSize: 0 bytes/workgroup (compile time only)
; SGPRBlocks: 0
; VGPRBlocks: 0
; NumSGPRsForWavesPerEU: 1
; NumVGPRsForWavesPerEU: 1
; NamedBarCnt: 0
; Occupancy: 16
; WaveLimiterHint : 0
; COMPUTE_PGM_RSRC2:SCRATCH_EN: 0
; COMPUTE_PGM_RSRC2:USER_SGPR: 2
; COMPUTE_PGM_RSRC2:TRAP_HANDLER: 0
; COMPUTE_PGM_RSRC2:TGID_X_EN: 1
; COMPUTE_PGM_RSRC2:TGID_Y_EN: 0
; COMPUTE_PGM_RSRC2:TGID_Z_EN: 0
; COMPUTE_PGM_RSRC2:TIDIG_COMP_CNT: 0
	.section	.text._ZN7rocprim17ROCPRIM_400000_NS6detail17trampoline_kernelINS0_14default_configENS1_29binary_search_config_selectorIiiEEZNS1_14transform_implILb0ES3_S5_N6thrust23THRUST_200600_302600_NS6detail15normal_iteratorINS8_7pointerIiNS8_11hip_rocprim3tagENS8_11use_defaultESE_EEEESG_ZNS1_13binary_searchIS3_S5_NSA_INSB_IiSD_RiSE_EEEESG_SG_NS1_16binary_search_opENS9_16wrapped_functionINS8_7greaterIiEEbEEEE10hipError_tPvRmT1_T2_T3_mmT4_T5_P12ihipStream_tbEUlRKiE_EESQ_SU_SV_mSW_SZ_bEUlT_E_NS1_11comp_targetILNS1_3genE10ELNS1_11target_archE1200ELNS1_3gpuE4ELNS1_3repE0EEENS1_30default_config_static_selectorELNS0_4arch9wavefront6targetE0EEEvST_,"axG",@progbits,_ZN7rocprim17ROCPRIM_400000_NS6detail17trampoline_kernelINS0_14default_configENS1_29binary_search_config_selectorIiiEEZNS1_14transform_implILb0ES3_S5_N6thrust23THRUST_200600_302600_NS6detail15normal_iteratorINS8_7pointerIiNS8_11hip_rocprim3tagENS8_11use_defaultESE_EEEESG_ZNS1_13binary_searchIS3_S5_NSA_INSB_IiSD_RiSE_EEEESG_SG_NS1_16binary_search_opENS9_16wrapped_functionINS8_7greaterIiEEbEEEE10hipError_tPvRmT1_T2_T3_mmT4_T5_P12ihipStream_tbEUlRKiE_EESQ_SU_SV_mSW_SZ_bEUlT_E_NS1_11comp_targetILNS1_3genE10ELNS1_11target_archE1200ELNS1_3gpuE4ELNS1_3repE0EEENS1_30default_config_static_selectorELNS0_4arch9wavefront6targetE0EEEvST_,comdat
	.protected	_ZN7rocprim17ROCPRIM_400000_NS6detail17trampoline_kernelINS0_14default_configENS1_29binary_search_config_selectorIiiEEZNS1_14transform_implILb0ES3_S5_N6thrust23THRUST_200600_302600_NS6detail15normal_iteratorINS8_7pointerIiNS8_11hip_rocprim3tagENS8_11use_defaultESE_EEEESG_ZNS1_13binary_searchIS3_S5_NSA_INSB_IiSD_RiSE_EEEESG_SG_NS1_16binary_search_opENS9_16wrapped_functionINS8_7greaterIiEEbEEEE10hipError_tPvRmT1_T2_T3_mmT4_T5_P12ihipStream_tbEUlRKiE_EESQ_SU_SV_mSW_SZ_bEUlT_E_NS1_11comp_targetILNS1_3genE10ELNS1_11target_archE1200ELNS1_3gpuE4ELNS1_3repE0EEENS1_30default_config_static_selectorELNS0_4arch9wavefront6targetE0EEEvST_ ; -- Begin function _ZN7rocprim17ROCPRIM_400000_NS6detail17trampoline_kernelINS0_14default_configENS1_29binary_search_config_selectorIiiEEZNS1_14transform_implILb0ES3_S5_N6thrust23THRUST_200600_302600_NS6detail15normal_iteratorINS8_7pointerIiNS8_11hip_rocprim3tagENS8_11use_defaultESE_EEEESG_ZNS1_13binary_searchIS3_S5_NSA_INSB_IiSD_RiSE_EEEESG_SG_NS1_16binary_search_opENS9_16wrapped_functionINS8_7greaterIiEEbEEEE10hipError_tPvRmT1_T2_T3_mmT4_T5_P12ihipStream_tbEUlRKiE_EESQ_SU_SV_mSW_SZ_bEUlT_E_NS1_11comp_targetILNS1_3genE10ELNS1_11target_archE1200ELNS1_3gpuE4ELNS1_3repE0EEENS1_30default_config_static_selectorELNS0_4arch9wavefront6targetE0EEEvST_
	.globl	_ZN7rocprim17ROCPRIM_400000_NS6detail17trampoline_kernelINS0_14default_configENS1_29binary_search_config_selectorIiiEEZNS1_14transform_implILb0ES3_S5_N6thrust23THRUST_200600_302600_NS6detail15normal_iteratorINS8_7pointerIiNS8_11hip_rocprim3tagENS8_11use_defaultESE_EEEESG_ZNS1_13binary_searchIS3_S5_NSA_INSB_IiSD_RiSE_EEEESG_SG_NS1_16binary_search_opENS9_16wrapped_functionINS8_7greaterIiEEbEEEE10hipError_tPvRmT1_T2_T3_mmT4_T5_P12ihipStream_tbEUlRKiE_EESQ_SU_SV_mSW_SZ_bEUlT_E_NS1_11comp_targetILNS1_3genE10ELNS1_11target_archE1200ELNS1_3gpuE4ELNS1_3repE0EEENS1_30default_config_static_selectorELNS0_4arch9wavefront6targetE0EEEvST_
	.p2align	8
	.type	_ZN7rocprim17ROCPRIM_400000_NS6detail17trampoline_kernelINS0_14default_configENS1_29binary_search_config_selectorIiiEEZNS1_14transform_implILb0ES3_S5_N6thrust23THRUST_200600_302600_NS6detail15normal_iteratorINS8_7pointerIiNS8_11hip_rocprim3tagENS8_11use_defaultESE_EEEESG_ZNS1_13binary_searchIS3_S5_NSA_INSB_IiSD_RiSE_EEEESG_SG_NS1_16binary_search_opENS9_16wrapped_functionINS8_7greaterIiEEbEEEE10hipError_tPvRmT1_T2_T3_mmT4_T5_P12ihipStream_tbEUlRKiE_EESQ_SU_SV_mSW_SZ_bEUlT_E_NS1_11comp_targetILNS1_3genE10ELNS1_11target_archE1200ELNS1_3gpuE4ELNS1_3repE0EEENS1_30default_config_static_selectorELNS0_4arch9wavefront6targetE0EEEvST_,@function
_ZN7rocprim17ROCPRIM_400000_NS6detail17trampoline_kernelINS0_14default_configENS1_29binary_search_config_selectorIiiEEZNS1_14transform_implILb0ES3_S5_N6thrust23THRUST_200600_302600_NS6detail15normal_iteratorINS8_7pointerIiNS8_11hip_rocprim3tagENS8_11use_defaultESE_EEEESG_ZNS1_13binary_searchIS3_S5_NSA_INSB_IiSD_RiSE_EEEESG_SG_NS1_16binary_search_opENS9_16wrapped_functionINS8_7greaterIiEEbEEEE10hipError_tPvRmT1_T2_T3_mmT4_T5_P12ihipStream_tbEUlRKiE_EESQ_SU_SV_mSW_SZ_bEUlT_E_NS1_11comp_targetILNS1_3genE10ELNS1_11target_archE1200ELNS1_3gpuE4ELNS1_3repE0EEENS1_30default_config_static_selectorELNS0_4arch9wavefront6targetE0EEEvST_: ; @_ZN7rocprim17ROCPRIM_400000_NS6detail17trampoline_kernelINS0_14default_configENS1_29binary_search_config_selectorIiiEEZNS1_14transform_implILb0ES3_S5_N6thrust23THRUST_200600_302600_NS6detail15normal_iteratorINS8_7pointerIiNS8_11hip_rocprim3tagENS8_11use_defaultESE_EEEESG_ZNS1_13binary_searchIS3_S5_NSA_INSB_IiSD_RiSE_EEEESG_SG_NS1_16binary_search_opENS9_16wrapped_functionINS8_7greaterIiEEbEEEE10hipError_tPvRmT1_T2_T3_mmT4_T5_P12ihipStream_tbEUlRKiE_EESQ_SU_SV_mSW_SZ_bEUlT_E_NS1_11comp_targetILNS1_3genE10ELNS1_11target_archE1200ELNS1_3gpuE4ELNS1_3repE0EEENS1_30default_config_static_selectorELNS0_4arch9wavefront6targetE0EEEvST_
; %bb.0:
	.section	.rodata,"a",@progbits
	.p2align	6, 0x0
	.amdhsa_kernel _ZN7rocprim17ROCPRIM_400000_NS6detail17trampoline_kernelINS0_14default_configENS1_29binary_search_config_selectorIiiEEZNS1_14transform_implILb0ES3_S5_N6thrust23THRUST_200600_302600_NS6detail15normal_iteratorINS8_7pointerIiNS8_11hip_rocprim3tagENS8_11use_defaultESE_EEEESG_ZNS1_13binary_searchIS3_S5_NSA_INSB_IiSD_RiSE_EEEESG_SG_NS1_16binary_search_opENS9_16wrapped_functionINS8_7greaterIiEEbEEEE10hipError_tPvRmT1_T2_T3_mmT4_T5_P12ihipStream_tbEUlRKiE_EESQ_SU_SV_mSW_SZ_bEUlT_E_NS1_11comp_targetILNS1_3genE10ELNS1_11target_archE1200ELNS1_3gpuE4ELNS1_3repE0EEENS1_30default_config_static_selectorELNS0_4arch9wavefront6targetE0EEEvST_
		.amdhsa_group_segment_fixed_size 0
		.amdhsa_private_segment_fixed_size 0
		.amdhsa_kernarg_size 56
		.amdhsa_user_sgpr_count 2
		.amdhsa_user_sgpr_dispatch_ptr 0
		.amdhsa_user_sgpr_queue_ptr 0
		.amdhsa_user_sgpr_kernarg_segment_ptr 1
		.amdhsa_user_sgpr_dispatch_id 0
		.amdhsa_user_sgpr_kernarg_preload_length 0
		.amdhsa_user_sgpr_kernarg_preload_offset 0
		.amdhsa_user_sgpr_private_segment_size 0
		.amdhsa_wavefront_size32 1
		.amdhsa_uses_dynamic_stack 0
		.amdhsa_enable_private_segment 0
		.amdhsa_system_sgpr_workgroup_id_x 1
		.amdhsa_system_sgpr_workgroup_id_y 0
		.amdhsa_system_sgpr_workgroup_id_z 0
		.amdhsa_system_sgpr_workgroup_info 0
		.amdhsa_system_vgpr_workitem_id 0
		.amdhsa_next_free_vgpr 1
		.amdhsa_next_free_sgpr 1
		.amdhsa_named_barrier_count 0
		.amdhsa_reserve_vcc 0
		.amdhsa_float_round_mode_32 0
		.amdhsa_float_round_mode_16_64 0
		.amdhsa_float_denorm_mode_32 3
		.amdhsa_float_denorm_mode_16_64 3
		.amdhsa_fp16_overflow 0
		.amdhsa_memory_ordered 1
		.amdhsa_forward_progress 1
		.amdhsa_inst_pref_size 0
		.amdhsa_round_robin_scheduling 0
		.amdhsa_exception_fp_ieee_invalid_op 0
		.amdhsa_exception_fp_denorm_src 0
		.amdhsa_exception_fp_ieee_div_zero 0
		.amdhsa_exception_fp_ieee_overflow 0
		.amdhsa_exception_fp_ieee_underflow 0
		.amdhsa_exception_fp_ieee_inexact 0
		.amdhsa_exception_int_div_zero 0
	.end_amdhsa_kernel
	.section	.text._ZN7rocprim17ROCPRIM_400000_NS6detail17trampoline_kernelINS0_14default_configENS1_29binary_search_config_selectorIiiEEZNS1_14transform_implILb0ES3_S5_N6thrust23THRUST_200600_302600_NS6detail15normal_iteratorINS8_7pointerIiNS8_11hip_rocprim3tagENS8_11use_defaultESE_EEEESG_ZNS1_13binary_searchIS3_S5_NSA_INSB_IiSD_RiSE_EEEESG_SG_NS1_16binary_search_opENS9_16wrapped_functionINS8_7greaterIiEEbEEEE10hipError_tPvRmT1_T2_T3_mmT4_T5_P12ihipStream_tbEUlRKiE_EESQ_SU_SV_mSW_SZ_bEUlT_E_NS1_11comp_targetILNS1_3genE10ELNS1_11target_archE1200ELNS1_3gpuE4ELNS1_3repE0EEENS1_30default_config_static_selectorELNS0_4arch9wavefront6targetE0EEEvST_,"axG",@progbits,_ZN7rocprim17ROCPRIM_400000_NS6detail17trampoline_kernelINS0_14default_configENS1_29binary_search_config_selectorIiiEEZNS1_14transform_implILb0ES3_S5_N6thrust23THRUST_200600_302600_NS6detail15normal_iteratorINS8_7pointerIiNS8_11hip_rocprim3tagENS8_11use_defaultESE_EEEESG_ZNS1_13binary_searchIS3_S5_NSA_INSB_IiSD_RiSE_EEEESG_SG_NS1_16binary_search_opENS9_16wrapped_functionINS8_7greaterIiEEbEEEE10hipError_tPvRmT1_T2_T3_mmT4_T5_P12ihipStream_tbEUlRKiE_EESQ_SU_SV_mSW_SZ_bEUlT_E_NS1_11comp_targetILNS1_3genE10ELNS1_11target_archE1200ELNS1_3gpuE4ELNS1_3repE0EEENS1_30default_config_static_selectorELNS0_4arch9wavefront6targetE0EEEvST_,comdat
.Lfunc_end200:
	.size	_ZN7rocprim17ROCPRIM_400000_NS6detail17trampoline_kernelINS0_14default_configENS1_29binary_search_config_selectorIiiEEZNS1_14transform_implILb0ES3_S5_N6thrust23THRUST_200600_302600_NS6detail15normal_iteratorINS8_7pointerIiNS8_11hip_rocprim3tagENS8_11use_defaultESE_EEEESG_ZNS1_13binary_searchIS3_S5_NSA_INSB_IiSD_RiSE_EEEESG_SG_NS1_16binary_search_opENS9_16wrapped_functionINS8_7greaterIiEEbEEEE10hipError_tPvRmT1_T2_T3_mmT4_T5_P12ihipStream_tbEUlRKiE_EESQ_SU_SV_mSW_SZ_bEUlT_E_NS1_11comp_targetILNS1_3genE10ELNS1_11target_archE1200ELNS1_3gpuE4ELNS1_3repE0EEENS1_30default_config_static_selectorELNS0_4arch9wavefront6targetE0EEEvST_, .Lfunc_end200-_ZN7rocprim17ROCPRIM_400000_NS6detail17trampoline_kernelINS0_14default_configENS1_29binary_search_config_selectorIiiEEZNS1_14transform_implILb0ES3_S5_N6thrust23THRUST_200600_302600_NS6detail15normal_iteratorINS8_7pointerIiNS8_11hip_rocprim3tagENS8_11use_defaultESE_EEEESG_ZNS1_13binary_searchIS3_S5_NSA_INSB_IiSD_RiSE_EEEESG_SG_NS1_16binary_search_opENS9_16wrapped_functionINS8_7greaterIiEEbEEEE10hipError_tPvRmT1_T2_T3_mmT4_T5_P12ihipStream_tbEUlRKiE_EESQ_SU_SV_mSW_SZ_bEUlT_E_NS1_11comp_targetILNS1_3genE10ELNS1_11target_archE1200ELNS1_3gpuE4ELNS1_3repE0EEENS1_30default_config_static_selectorELNS0_4arch9wavefront6targetE0EEEvST_
                                        ; -- End function
	.set _ZN7rocprim17ROCPRIM_400000_NS6detail17trampoline_kernelINS0_14default_configENS1_29binary_search_config_selectorIiiEEZNS1_14transform_implILb0ES3_S5_N6thrust23THRUST_200600_302600_NS6detail15normal_iteratorINS8_7pointerIiNS8_11hip_rocprim3tagENS8_11use_defaultESE_EEEESG_ZNS1_13binary_searchIS3_S5_NSA_INSB_IiSD_RiSE_EEEESG_SG_NS1_16binary_search_opENS9_16wrapped_functionINS8_7greaterIiEEbEEEE10hipError_tPvRmT1_T2_T3_mmT4_T5_P12ihipStream_tbEUlRKiE_EESQ_SU_SV_mSW_SZ_bEUlT_E_NS1_11comp_targetILNS1_3genE10ELNS1_11target_archE1200ELNS1_3gpuE4ELNS1_3repE0EEENS1_30default_config_static_selectorELNS0_4arch9wavefront6targetE0EEEvST_.num_vgpr, 0
	.set _ZN7rocprim17ROCPRIM_400000_NS6detail17trampoline_kernelINS0_14default_configENS1_29binary_search_config_selectorIiiEEZNS1_14transform_implILb0ES3_S5_N6thrust23THRUST_200600_302600_NS6detail15normal_iteratorINS8_7pointerIiNS8_11hip_rocprim3tagENS8_11use_defaultESE_EEEESG_ZNS1_13binary_searchIS3_S5_NSA_INSB_IiSD_RiSE_EEEESG_SG_NS1_16binary_search_opENS9_16wrapped_functionINS8_7greaterIiEEbEEEE10hipError_tPvRmT1_T2_T3_mmT4_T5_P12ihipStream_tbEUlRKiE_EESQ_SU_SV_mSW_SZ_bEUlT_E_NS1_11comp_targetILNS1_3genE10ELNS1_11target_archE1200ELNS1_3gpuE4ELNS1_3repE0EEENS1_30default_config_static_selectorELNS0_4arch9wavefront6targetE0EEEvST_.num_agpr, 0
	.set _ZN7rocprim17ROCPRIM_400000_NS6detail17trampoline_kernelINS0_14default_configENS1_29binary_search_config_selectorIiiEEZNS1_14transform_implILb0ES3_S5_N6thrust23THRUST_200600_302600_NS6detail15normal_iteratorINS8_7pointerIiNS8_11hip_rocprim3tagENS8_11use_defaultESE_EEEESG_ZNS1_13binary_searchIS3_S5_NSA_INSB_IiSD_RiSE_EEEESG_SG_NS1_16binary_search_opENS9_16wrapped_functionINS8_7greaterIiEEbEEEE10hipError_tPvRmT1_T2_T3_mmT4_T5_P12ihipStream_tbEUlRKiE_EESQ_SU_SV_mSW_SZ_bEUlT_E_NS1_11comp_targetILNS1_3genE10ELNS1_11target_archE1200ELNS1_3gpuE4ELNS1_3repE0EEENS1_30default_config_static_selectorELNS0_4arch9wavefront6targetE0EEEvST_.numbered_sgpr, 0
	.set _ZN7rocprim17ROCPRIM_400000_NS6detail17trampoline_kernelINS0_14default_configENS1_29binary_search_config_selectorIiiEEZNS1_14transform_implILb0ES3_S5_N6thrust23THRUST_200600_302600_NS6detail15normal_iteratorINS8_7pointerIiNS8_11hip_rocprim3tagENS8_11use_defaultESE_EEEESG_ZNS1_13binary_searchIS3_S5_NSA_INSB_IiSD_RiSE_EEEESG_SG_NS1_16binary_search_opENS9_16wrapped_functionINS8_7greaterIiEEbEEEE10hipError_tPvRmT1_T2_T3_mmT4_T5_P12ihipStream_tbEUlRKiE_EESQ_SU_SV_mSW_SZ_bEUlT_E_NS1_11comp_targetILNS1_3genE10ELNS1_11target_archE1200ELNS1_3gpuE4ELNS1_3repE0EEENS1_30default_config_static_selectorELNS0_4arch9wavefront6targetE0EEEvST_.num_named_barrier, 0
	.set _ZN7rocprim17ROCPRIM_400000_NS6detail17trampoline_kernelINS0_14default_configENS1_29binary_search_config_selectorIiiEEZNS1_14transform_implILb0ES3_S5_N6thrust23THRUST_200600_302600_NS6detail15normal_iteratorINS8_7pointerIiNS8_11hip_rocprim3tagENS8_11use_defaultESE_EEEESG_ZNS1_13binary_searchIS3_S5_NSA_INSB_IiSD_RiSE_EEEESG_SG_NS1_16binary_search_opENS9_16wrapped_functionINS8_7greaterIiEEbEEEE10hipError_tPvRmT1_T2_T3_mmT4_T5_P12ihipStream_tbEUlRKiE_EESQ_SU_SV_mSW_SZ_bEUlT_E_NS1_11comp_targetILNS1_3genE10ELNS1_11target_archE1200ELNS1_3gpuE4ELNS1_3repE0EEENS1_30default_config_static_selectorELNS0_4arch9wavefront6targetE0EEEvST_.private_seg_size, 0
	.set _ZN7rocprim17ROCPRIM_400000_NS6detail17trampoline_kernelINS0_14default_configENS1_29binary_search_config_selectorIiiEEZNS1_14transform_implILb0ES3_S5_N6thrust23THRUST_200600_302600_NS6detail15normal_iteratorINS8_7pointerIiNS8_11hip_rocprim3tagENS8_11use_defaultESE_EEEESG_ZNS1_13binary_searchIS3_S5_NSA_INSB_IiSD_RiSE_EEEESG_SG_NS1_16binary_search_opENS9_16wrapped_functionINS8_7greaterIiEEbEEEE10hipError_tPvRmT1_T2_T3_mmT4_T5_P12ihipStream_tbEUlRKiE_EESQ_SU_SV_mSW_SZ_bEUlT_E_NS1_11comp_targetILNS1_3genE10ELNS1_11target_archE1200ELNS1_3gpuE4ELNS1_3repE0EEENS1_30default_config_static_selectorELNS0_4arch9wavefront6targetE0EEEvST_.uses_vcc, 0
	.set _ZN7rocprim17ROCPRIM_400000_NS6detail17trampoline_kernelINS0_14default_configENS1_29binary_search_config_selectorIiiEEZNS1_14transform_implILb0ES3_S5_N6thrust23THRUST_200600_302600_NS6detail15normal_iteratorINS8_7pointerIiNS8_11hip_rocprim3tagENS8_11use_defaultESE_EEEESG_ZNS1_13binary_searchIS3_S5_NSA_INSB_IiSD_RiSE_EEEESG_SG_NS1_16binary_search_opENS9_16wrapped_functionINS8_7greaterIiEEbEEEE10hipError_tPvRmT1_T2_T3_mmT4_T5_P12ihipStream_tbEUlRKiE_EESQ_SU_SV_mSW_SZ_bEUlT_E_NS1_11comp_targetILNS1_3genE10ELNS1_11target_archE1200ELNS1_3gpuE4ELNS1_3repE0EEENS1_30default_config_static_selectorELNS0_4arch9wavefront6targetE0EEEvST_.uses_flat_scratch, 0
	.set _ZN7rocprim17ROCPRIM_400000_NS6detail17trampoline_kernelINS0_14default_configENS1_29binary_search_config_selectorIiiEEZNS1_14transform_implILb0ES3_S5_N6thrust23THRUST_200600_302600_NS6detail15normal_iteratorINS8_7pointerIiNS8_11hip_rocprim3tagENS8_11use_defaultESE_EEEESG_ZNS1_13binary_searchIS3_S5_NSA_INSB_IiSD_RiSE_EEEESG_SG_NS1_16binary_search_opENS9_16wrapped_functionINS8_7greaterIiEEbEEEE10hipError_tPvRmT1_T2_T3_mmT4_T5_P12ihipStream_tbEUlRKiE_EESQ_SU_SV_mSW_SZ_bEUlT_E_NS1_11comp_targetILNS1_3genE10ELNS1_11target_archE1200ELNS1_3gpuE4ELNS1_3repE0EEENS1_30default_config_static_selectorELNS0_4arch9wavefront6targetE0EEEvST_.has_dyn_sized_stack, 0
	.set _ZN7rocprim17ROCPRIM_400000_NS6detail17trampoline_kernelINS0_14default_configENS1_29binary_search_config_selectorIiiEEZNS1_14transform_implILb0ES3_S5_N6thrust23THRUST_200600_302600_NS6detail15normal_iteratorINS8_7pointerIiNS8_11hip_rocprim3tagENS8_11use_defaultESE_EEEESG_ZNS1_13binary_searchIS3_S5_NSA_INSB_IiSD_RiSE_EEEESG_SG_NS1_16binary_search_opENS9_16wrapped_functionINS8_7greaterIiEEbEEEE10hipError_tPvRmT1_T2_T3_mmT4_T5_P12ihipStream_tbEUlRKiE_EESQ_SU_SV_mSW_SZ_bEUlT_E_NS1_11comp_targetILNS1_3genE10ELNS1_11target_archE1200ELNS1_3gpuE4ELNS1_3repE0EEENS1_30default_config_static_selectorELNS0_4arch9wavefront6targetE0EEEvST_.has_recursion, 0
	.set _ZN7rocprim17ROCPRIM_400000_NS6detail17trampoline_kernelINS0_14default_configENS1_29binary_search_config_selectorIiiEEZNS1_14transform_implILb0ES3_S5_N6thrust23THRUST_200600_302600_NS6detail15normal_iteratorINS8_7pointerIiNS8_11hip_rocprim3tagENS8_11use_defaultESE_EEEESG_ZNS1_13binary_searchIS3_S5_NSA_INSB_IiSD_RiSE_EEEESG_SG_NS1_16binary_search_opENS9_16wrapped_functionINS8_7greaterIiEEbEEEE10hipError_tPvRmT1_T2_T3_mmT4_T5_P12ihipStream_tbEUlRKiE_EESQ_SU_SV_mSW_SZ_bEUlT_E_NS1_11comp_targetILNS1_3genE10ELNS1_11target_archE1200ELNS1_3gpuE4ELNS1_3repE0EEENS1_30default_config_static_selectorELNS0_4arch9wavefront6targetE0EEEvST_.has_indirect_call, 0
	.section	.AMDGPU.csdata,"",@progbits
; Kernel info:
; codeLenInByte = 0
; TotalNumSgprs: 0
; NumVgprs: 0
; ScratchSize: 0
; MemoryBound: 0
; FloatMode: 240
; IeeeMode: 1
; LDSByteSize: 0 bytes/workgroup (compile time only)
; SGPRBlocks: 0
; VGPRBlocks: 0
; NumSGPRsForWavesPerEU: 1
; NumVGPRsForWavesPerEU: 1
; NamedBarCnt: 0
; Occupancy: 16
; WaveLimiterHint : 0
; COMPUTE_PGM_RSRC2:SCRATCH_EN: 0
; COMPUTE_PGM_RSRC2:USER_SGPR: 2
; COMPUTE_PGM_RSRC2:TRAP_HANDLER: 0
; COMPUTE_PGM_RSRC2:TGID_X_EN: 1
; COMPUTE_PGM_RSRC2:TGID_Y_EN: 0
; COMPUTE_PGM_RSRC2:TGID_Z_EN: 0
; COMPUTE_PGM_RSRC2:TIDIG_COMP_CNT: 0
	.section	.text._ZN7rocprim17ROCPRIM_400000_NS6detail17trampoline_kernelINS0_14default_configENS1_29binary_search_config_selectorIiiEEZNS1_14transform_implILb0ES3_S5_N6thrust23THRUST_200600_302600_NS6detail15normal_iteratorINS8_7pointerIiNS8_11hip_rocprim3tagENS8_11use_defaultESE_EEEESG_ZNS1_13binary_searchIS3_S5_NSA_INSB_IiSD_RiSE_EEEESG_SG_NS1_16binary_search_opENS9_16wrapped_functionINS8_7greaterIiEEbEEEE10hipError_tPvRmT1_T2_T3_mmT4_T5_P12ihipStream_tbEUlRKiE_EESQ_SU_SV_mSW_SZ_bEUlT_E_NS1_11comp_targetILNS1_3genE9ELNS1_11target_archE1100ELNS1_3gpuE3ELNS1_3repE0EEENS1_30default_config_static_selectorELNS0_4arch9wavefront6targetE0EEEvST_,"axG",@progbits,_ZN7rocprim17ROCPRIM_400000_NS6detail17trampoline_kernelINS0_14default_configENS1_29binary_search_config_selectorIiiEEZNS1_14transform_implILb0ES3_S5_N6thrust23THRUST_200600_302600_NS6detail15normal_iteratorINS8_7pointerIiNS8_11hip_rocprim3tagENS8_11use_defaultESE_EEEESG_ZNS1_13binary_searchIS3_S5_NSA_INSB_IiSD_RiSE_EEEESG_SG_NS1_16binary_search_opENS9_16wrapped_functionINS8_7greaterIiEEbEEEE10hipError_tPvRmT1_T2_T3_mmT4_T5_P12ihipStream_tbEUlRKiE_EESQ_SU_SV_mSW_SZ_bEUlT_E_NS1_11comp_targetILNS1_3genE9ELNS1_11target_archE1100ELNS1_3gpuE3ELNS1_3repE0EEENS1_30default_config_static_selectorELNS0_4arch9wavefront6targetE0EEEvST_,comdat
	.protected	_ZN7rocprim17ROCPRIM_400000_NS6detail17trampoline_kernelINS0_14default_configENS1_29binary_search_config_selectorIiiEEZNS1_14transform_implILb0ES3_S5_N6thrust23THRUST_200600_302600_NS6detail15normal_iteratorINS8_7pointerIiNS8_11hip_rocprim3tagENS8_11use_defaultESE_EEEESG_ZNS1_13binary_searchIS3_S5_NSA_INSB_IiSD_RiSE_EEEESG_SG_NS1_16binary_search_opENS9_16wrapped_functionINS8_7greaterIiEEbEEEE10hipError_tPvRmT1_T2_T3_mmT4_T5_P12ihipStream_tbEUlRKiE_EESQ_SU_SV_mSW_SZ_bEUlT_E_NS1_11comp_targetILNS1_3genE9ELNS1_11target_archE1100ELNS1_3gpuE3ELNS1_3repE0EEENS1_30default_config_static_selectorELNS0_4arch9wavefront6targetE0EEEvST_ ; -- Begin function _ZN7rocprim17ROCPRIM_400000_NS6detail17trampoline_kernelINS0_14default_configENS1_29binary_search_config_selectorIiiEEZNS1_14transform_implILb0ES3_S5_N6thrust23THRUST_200600_302600_NS6detail15normal_iteratorINS8_7pointerIiNS8_11hip_rocprim3tagENS8_11use_defaultESE_EEEESG_ZNS1_13binary_searchIS3_S5_NSA_INSB_IiSD_RiSE_EEEESG_SG_NS1_16binary_search_opENS9_16wrapped_functionINS8_7greaterIiEEbEEEE10hipError_tPvRmT1_T2_T3_mmT4_T5_P12ihipStream_tbEUlRKiE_EESQ_SU_SV_mSW_SZ_bEUlT_E_NS1_11comp_targetILNS1_3genE9ELNS1_11target_archE1100ELNS1_3gpuE3ELNS1_3repE0EEENS1_30default_config_static_selectorELNS0_4arch9wavefront6targetE0EEEvST_
	.globl	_ZN7rocprim17ROCPRIM_400000_NS6detail17trampoline_kernelINS0_14default_configENS1_29binary_search_config_selectorIiiEEZNS1_14transform_implILb0ES3_S5_N6thrust23THRUST_200600_302600_NS6detail15normal_iteratorINS8_7pointerIiNS8_11hip_rocprim3tagENS8_11use_defaultESE_EEEESG_ZNS1_13binary_searchIS3_S5_NSA_INSB_IiSD_RiSE_EEEESG_SG_NS1_16binary_search_opENS9_16wrapped_functionINS8_7greaterIiEEbEEEE10hipError_tPvRmT1_T2_T3_mmT4_T5_P12ihipStream_tbEUlRKiE_EESQ_SU_SV_mSW_SZ_bEUlT_E_NS1_11comp_targetILNS1_3genE9ELNS1_11target_archE1100ELNS1_3gpuE3ELNS1_3repE0EEENS1_30default_config_static_selectorELNS0_4arch9wavefront6targetE0EEEvST_
	.p2align	8
	.type	_ZN7rocprim17ROCPRIM_400000_NS6detail17trampoline_kernelINS0_14default_configENS1_29binary_search_config_selectorIiiEEZNS1_14transform_implILb0ES3_S5_N6thrust23THRUST_200600_302600_NS6detail15normal_iteratorINS8_7pointerIiNS8_11hip_rocprim3tagENS8_11use_defaultESE_EEEESG_ZNS1_13binary_searchIS3_S5_NSA_INSB_IiSD_RiSE_EEEESG_SG_NS1_16binary_search_opENS9_16wrapped_functionINS8_7greaterIiEEbEEEE10hipError_tPvRmT1_T2_T3_mmT4_T5_P12ihipStream_tbEUlRKiE_EESQ_SU_SV_mSW_SZ_bEUlT_E_NS1_11comp_targetILNS1_3genE9ELNS1_11target_archE1100ELNS1_3gpuE3ELNS1_3repE0EEENS1_30default_config_static_selectorELNS0_4arch9wavefront6targetE0EEEvST_,@function
_ZN7rocprim17ROCPRIM_400000_NS6detail17trampoline_kernelINS0_14default_configENS1_29binary_search_config_selectorIiiEEZNS1_14transform_implILb0ES3_S5_N6thrust23THRUST_200600_302600_NS6detail15normal_iteratorINS8_7pointerIiNS8_11hip_rocprim3tagENS8_11use_defaultESE_EEEESG_ZNS1_13binary_searchIS3_S5_NSA_INSB_IiSD_RiSE_EEEESG_SG_NS1_16binary_search_opENS9_16wrapped_functionINS8_7greaterIiEEbEEEE10hipError_tPvRmT1_T2_T3_mmT4_T5_P12ihipStream_tbEUlRKiE_EESQ_SU_SV_mSW_SZ_bEUlT_E_NS1_11comp_targetILNS1_3genE9ELNS1_11target_archE1100ELNS1_3gpuE3ELNS1_3repE0EEENS1_30default_config_static_selectorELNS0_4arch9wavefront6targetE0EEEvST_: ; @_ZN7rocprim17ROCPRIM_400000_NS6detail17trampoline_kernelINS0_14default_configENS1_29binary_search_config_selectorIiiEEZNS1_14transform_implILb0ES3_S5_N6thrust23THRUST_200600_302600_NS6detail15normal_iteratorINS8_7pointerIiNS8_11hip_rocprim3tagENS8_11use_defaultESE_EEEESG_ZNS1_13binary_searchIS3_S5_NSA_INSB_IiSD_RiSE_EEEESG_SG_NS1_16binary_search_opENS9_16wrapped_functionINS8_7greaterIiEEbEEEE10hipError_tPvRmT1_T2_T3_mmT4_T5_P12ihipStream_tbEUlRKiE_EESQ_SU_SV_mSW_SZ_bEUlT_E_NS1_11comp_targetILNS1_3genE9ELNS1_11target_archE1100ELNS1_3gpuE3ELNS1_3repE0EEENS1_30default_config_static_selectorELNS0_4arch9wavefront6targetE0EEEvST_
; %bb.0:
	.section	.rodata,"a",@progbits
	.p2align	6, 0x0
	.amdhsa_kernel _ZN7rocprim17ROCPRIM_400000_NS6detail17trampoline_kernelINS0_14default_configENS1_29binary_search_config_selectorIiiEEZNS1_14transform_implILb0ES3_S5_N6thrust23THRUST_200600_302600_NS6detail15normal_iteratorINS8_7pointerIiNS8_11hip_rocprim3tagENS8_11use_defaultESE_EEEESG_ZNS1_13binary_searchIS3_S5_NSA_INSB_IiSD_RiSE_EEEESG_SG_NS1_16binary_search_opENS9_16wrapped_functionINS8_7greaterIiEEbEEEE10hipError_tPvRmT1_T2_T3_mmT4_T5_P12ihipStream_tbEUlRKiE_EESQ_SU_SV_mSW_SZ_bEUlT_E_NS1_11comp_targetILNS1_3genE9ELNS1_11target_archE1100ELNS1_3gpuE3ELNS1_3repE0EEENS1_30default_config_static_selectorELNS0_4arch9wavefront6targetE0EEEvST_
		.amdhsa_group_segment_fixed_size 0
		.amdhsa_private_segment_fixed_size 0
		.amdhsa_kernarg_size 56
		.amdhsa_user_sgpr_count 2
		.amdhsa_user_sgpr_dispatch_ptr 0
		.amdhsa_user_sgpr_queue_ptr 0
		.amdhsa_user_sgpr_kernarg_segment_ptr 1
		.amdhsa_user_sgpr_dispatch_id 0
		.amdhsa_user_sgpr_kernarg_preload_length 0
		.amdhsa_user_sgpr_kernarg_preload_offset 0
		.amdhsa_user_sgpr_private_segment_size 0
		.amdhsa_wavefront_size32 1
		.amdhsa_uses_dynamic_stack 0
		.amdhsa_enable_private_segment 0
		.amdhsa_system_sgpr_workgroup_id_x 1
		.amdhsa_system_sgpr_workgroup_id_y 0
		.amdhsa_system_sgpr_workgroup_id_z 0
		.amdhsa_system_sgpr_workgroup_info 0
		.amdhsa_system_vgpr_workitem_id 0
		.amdhsa_next_free_vgpr 1
		.amdhsa_next_free_sgpr 1
		.amdhsa_named_barrier_count 0
		.amdhsa_reserve_vcc 0
		.amdhsa_float_round_mode_32 0
		.amdhsa_float_round_mode_16_64 0
		.amdhsa_float_denorm_mode_32 3
		.amdhsa_float_denorm_mode_16_64 3
		.amdhsa_fp16_overflow 0
		.amdhsa_memory_ordered 1
		.amdhsa_forward_progress 1
		.amdhsa_inst_pref_size 0
		.amdhsa_round_robin_scheduling 0
		.amdhsa_exception_fp_ieee_invalid_op 0
		.amdhsa_exception_fp_denorm_src 0
		.amdhsa_exception_fp_ieee_div_zero 0
		.amdhsa_exception_fp_ieee_overflow 0
		.amdhsa_exception_fp_ieee_underflow 0
		.amdhsa_exception_fp_ieee_inexact 0
		.amdhsa_exception_int_div_zero 0
	.end_amdhsa_kernel
	.section	.text._ZN7rocprim17ROCPRIM_400000_NS6detail17trampoline_kernelINS0_14default_configENS1_29binary_search_config_selectorIiiEEZNS1_14transform_implILb0ES3_S5_N6thrust23THRUST_200600_302600_NS6detail15normal_iteratorINS8_7pointerIiNS8_11hip_rocprim3tagENS8_11use_defaultESE_EEEESG_ZNS1_13binary_searchIS3_S5_NSA_INSB_IiSD_RiSE_EEEESG_SG_NS1_16binary_search_opENS9_16wrapped_functionINS8_7greaterIiEEbEEEE10hipError_tPvRmT1_T2_T3_mmT4_T5_P12ihipStream_tbEUlRKiE_EESQ_SU_SV_mSW_SZ_bEUlT_E_NS1_11comp_targetILNS1_3genE9ELNS1_11target_archE1100ELNS1_3gpuE3ELNS1_3repE0EEENS1_30default_config_static_selectorELNS0_4arch9wavefront6targetE0EEEvST_,"axG",@progbits,_ZN7rocprim17ROCPRIM_400000_NS6detail17trampoline_kernelINS0_14default_configENS1_29binary_search_config_selectorIiiEEZNS1_14transform_implILb0ES3_S5_N6thrust23THRUST_200600_302600_NS6detail15normal_iteratorINS8_7pointerIiNS8_11hip_rocprim3tagENS8_11use_defaultESE_EEEESG_ZNS1_13binary_searchIS3_S5_NSA_INSB_IiSD_RiSE_EEEESG_SG_NS1_16binary_search_opENS9_16wrapped_functionINS8_7greaterIiEEbEEEE10hipError_tPvRmT1_T2_T3_mmT4_T5_P12ihipStream_tbEUlRKiE_EESQ_SU_SV_mSW_SZ_bEUlT_E_NS1_11comp_targetILNS1_3genE9ELNS1_11target_archE1100ELNS1_3gpuE3ELNS1_3repE0EEENS1_30default_config_static_selectorELNS0_4arch9wavefront6targetE0EEEvST_,comdat
.Lfunc_end201:
	.size	_ZN7rocprim17ROCPRIM_400000_NS6detail17trampoline_kernelINS0_14default_configENS1_29binary_search_config_selectorIiiEEZNS1_14transform_implILb0ES3_S5_N6thrust23THRUST_200600_302600_NS6detail15normal_iteratorINS8_7pointerIiNS8_11hip_rocprim3tagENS8_11use_defaultESE_EEEESG_ZNS1_13binary_searchIS3_S5_NSA_INSB_IiSD_RiSE_EEEESG_SG_NS1_16binary_search_opENS9_16wrapped_functionINS8_7greaterIiEEbEEEE10hipError_tPvRmT1_T2_T3_mmT4_T5_P12ihipStream_tbEUlRKiE_EESQ_SU_SV_mSW_SZ_bEUlT_E_NS1_11comp_targetILNS1_3genE9ELNS1_11target_archE1100ELNS1_3gpuE3ELNS1_3repE0EEENS1_30default_config_static_selectorELNS0_4arch9wavefront6targetE0EEEvST_, .Lfunc_end201-_ZN7rocprim17ROCPRIM_400000_NS6detail17trampoline_kernelINS0_14default_configENS1_29binary_search_config_selectorIiiEEZNS1_14transform_implILb0ES3_S5_N6thrust23THRUST_200600_302600_NS6detail15normal_iteratorINS8_7pointerIiNS8_11hip_rocprim3tagENS8_11use_defaultESE_EEEESG_ZNS1_13binary_searchIS3_S5_NSA_INSB_IiSD_RiSE_EEEESG_SG_NS1_16binary_search_opENS9_16wrapped_functionINS8_7greaterIiEEbEEEE10hipError_tPvRmT1_T2_T3_mmT4_T5_P12ihipStream_tbEUlRKiE_EESQ_SU_SV_mSW_SZ_bEUlT_E_NS1_11comp_targetILNS1_3genE9ELNS1_11target_archE1100ELNS1_3gpuE3ELNS1_3repE0EEENS1_30default_config_static_selectorELNS0_4arch9wavefront6targetE0EEEvST_
                                        ; -- End function
	.set _ZN7rocprim17ROCPRIM_400000_NS6detail17trampoline_kernelINS0_14default_configENS1_29binary_search_config_selectorIiiEEZNS1_14transform_implILb0ES3_S5_N6thrust23THRUST_200600_302600_NS6detail15normal_iteratorINS8_7pointerIiNS8_11hip_rocprim3tagENS8_11use_defaultESE_EEEESG_ZNS1_13binary_searchIS3_S5_NSA_INSB_IiSD_RiSE_EEEESG_SG_NS1_16binary_search_opENS9_16wrapped_functionINS8_7greaterIiEEbEEEE10hipError_tPvRmT1_T2_T3_mmT4_T5_P12ihipStream_tbEUlRKiE_EESQ_SU_SV_mSW_SZ_bEUlT_E_NS1_11comp_targetILNS1_3genE9ELNS1_11target_archE1100ELNS1_3gpuE3ELNS1_3repE0EEENS1_30default_config_static_selectorELNS0_4arch9wavefront6targetE0EEEvST_.num_vgpr, 0
	.set _ZN7rocprim17ROCPRIM_400000_NS6detail17trampoline_kernelINS0_14default_configENS1_29binary_search_config_selectorIiiEEZNS1_14transform_implILb0ES3_S5_N6thrust23THRUST_200600_302600_NS6detail15normal_iteratorINS8_7pointerIiNS8_11hip_rocprim3tagENS8_11use_defaultESE_EEEESG_ZNS1_13binary_searchIS3_S5_NSA_INSB_IiSD_RiSE_EEEESG_SG_NS1_16binary_search_opENS9_16wrapped_functionINS8_7greaterIiEEbEEEE10hipError_tPvRmT1_T2_T3_mmT4_T5_P12ihipStream_tbEUlRKiE_EESQ_SU_SV_mSW_SZ_bEUlT_E_NS1_11comp_targetILNS1_3genE9ELNS1_11target_archE1100ELNS1_3gpuE3ELNS1_3repE0EEENS1_30default_config_static_selectorELNS0_4arch9wavefront6targetE0EEEvST_.num_agpr, 0
	.set _ZN7rocprim17ROCPRIM_400000_NS6detail17trampoline_kernelINS0_14default_configENS1_29binary_search_config_selectorIiiEEZNS1_14transform_implILb0ES3_S5_N6thrust23THRUST_200600_302600_NS6detail15normal_iteratorINS8_7pointerIiNS8_11hip_rocprim3tagENS8_11use_defaultESE_EEEESG_ZNS1_13binary_searchIS3_S5_NSA_INSB_IiSD_RiSE_EEEESG_SG_NS1_16binary_search_opENS9_16wrapped_functionINS8_7greaterIiEEbEEEE10hipError_tPvRmT1_T2_T3_mmT4_T5_P12ihipStream_tbEUlRKiE_EESQ_SU_SV_mSW_SZ_bEUlT_E_NS1_11comp_targetILNS1_3genE9ELNS1_11target_archE1100ELNS1_3gpuE3ELNS1_3repE0EEENS1_30default_config_static_selectorELNS0_4arch9wavefront6targetE0EEEvST_.numbered_sgpr, 0
	.set _ZN7rocprim17ROCPRIM_400000_NS6detail17trampoline_kernelINS0_14default_configENS1_29binary_search_config_selectorIiiEEZNS1_14transform_implILb0ES3_S5_N6thrust23THRUST_200600_302600_NS6detail15normal_iteratorINS8_7pointerIiNS8_11hip_rocprim3tagENS8_11use_defaultESE_EEEESG_ZNS1_13binary_searchIS3_S5_NSA_INSB_IiSD_RiSE_EEEESG_SG_NS1_16binary_search_opENS9_16wrapped_functionINS8_7greaterIiEEbEEEE10hipError_tPvRmT1_T2_T3_mmT4_T5_P12ihipStream_tbEUlRKiE_EESQ_SU_SV_mSW_SZ_bEUlT_E_NS1_11comp_targetILNS1_3genE9ELNS1_11target_archE1100ELNS1_3gpuE3ELNS1_3repE0EEENS1_30default_config_static_selectorELNS0_4arch9wavefront6targetE0EEEvST_.num_named_barrier, 0
	.set _ZN7rocprim17ROCPRIM_400000_NS6detail17trampoline_kernelINS0_14default_configENS1_29binary_search_config_selectorIiiEEZNS1_14transform_implILb0ES3_S5_N6thrust23THRUST_200600_302600_NS6detail15normal_iteratorINS8_7pointerIiNS8_11hip_rocprim3tagENS8_11use_defaultESE_EEEESG_ZNS1_13binary_searchIS3_S5_NSA_INSB_IiSD_RiSE_EEEESG_SG_NS1_16binary_search_opENS9_16wrapped_functionINS8_7greaterIiEEbEEEE10hipError_tPvRmT1_T2_T3_mmT4_T5_P12ihipStream_tbEUlRKiE_EESQ_SU_SV_mSW_SZ_bEUlT_E_NS1_11comp_targetILNS1_3genE9ELNS1_11target_archE1100ELNS1_3gpuE3ELNS1_3repE0EEENS1_30default_config_static_selectorELNS0_4arch9wavefront6targetE0EEEvST_.private_seg_size, 0
	.set _ZN7rocprim17ROCPRIM_400000_NS6detail17trampoline_kernelINS0_14default_configENS1_29binary_search_config_selectorIiiEEZNS1_14transform_implILb0ES3_S5_N6thrust23THRUST_200600_302600_NS6detail15normal_iteratorINS8_7pointerIiNS8_11hip_rocprim3tagENS8_11use_defaultESE_EEEESG_ZNS1_13binary_searchIS3_S5_NSA_INSB_IiSD_RiSE_EEEESG_SG_NS1_16binary_search_opENS9_16wrapped_functionINS8_7greaterIiEEbEEEE10hipError_tPvRmT1_T2_T3_mmT4_T5_P12ihipStream_tbEUlRKiE_EESQ_SU_SV_mSW_SZ_bEUlT_E_NS1_11comp_targetILNS1_3genE9ELNS1_11target_archE1100ELNS1_3gpuE3ELNS1_3repE0EEENS1_30default_config_static_selectorELNS0_4arch9wavefront6targetE0EEEvST_.uses_vcc, 0
	.set _ZN7rocprim17ROCPRIM_400000_NS6detail17trampoline_kernelINS0_14default_configENS1_29binary_search_config_selectorIiiEEZNS1_14transform_implILb0ES3_S5_N6thrust23THRUST_200600_302600_NS6detail15normal_iteratorINS8_7pointerIiNS8_11hip_rocprim3tagENS8_11use_defaultESE_EEEESG_ZNS1_13binary_searchIS3_S5_NSA_INSB_IiSD_RiSE_EEEESG_SG_NS1_16binary_search_opENS9_16wrapped_functionINS8_7greaterIiEEbEEEE10hipError_tPvRmT1_T2_T3_mmT4_T5_P12ihipStream_tbEUlRKiE_EESQ_SU_SV_mSW_SZ_bEUlT_E_NS1_11comp_targetILNS1_3genE9ELNS1_11target_archE1100ELNS1_3gpuE3ELNS1_3repE0EEENS1_30default_config_static_selectorELNS0_4arch9wavefront6targetE0EEEvST_.uses_flat_scratch, 0
	.set _ZN7rocprim17ROCPRIM_400000_NS6detail17trampoline_kernelINS0_14default_configENS1_29binary_search_config_selectorIiiEEZNS1_14transform_implILb0ES3_S5_N6thrust23THRUST_200600_302600_NS6detail15normal_iteratorINS8_7pointerIiNS8_11hip_rocprim3tagENS8_11use_defaultESE_EEEESG_ZNS1_13binary_searchIS3_S5_NSA_INSB_IiSD_RiSE_EEEESG_SG_NS1_16binary_search_opENS9_16wrapped_functionINS8_7greaterIiEEbEEEE10hipError_tPvRmT1_T2_T3_mmT4_T5_P12ihipStream_tbEUlRKiE_EESQ_SU_SV_mSW_SZ_bEUlT_E_NS1_11comp_targetILNS1_3genE9ELNS1_11target_archE1100ELNS1_3gpuE3ELNS1_3repE0EEENS1_30default_config_static_selectorELNS0_4arch9wavefront6targetE0EEEvST_.has_dyn_sized_stack, 0
	.set _ZN7rocprim17ROCPRIM_400000_NS6detail17trampoline_kernelINS0_14default_configENS1_29binary_search_config_selectorIiiEEZNS1_14transform_implILb0ES3_S5_N6thrust23THRUST_200600_302600_NS6detail15normal_iteratorINS8_7pointerIiNS8_11hip_rocprim3tagENS8_11use_defaultESE_EEEESG_ZNS1_13binary_searchIS3_S5_NSA_INSB_IiSD_RiSE_EEEESG_SG_NS1_16binary_search_opENS9_16wrapped_functionINS8_7greaterIiEEbEEEE10hipError_tPvRmT1_T2_T3_mmT4_T5_P12ihipStream_tbEUlRKiE_EESQ_SU_SV_mSW_SZ_bEUlT_E_NS1_11comp_targetILNS1_3genE9ELNS1_11target_archE1100ELNS1_3gpuE3ELNS1_3repE0EEENS1_30default_config_static_selectorELNS0_4arch9wavefront6targetE0EEEvST_.has_recursion, 0
	.set _ZN7rocprim17ROCPRIM_400000_NS6detail17trampoline_kernelINS0_14default_configENS1_29binary_search_config_selectorIiiEEZNS1_14transform_implILb0ES3_S5_N6thrust23THRUST_200600_302600_NS6detail15normal_iteratorINS8_7pointerIiNS8_11hip_rocprim3tagENS8_11use_defaultESE_EEEESG_ZNS1_13binary_searchIS3_S5_NSA_INSB_IiSD_RiSE_EEEESG_SG_NS1_16binary_search_opENS9_16wrapped_functionINS8_7greaterIiEEbEEEE10hipError_tPvRmT1_T2_T3_mmT4_T5_P12ihipStream_tbEUlRKiE_EESQ_SU_SV_mSW_SZ_bEUlT_E_NS1_11comp_targetILNS1_3genE9ELNS1_11target_archE1100ELNS1_3gpuE3ELNS1_3repE0EEENS1_30default_config_static_selectorELNS0_4arch9wavefront6targetE0EEEvST_.has_indirect_call, 0
	.section	.AMDGPU.csdata,"",@progbits
; Kernel info:
; codeLenInByte = 0
; TotalNumSgprs: 0
; NumVgprs: 0
; ScratchSize: 0
; MemoryBound: 0
; FloatMode: 240
; IeeeMode: 1
; LDSByteSize: 0 bytes/workgroup (compile time only)
; SGPRBlocks: 0
; VGPRBlocks: 0
; NumSGPRsForWavesPerEU: 1
; NumVGPRsForWavesPerEU: 1
; NamedBarCnt: 0
; Occupancy: 16
; WaveLimiterHint : 0
; COMPUTE_PGM_RSRC2:SCRATCH_EN: 0
; COMPUTE_PGM_RSRC2:USER_SGPR: 2
; COMPUTE_PGM_RSRC2:TRAP_HANDLER: 0
; COMPUTE_PGM_RSRC2:TGID_X_EN: 1
; COMPUTE_PGM_RSRC2:TGID_Y_EN: 0
; COMPUTE_PGM_RSRC2:TGID_Z_EN: 0
; COMPUTE_PGM_RSRC2:TIDIG_COMP_CNT: 0
	.section	.text._ZN7rocprim17ROCPRIM_400000_NS6detail17trampoline_kernelINS0_14default_configENS1_29binary_search_config_selectorIiiEEZNS1_14transform_implILb0ES3_S5_N6thrust23THRUST_200600_302600_NS6detail15normal_iteratorINS8_7pointerIiNS8_11hip_rocprim3tagENS8_11use_defaultESE_EEEESG_ZNS1_13binary_searchIS3_S5_NSA_INSB_IiSD_RiSE_EEEESG_SG_NS1_16binary_search_opENS9_16wrapped_functionINS8_7greaterIiEEbEEEE10hipError_tPvRmT1_T2_T3_mmT4_T5_P12ihipStream_tbEUlRKiE_EESQ_SU_SV_mSW_SZ_bEUlT_E_NS1_11comp_targetILNS1_3genE8ELNS1_11target_archE1030ELNS1_3gpuE2ELNS1_3repE0EEENS1_30default_config_static_selectorELNS0_4arch9wavefront6targetE0EEEvST_,"axG",@progbits,_ZN7rocprim17ROCPRIM_400000_NS6detail17trampoline_kernelINS0_14default_configENS1_29binary_search_config_selectorIiiEEZNS1_14transform_implILb0ES3_S5_N6thrust23THRUST_200600_302600_NS6detail15normal_iteratorINS8_7pointerIiNS8_11hip_rocprim3tagENS8_11use_defaultESE_EEEESG_ZNS1_13binary_searchIS3_S5_NSA_INSB_IiSD_RiSE_EEEESG_SG_NS1_16binary_search_opENS9_16wrapped_functionINS8_7greaterIiEEbEEEE10hipError_tPvRmT1_T2_T3_mmT4_T5_P12ihipStream_tbEUlRKiE_EESQ_SU_SV_mSW_SZ_bEUlT_E_NS1_11comp_targetILNS1_3genE8ELNS1_11target_archE1030ELNS1_3gpuE2ELNS1_3repE0EEENS1_30default_config_static_selectorELNS0_4arch9wavefront6targetE0EEEvST_,comdat
	.protected	_ZN7rocprim17ROCPRIM_400000_NS6detail17trampoline_kernelINS0_14default_configENS1_29binary_search_config_selectorIiiEEZNS1_14transform_implILb0ES3_S5_N6thrust23THRUST_200600_302600_NS6detail15normal_iteratorINS8_7pointerIiNS8_11hip_rocprim3tagENS8_11use_defaultESE_EEEESG_ZNS1_13binary_searchIS3_S5_NSA_INSB_IiSD_RiSE_EEEESG_SG_NS1_16binary_search_opENS9_16wrapped_functionINS8_7greaterIiEEbEEEE10hipError_tPvRmT1_T2_T3_mmT4_T5_P12ihipStream_tbEUlRKiE_EESQ_SU_SV_mSW_SZ_bEUlT_E_NS1_11comp_targetILNS1_3genE8ELNS1_11target_archE1030ELNS1_3gpuE2ELNS1_3repE0EEENS1_30default_config_static_selectorELNS0_4arch9wavefront6targetE0EEEvST_ ; -- Begin function _ZN7rocprim17ROCPRIM_400000_NS6detail17trampoline_kernelINS0_14default_configENS1_29binary_search_config_selectorIiiEEZNS1_14transform_implILb0ES3_S5_N6thrust23THRUST_200600_302600_NS6detail15normal_iteratorINS8_7pointerIiNS8_11hip_rocprim3tagENS8_11use_defaultESE_EEEESG_ZNS1_13binary_searchIS3_S5_NSA_INSB_IiSD_RiSE_EEEESG_SG_NS1_16binary_search_opENS9_16wrapped_functionINS8_7greaterIiEEbEEEE10hipError_tPvRmT1_T2_T3_mmT4_T5_P12ihipStream_tbEUlRKiE_EESQ_SU_SV_mSW_SZ_bEUlT_E_NS1_11comp_targetILNS1_3genE8ELNS1_11target_archE1030ELNS1_3gpuE2ELNS1_3repE0EEENS1_30default_config_static_selectorELNS0_4arch9wavefront6targetE0EEEvST_
	.globl	_ZN7rocprim17ROCPRIM_400000_NS6detail17trampoline_kernelINS0_14default_configENS1_29binary_search_config_selectorIiiEEZNS1_14transform_implILb0ES3_S5_N6thrust23THRUST_200600_302600_NS6detail15normal_iteratorINS8_7pointerIiNS8_11hip_rocprim3tagENS8_11use_defaultESE_EEEESG_ZNS1_13binary_searchIS3_S5_NSA_INSB_IiSD_RiSE_EEEESG_SG_NS1_16binary_search_opENS9_16wrapped_functionINS8_7greaterIiEEbEEEE10hipError_tPvRmT1_T2_T3_mmT4_T5_P12ihipStream_tbEUlRKiE_EESQ_SU_SV_mSW_SZ_bEUlT_E_NS1_11comp_targetILNS1_3genE8ELNS1_11target_archE1030ELNS1_3gpuE2ELNS1_3repE0EEENS1_30default_config_static_selectorELNS0_4arch9wavefront6targetE0EEEvST_
	.p2align	8
	.type	_ZN7rocprim17ROCPRIM_400000_NS6detail17trampoline_kernelINS0_14default_configENS1_29binary_search_config_selectorIiiEEZNS1_14transform_implILb0ES3_S5_N6thrust23THRUST_200600_302600_NS6detail15normal_iteratorINS8_7pointerIiNS8_11hip_rocprim3tagENS8_11use_defaultESE_EEEESG_ZNS1_13binary_searchIS3_S5_NSA_INSB_IiSD_RiSE_EEEESG_SG_NS1_16binary_search_opENS9_16wrapped_functionINS8_7greaterIiEEbEEEE10hipError_tPvRmT1_T2_T3_mmT4_T5_P12ihipStream_tbEUlRKiE_EESQ_SU_SV_mSW_SZ_bEUlT_E_NS1_11comp_targetILNS1_3genE8ELNS1_11target_archE1030ELNS1_3gpuE2ELNS1_3repE0EEENS1_30default_config_static_selectorELNS0_4arch9wavefront6targetE0EEEvST_,@function
_ZN7rocprim17ROCPRIM_400000_NS6detail17trampoline_kernelINS0_14default_configENS1_29binary_search_config_selectorIiiEEZNS1_14transform_implILb0ES3_S5_N6thrust23THRUST_200600_302600_NS6detail15normal_iteratorINS8_7pointerIiNS8_11hip_rocprim3tagENS8_11use_defaultESE_EEEESG_ZNS1_13binary_searchIS3_S5_NSA_INSB_IiSD_RiSE_EEEESG_SG_NS1_16binary_search_opENS9_16wrapped_functionINS8_7greaterIiEEbEEEE10hipError_tPvRmT1_T2_T3_mmT4_T5_P12ihipStream_tbEUlRKiE_EESQ_SU_SV_mSW_SZ_bEUlT_E_NS1_11comp_targetILNS1_3genE8ELNS1_11target_archE1030ELNS1_3gpuE2ELNS1_3repE0EEENS1_30default_config_static_selectorELNS0_4arch9wavefront6targetE0EEEvST_: ; @_ZN7rocprim17ROCPRIM_400000_NS6detail17trampoline_kernelINS0_14default_configENS1_29binary_search_config_selectorIiiEEZNS1_14transform_implILb0ES3_S5_N6thrust23THRUST_200600_302600_NS6detail15normal_iteratorINS8_7pointerIiNS8_11hip_rocprim3tagENS8_11use_defaultESE_EEEESG_ZNS1_13binary_searchIS3_S5_NSA_INSB_IiSD_RiSE_EEEESG_SG_NS1_16binary_search_opENS9_16wrapped_functionINS8_7greaterIiEEbEEEE10hipError_tPvRmT1_T2_T3_mmT4_T5_P12ihipStream_tbEUlRKiE_EESQ_SU_SV_mSW_SZ_bEUlT_E_NS1_11comp_targetILNS1_3genE8ELNS1_11target_archE1030ELNS1_3gpuE2ELNS1_3repE0EEENS1_30default_config_static_selectorELNS0_4arch9wavefront6targetE0EEEvST_
; %bb.0:
	.section	.rodata,"a",@progbits
	.p2align	6, 0x0
	.amdhsa_kernel _ZN7rocprim17ROCPRIM_400000_NS6detail17trampoline_kernelINS0_14default_configENS1_29binary_search_config_selectorIiiEEZNS1_14transform_implILb0ES3_S5_N6thrust23THRUST_200600_302600_NS6detail15normal_iteratorINS8_7pointerIiNS8_11hip_rocprim3tagENS8_11use_defaultESE_EEEESG_ZNS1_13binary_searchIS3_S5_NSA_INSB_IiSD_RiSE_EEEESG_SG_NS1_16binary_search_opENS9_16wrapped_functionINS8_7greaterIiEEbEEEE10hipError_tPvRmT1_T2_T3_mmT4_T5_P12ihipStream_tbEUlRKiE_EESQ_SU_SV_mSW_SZ_bEUlT_E_NS1_11comp_targetILNS1_3genE8ELNS1_11target_archE1030ELNS1_3gpuE2ELNS1_3repE0EEENS1_30default_config_static_selectorELNS0_4arch9wavefront6targetE0EEEvST_
		.amdhsa_group_segment_fixed_size 0
		.amdhsa_private_segment_fixed_size 0
		.amdhsa_kernarg_size 56
		.amdhsa_user_sgpr_count 2
		.amdhsa_user_sgpr_dispatch_ptr 0
		.amdhsa_user_sgpr_queue_ptr 0
		.amdhsa_user_sgpr_kernarg_segment_ptr 1
		.amdhsa_user_sgpr_dispatch_id 0
		.amdhsa_user_sgpr_kernarg_preload_length 0
		.amdhsa_user_sgpr_kernarg_preload_offset 0
		.amdhsa_user_sgpr_private_segment_size 0
		.amdhsa_wavefront_size32 1
		.amdhsa_uses_dynamic_stack 0
		.amdhsa_enable_private_segment 0
		.amdhsa_system_sgpr_workgroup_id_x 1
		.amdhsa_system_sgpr_workgroup_id_y 0
		.amdhsa_system_sgpr_workgroup_id_z 0
		.amdhsa_system_sgpr_workgroup_info 0
		.amdhsa_system_vgpr_workitem_id 0
		.amdhsa_next_free_vgpr 1
		.amdhsa_next_free_sgpr 1
		.amdhsa_named_barrier_count 0
		.amdhsa_reserve_vcc 0
		.amdhsa_float_round_mode_32 0
		.amdhsa_float_round_mode_16_64 0
		.amdhsa_float_denorm_mode_32 3
		.amdhsa_float_denorm_mode_16_64 3
		.amdhsa_fp16_overflow 0
		.amdhsa_memory_ordered 1
		.amdhsa_forward_progress 1
		.amdhsa_inst_pref_size 0
		.amdhsa_round_robin_scheduling 0
		.amdhsa_exception_fp_ieee_invalid_op 0
		.amdhsa_exception_fp_denorm_src 0
		.amdhsa_exception_fp_ieee_div_zero 0
		.amdhsa_exception_fp_ieee_overflow 0
		.amdhsa_exception_fp_ieee_underflow 0
		.amdhsa_exception_fp_ieee_inexact 0
		.amdhsa_exception_int_div_zero 0
	.end_amdhsa_kernel
	.section	.text._ZN7rocprim17ROCPRIM_400000_NS6detail17trampoline_kernelINS0_14default_configENS1_29binary_search_config_selectorIiiEEZNS1_14transform_implILb0ES3_S5_N6thrust23THRUST_200600_302600_NS6detail15normal_iteratorINS8_7pointerIiNS8_11hip_rocprim3tagENS8_11use_defaultESE_EEEESG_ZNS1_13binary_searchIS3_S5_NSA_INSB_IiSD_RiSE_EEEESG_SG_NS1_16binary_search_opENS9_16wrapped_functionINS8_7greaterIiEEbEEEE10hipError_tPvRmT1_T2_T3_mmT4_T5_P12ihipStream_tbEUlRKiE_EESQ_SU_SV_mSW_SZ_bEUlT_E_NS1_11comp_targetILNS1_3genE8ELNS1_11target_archE1030ELNS1_3gpuE2ELNS1_3repE0EEENS1_30default_config_static_selectorELNS0_4arch9wavefront6targetE0EEEvST_,"axG",@progbits,_ZN7rocprim17ROCPRIM_400000_NS6detail17trampoline_kernelINS0_14default_configENS1_29binary_search_config_selectorIiiEEZNS1_14transform_implILb0ES3_S5_N6thrust23THRUST_200600_302600_NS6detail15normal_iteratorINS8_7pointerIiNS8_11hip_rocprim3tagENS8_11use_defaultESE_EEEESG_ZNS1_13binary_searchIS3_S5_NSA_INSB_IiSD_RiSE_EEEESG_SG_NS1_16binary_search_opENS9_16wrapped_functionINS8_7greaterIiEEbEEEE10hipError_tPvRmT1_T2_T3_mmT4_T5_P12ihipStream_tbEUlRKiE_EESQ_SU_SV_mSW_SZ_bEUlT_E_NS1_11comp_targetILNS1_3genE8ELNS1_11target_archE1030ELNS1_3gpuE2ELNS1_3repE0EEENS1_30default_config_static_selectorELNS0_4arch9wavefront6targetE0EEEvST_,comdat
.Lfunc_end202:
	.size	_ZN7rocprim17ROCPRIM_400000_NS6detail17trampoline_kernelINS0_14default_configENS1_29binary_search_config_selectorIiiEEZNS1_14transform_implILb0ES3_S5_N6thrust23THRUST_200600_302600_NS6detail15normal_iteratorINS8_7pointerIiNS8_11hip_rocprim3tagENS8_11use_defaultESE_EEEESG_ZNS1_13binary_searchIS3_S5_NSA_INSB_IiSD_RiSE_EEEESG_SG_NS1_16binary_search_opENS9_16wrapped_functionINS8_7greaterIiEEbEEEE10hipError_tPvRmT1_T2_T3_mmT4_T5_P12ihipStream_tbEUlRKiE_EESQ_SU_SV_mSW_SZ_bEUlT_E_NS1_11comp_targetILNS1_3genE8ELNS1_11target_archE1030ELNS1_3gpuE2ELNS1_3repE0EEENS1_30default_config_static_selectorELNS0_4arch9wavefront6targetE0EEEvST_, .Lfunc_end202-_ZN7rocprim17ROCPRIM_400000_NS6detail17trampoline_kernelINS0_14default_configENS1_29binary_search_config_selectorIiiEEZNS1_14transform_implILb0ES3_S5_N6thrust23THRUST_200600_302600_NS6detail15normal_iteratorINS8_7pointerIiNS8_11hip_rocprim3tagENS8_11use_defaultESE_EEEESG_ZNS1_13binary_searchIS3_S5_NSA_INSB_IiSD_RiSE_EEEESG_SG_NS1_16binary_search_opENS9_16wrapped_functionINS8_7greaterIiEEbEEEE10hipError_tPvRmT1_T2_T3_mmT4_T5_P12ihipStream_tbEUlRKiE_EESQ_SU_SV_mSW_SZ_bEUlT_E_NS1_11comp_targetILNS1_3genE8ELNS1_11target_archE1030ELNS1_3gpuE2ELNS1_3repE0EEENS1_30default_config_static_selectorELNS0_4arch9wavefront6targetE0EEEvST_
                                        ; -- End function
	.set _ZN7rocprim17ROCPRIM_400000_NS6detail17trampoline_kernelINS0_14default_configENS1_29binary_search_config_selectorIiiEEZNS1_14transform_implILb0ES3_S5_N6thrust23THRUST_200600_302600_NS6detail15normal_iteratorINS8_7pointerIiNS8_11hip_rocprim3tagENS8_11use_defaultESE_EEEESG_ZNS1_13binary_searchIS3_S5_NSA_INSB_IiSD_RiSE_EEEESG_SG_NS1_16binary_search_opENS9_16wrapped_functionINS8_7greaterIiEEbEEEE10hipError_tPvRmT1_T2_T3_mmT4_T5_P12ihipStream_tbEUlRKiE_EESQ_SU_SV_mSW_SZ_bEUlT_E_NS1_11comp_targetILNS1_3genE8ELNS1_11target_archE1030ELNS1_3gpuE2ELNS1_3repE0EEENS1_30default_config_static_selectorELNS0_4arch9wavefront6targetE0EEEvST_.num_vgpr, 0
	.set _ZN7rocprim17ROCPRIM_400000_NS6detail17trampoline_kernelINS0_14default_configENS1_29binary_search_config_selectorIiiEEZNS1_14transform_implILb0ES3_S5_N6thrust23THRUST_200600_302600_NS6detail15normal_iteratorINS8_7pointerIiNS8_11hip_rocprim3tagENS8_11use_defaultESE_EEEESG_ZNS1_13binary_searchIS3_S5_NSA_INSB_IiSD_RiSE_EEEESG_SG_NS1_16binary_search_opENS9_16wrapped_functionINS8_7greaterIiEEbEEEE10hipError_tPvRmT1_T2_T3_mmT4_T5_P12ihipStream_tbEUlRKiE_EESQ_SU_SV_mSW_SZ_bEUlT_E_NS1_11comp_targetILNS1_3genE8ELNS1_11target_archE1030ELNS1_3gpuE2ELNS1_3repE0EEENS1_30default_config_static_selectorELNS0_4arch9wavefront6targetE0EEEvST_.num_agpr, 0
	.set _ZN7rocprim17ROCPRIM_400000_NS6detail17trampoline_kernelINS0_14default_configENS1_29binary_search_config_selectorIiiEEZNS1_14transform_implILb0ES3_S5_N6thrust23THRUST_200600_302600_NS6detail15normal_iteratorINS8_7pointerIiNS8_11hip_rocprim3tagENS8_11use_defaultESE_EEEESG_ZNS1_13binary_searchIS3_S5_NSA_INSB_IiSD_RiSE_EEEESG_SG_NS1_16binary_search_opENS9_16wrapped_functionINS8_7greaterIiEEbEEEE10hipError_tPvRmT1_T2_T3_mmT4_T5_P12ihipStream_tbEUlRKiE_EESQ_SU_SV_mSW_SZ_bEUlT_E_NS1_11comp_targetILNS1_3genE8ELNS1_11target_archE1030ELNS1_3gpuE2ELNS1_3repE0EEENS1_30default_config_static_selectorELNS0_4arch9wavefront6targetE0EEEvST_.numbered_sgpr, 0
	.set _ZN7rocprim17ROCPRIM_400000_NS6detail17trampoline_kernelINS0_14default_configENS1_29binary_search_config_selectorIiiEEZNS1_14transform_implILb0ES3_S5_N6thrust23THRUST_200600_302600_NS6detail15normal_iteratorINS8_7pointerIiNS8_11hip_rocprim3tagENS8_11use_defaultESE_EEEESG_ZNS1_13binary_searchIS3_S5_NSA_INSB_IiSD_RiSE_EEEESG_SG_NS1_16binary_search_opENS9_16wrapped_functionINS8_7greaterIiEEbEEEE10hipError_tPvRmT1_T2_T3_mmT4_T5_P12ihipStream_tbEUlRKiE_EESQ_SU_SV_mSW_SZ_bEUlT_E_NS1_11comp_targetILNS1_3genE8ELNS1_11target_archE1030ELNS1_3gpuE2ELNS1_3repE0EEENS1_30default_config_static_selectorELNS0_4arch9wavefront6targetE0EEEvST_.num_named_barrier, 0
	.set _ZN7rocprim17ROCPRIM_400000_NS6detail17trampoline_kernelINS0_14default_configENS1_29binary_search_config_selectorIiiEEZNS1_14transform_implILb0ES3_S5_N6thrust23THRUST_200600_302600_NS6detail15normal_iteratorINS8_7pointerIiNS8_11hip_rocprim3tagENS8_11use_defaultESE_EEEESG_ZNS1_13binary_searchIS3_S5_NSA_INSB_IiSD_RiSE_EEEESG_SG_NS1_16binary_search_opENS9_16wrapped_functionINS8_7greaterIiEEbEEEE10hipError_tPvRmT1_T2_T3_mmT4_T5_P12ihipStream_tbEUlRKiE_EESQ_SU_SV_mSW_SZ_bEUlT_E_NS1_11comp_targetILNS1_3genE8ELNS1_11target_archE1030ELNS1_3gpuE2ELNS1_3repE0EEENS1_30default_config_static_selectorELNS0_4arch9wavefront6targetE0EEEvST_.private_seg_size, 0
	.set _ZN7rocprim17ROCPRIM_400000_NS6detail17trampoline_kernelINS0_14default_configENS1_29binary_search_config_selectorIiiEEZNS1_14transform_implILb0ES3_S5_N6thrust23THRUST_200600_302600_NS6detail15normal_iteratorINS8_7pointerIiNS8_11hip_rocprim3tagENS8_11use_defaultESE_EEEESG_ZNS1_13binary_searchIS3_S5_NSA_INSB_IiSD_RiSE_EEEESG_SG_NS1_16binary_search_opENS9_16wrapped_functionINS8_7greaterIiEEbEEEE10hipError_tPvRmT1_T2_T3_mmT4_T5_P12ihipStream_tbEUlRKiE_EESQ_SU_SV_mSW_SZ_bEUlT_E_NS1_11comp_targetILNS1_3genE8ELNS1_11target_archE1030ELNS1_3gpuE2ELNS1_3repE0EEENS1_30default_config_static_selectorELNS0_4arch9wavefront6targetE0EEEvST_.uses_vcc, 0
	.set _ZN7rocprim17ROCPRIM_400000_NS6detail17trampoline_kernelINS0_14default_configENS1_29binary_search_config_selectorIiiEEZNS1_14transform_implILb0ES3_S5_N6thrust23THRUST_200600_302600_NS6detail15normal_iteratorINS8_7pointerIiNS8_11hip_rocprim3tagENS8_11use_defaultESE_EEEESG_ZNS1_13binary_searchIS3_S5_NSA_INSB_IiSD_RiSE_EEEESG_SG_NS1_16binary_search_opENS9_16wrapped_functionINS8_7greaterIiEEbEEEE10hipError_tPvRmT1_T2_T3_mmT4_T5_P12ihipStream_tbEUlRKiE_EESQ_SU_SV_mSW_SZ_bEUlT_E_NS1_11comp_targetILNS1_3genE8ELNS1_11target_archE1030ELNS1_3gpuE2ELNS1_3repE0EEENS1_30default_config_static_selectorELNS0_4arch9wavefront6targetE0EEEvST_.uses_flat_scratch, 0
	.set _ZN7rocprim17ROCPRIM_400000_NS6detail17trampoline_kernelINS0_14default_configENS1_29binary_search_config_selectorIiiEEZNS1_14transform_implILb0ES3_S5_N6thrust23THRUST_200600_302600_NS6detail15normal_iteratorINS8_7pointerIiNS8_11hip_rocprim3tagENS8_11use_defaultESE_EEEESG_ZNS1_13binary_searchIS3_S5_NSA_INSB_IiSD_RiSE_EEEESG_SG_NS1_16binary_search_opENS9_16wrapped_functionINS8_7greaterIiEEbEEEE10hipError_tPvRmT1_T2_T3_mmT4_T5_P12ihipStream_tbEUlRKiE_EESQ_SU_SV_mSW_SZ_bEUlT_E_NS1_11comp_targetILNS1_3genE8ELNS1_11target_archE1030ELNS1_3gpuE2ELNS1_3repE0EEENS1_30default_config_static_selectorELNS0_4arch9wavefront6targetE0EEEvST_.has_dyn_sized_stack, 0
	.set _ZN7rocprim17ROCPRIM_400000_NS6detail17trampoline_kernelINS0_14default_configENS1_29binary_search_config_selectorIiiEEZNS1_14transform_implILb0ES3_S5_N6thrust23THRUST_200600_302600_NS6detail15normal_iteratorINS8_7pointerIiNS8_11hip_rocprim3tagENS8_11use_defaultESE_EEEESG_ZNS1_13binary_searchIS3_S5_NSA_INSB_IiSD_RiSE_EEEESG_SG_NS1_16binary_search_opENS9_16wrapped_functionINS8_7greaterIiEEbEEEE10hipError_tPvRmT1_T2_T3_mmT4_T5_P12ihipStream_tbEUlRKiE_EESQ_SU_SV_mSW_SZ_bEUlT_E_NS1_11comp_targetILNS1_3genE8ELNS1_11target_archE1030ELNS1_3gpuE2ELNS1_3repE0EEENS1_30default_config_static_selectorELNS0_4arch9wavefront6targetE0EEEvST_.has_recursion, 0
	.set _ZN7rocprim17ROCPRIM_400000_NS6detail17trampoline_kernelINS0_14default_configENS1_29binary_search_config_selectorIiiEEZNS1_14transform_implILb0ES3_S5_N6thrust23THRUST_200600_302600_NS6detail15normal_iteratorINS8_7pointerIiNS8_11hip_rocprim3tagENS8_11use_defaultESE_EEEESG_ZNS1_13binary_searchIS3_S5_NSA_INSB_IiSD_RiSE_EEEESG_SG_NS1_16binary_search_opENS9_16wrapped_functionINS8_7greaterIiEEbEEEE10hipError_tPvRmT1_T2_T3_mmT4_T5_P12ihipStream_tbEUlRKiE_EESQ_SU_SV_mSW_SZ_bEUlT_E_NS1_11comp_targetILNS1_3genE8ELNS1_11target_archE1030ELNS1_3gpuE2ELNS1_3repE0EEENS1_30default_config_static_selectorELNS0_4arch9wavefront6targetE0EEEvST_.has_indirect_call, 0
	.section	.AMDGPU.csdata,"",@progbits
; Kernel info:
; codeLenInByte = 0
; TotalNumSgprs: 0
; NumVgprs: 0
; ScratchSize: 0
; MemoryBound: 0
; FloatMode: 240
; IeeeMode: 1
; LDSByteSize: 0 bytes/workgroup (compile time only)
; SGPRBlocks: 0
; VGPRBlocks: 0
; NumSGPRsForWavesPerEU: 1
; NumVGPRsForWavesPerEU: 1
; NamedBarCnt: 0
; Occupancy: 16
; WaveLimiterHint : 0
; COMPUTE_PGM_RSRC2:SCRATCH_EN: 0
; COMPUTE_PGM_RSRC2:USER_SGPR: 2
; COMPUTE_PGM_RSRC2:TRAP_HANDLER: 0
; COMPUTE_PGM_RSRC2:TGID_X_EN: 1
; COMPUTE_PGM_RSRC2:TGID_Y_EN: 0
; COMPUTE_PGM_RSRC2:TGID_Z_EN: 0
; COMPUTE_PGM_RSRC2:TIDIG_COMP_CNT: 0
	.section	.AMDGPU.gpr_maximums,"",@progbits
	.set amdgpu.max_num_vgpr, 0
	.set amdgpu.max_num_agpr, 0
	.set amdgpu.max_num_sgpr, 0
	.section	.AMDGPU.csdata,"",@progbits
	.type	__hip_cuid_414af6e866f863b4,@object ; @__hip_cuid_414af6e866f863b4
	.section	.bss,"aw",@nobits
	.globl	__hip_cuid_414af6e866f863b4
__hip_cuid_414af6e866f863b4:
	.byte	0                               ; 0x0
	.size	__hip_cuid_414af6e866f863b4, 1

	.ident	"AMD clang version 22.0.0git (https://github.com/RadeonOpenCompute/llvm-project roc-7.2.4 26084 f58b06dce1f9c15707c5f808fd002e18c2accf7e)"
	.section	".note.GNU-stack","",@progbits
	.addrsig
	.addrsig_sym __hip_cuid_414af6e866f863b4
	.amdgpu_metadata
---
amdhsa.kernels:
  - .args:
      - .offset:         0
        .size:           16
        .value_kind:     by_value
      - .offset:         16
        .size:           8
        .value_kind:     by_value
      - .offset:         24
        .size:           8
        .value_kind:     by_value
    .group_segment_fixed_size: 0
    .kernarg_segment_align: 8
    .kernarg_segment_size: 32
    .language:       OpenCL C
    .language_version:
      - 2
      - 0
    .max_flat_workgroup_size: 256
    .name:           _ZN6thrust23THRUST_200600_302600_NS11hip_rocprim14__parallel_for6kernelILj256ENS1_20__uninitialized_fill7functorINS0_10device_ptrIaEEaEEmLj1EEEvT0_T1_SA_
    .private_segment_fixed_size: 0
    .sgpr_count:     14
    .sgpr_spill_count: 0
    .symbol:         _ZN6thrust23THRUST_200600_302600_NS11hip_rocprim14__parallel_for6kernelILj256ENS1_20__uninitialized_fill7functorINS0_10device_ptrIaEEaEEmLj1EEEvT0_T1_SA_.kd
    .uniform_work_group_size: 1
    .uses_dynamic_stack: false
    .vgpr_count:     2
    .vgpr_spill_count: 0
    .wavefront_size: 32
  - .args:
      - .offset:         0
        .size:           56
        .value_kind:     by_value
      - .offset:         56
        .size:           4
        .value_kind:     hidden_block_count_x
      - .offset:         60
        .size:           4
        .value_kind:     hidden_block_count_y
      - .offset:         64
        .size:           4
        .value_kind:     hidden_block_count_z
      - .offset:         68
        .size:           2
        .value_kind:     hidden_group_size_x
      - .offset:         70
        .size:           2
        .value_kind:     hidden_group_size_y
      - .offset:         72
        .size:           2
        .value_kind:     hidden_group_size_z
      - .offset:         74
        .size:           2
        .value_kind:     hidden_remainder_x
      - .offset:         76
        .size:           2
        .value_kind:     hidden_remainder_y
      - .offset:         78
        .size:           2
        .value_kind:     hidden_remainder_z
      - .offset:         96
        .size:           8
        .value_kind:     hidden_global_offset_x
      - .offset:         104
        .size:           8
        .value_kind:     hidden_global_offset_y
      - .offset:         112
        .size:           8
        .value_kind:     hidden_global_offset_z
      - .offset:         120
        .size:           2
        .value_kind:     hidden_grid_dims
    .group_segment_fixed_size: 0
    .kernarg_segment_align: 8
    .kernarg_segment_size: 312
    .language:       OpenCL C
    .language_version:
      - 2
      - 0
    .max_flat_workgroup_size: 256
    .name:           _ZN7rocprim17ROCPRIM_400000_NS6detail17trampoline_kernelINS0_14default_configENS1_27lower_bound_config_selectorIalEEZNS1_14transform_implILb0ES3_S5_N6thrust23THRUST_200600_302600_NS6detail15normal_iteratorINS8_7pointerIaNS8_11hip_rocprim3tagENS8_11use_defaultESE_EEEENSA_INSB_IlSD_SE_SE_EEEEZNS1_13binary_searchIS3_S5_NSA_INS8_10device_ptrIaEEEESG_SI_NS1_21lower_bound_search_opENS9_16wrapped_functionINS8_7greaterIaEEbEEEE10hipError_tPvRmT1_T2_T3_mmT4_T5_P12ihipStream_tbEUlRKaE_EESS_SW_SX_mSY_S11_bEUlT_E_NS1_11comp_targetILNS1_3genE0ELNS1_11target_archE4294967295ELNS1_3gpuE0ELNS1_3repE0EEENS1_30default_config_static_selectorELNS0_4arch9wavefront6targetE0EEEvSV_
    .private_segment_fixed_size: 0
    .sgpr_count:     21
    .sgpr_spill_count: 0
    .symbol:         _ZN7rocprim17ROCPRIM_400000_NS6detail17trampoline_kernelINS0_14default_configENS1_27lower_bound_config_selectorIalEEZNS1_14transform_implILb0ES3_S5_N6thrust23THRUST_200600_302600_NS6detail15normal_iteratorINS8_7pointerIaNS8_11hip_rocprim3tagENS8_11use_defaultESE_EEEENSA_INSB_IlSD_SE_SE_EEEEZNS1_13binary_searchIS3_S5_NSA_INS8_10device_ptrIaEEEESG_SI_NS1_21lower_bound_search_opENS9_16wrapped_functionINS8_7greaterIaEEbEEEE10hipError_tPvRmT1_T2_T3_mmT4_T5_P12ihipStream_tbEUlRKaE_EESS_SW_SX_mSY_S11_bEUlT_E_NS1_11comp_targetILNS1_3genE0ELNS1_11target_archE4294967295ELNS1_3gpuE0ELNS1_3repE0EEENS1_30default_config_static_selectorELNS0_4arch9wavefront6targetE0EEEvSV_.kd
    .uniform_work_group_size: 1
    .uses_dynamic_stack: false
    .vgpr_count:     18
    .vgpr_spill_count: 0
    .wavefront_size: 32
  - .args:
      - .offset:         0
        .size:           56
        .value_kind:     by_value
    .group_segment_fixed_size: 0
    .kernarg_segment_align: 8
    .kernarg_segment_size: 56
    .language:       OpenCL C
    .language_version:
      - 2
      - 0
    .max_flat_workgroup_size: 128
    .name:           _ZN7rocprim17ROCPRIM_400000_NS6detail17trampoline_kernelINS0_14default_configENS1_27lower_bound_config_selectorIalEEZNS1_14transform_implILb0ES3_S5_N6thrust23THRUST_200600_302600_NS6detail15normal_iteratorINS8_7pointerIaNS8_11hip_rocprim3tagENS8_11use_defaultESE_EEEENSA_INSB_IlSD_SE_SE_EEEEZNS1_13binary_searchIS3_S5_NSA_INS8_10device_ptrIaEEEESG_SI_NS1_21lower_bound_search_opENS9_16wrapped_functionINS8_7greaterIaEEbEEEE10hipError_tPvRmT1_T2_T3_mmT4_T5_P12ihipStream_tbEUlRKaE_EESS_SW_SX_mSY_S11_bEUlT_E_NS1_11comp_targetILNS1_3genE5ELNS1_11target_archE942ELNS1_3gpuE9ELNS1_3repE0EEENS1_30default_config_static_selectorELNS0_4arch9wavefront6targetE0EEEvSV_
    .private_segment_fixed_size: 0
    .sgpr_count:     0
    .sgpr_spill_count: 0
    .symbol:         _ZN7rocprim17ROCPRIM_400000_NS6detail17trampoline_kernelINS0_14default_configENS1_27lower_bound_config_selectorIalEEZNS1_14transform_implILb0ES3_S5_N6thrust23THRUST_200600_302600_NS6detail15normal_iteratorINS8_7pointerIaNS8_11hip_rocprim3tagENS8_11use_defaultESE_EEEENSA_INSB_IlSD_SE_SE_EEEEZNS1_13binary_searchIS3_S5_NSA_INS8_10device_ptrIaEEEESG_SI_NS1_21lower_bound_search_opENS9_16wrapped_functionINS8_7greaterIaEEbEEEE10hipError_tPvRmT1_T2_T3_mmT4_T5_P12ihipStream_tbEUlRKaE_EESS_SW_SX_mSY_S11_bEUlT_E_NS1_11comp_targetILNS1_3genE5ELNS1_11target_archE942ELNS1_3gpuE9ELNS1_3repE0EEENS1_30default_config_static_selectorELNS0_4arch9wavefront6targetE0EEEvSV_.kd
    .uniform_work_group_size: 1
    .uses_dynamic_stack: false
    .vgpr_count:     0
    .vgpr_spill_count: 0
    .wavefront_size: 32
  - .args:
      - .offset:         0
        .size:           56
        .value_kind:     by_value
    .group_segment_fixed_size: 0
    .kernarg_segment_align: 8
    .kernarg_segment_size: 56
    .language:       OpenCL C
    .language_version:
      - 2
      - 0
    .max_flat_workgroup_size: 128
    .name:           _ZN7rocprim17ROCPRIM_400000_NS6detail17trampoline_kernelINS0_14default_configENS1_27lower_bound_config_selectorIalEEZNS1_14transform_implILb0ES3_S5_N6thrust23THRUST_200600_302600_NS6detail15normal_iteratorINS8_7pointerIaNS8_11hip_rocprim3tagENS8_11use_defaultESE_EEEENSA_INSB_IlSD_SE_SE_EEEEZNS1_13binary_searchIS3_S5_NSA_INS8_10device_ptrIaEEEESG_SI_NS1_21lower_bound_search_opENS9_16wrapped_functionINS8_7greaterIaEEbEEEE10hipError_tPvRmT1_T2_T3_mmT4_T5_P12ihipStream_tbEUlRKaE_EESS_SW_SX_mSY_S11_bEUlT_E_NS1_11comp_targetILNS1_3genE4ELNS1_11target_archE910ELNS1_3gpuE8ELNS1_3repE0EEENS1_30default_config_static_selectorELNS0_4arch9wavefront6targetE0EEEvSV_
    .private_segment_fixed_size: 0
    .sgpr_count:     0
    .sgpr_spill_count: 0
    .symbol:         _ZN7rocprim17ROCPRIM_400000_NS6detail17trampoline_kernelINS0_14default_configENS1_27lower_bound_config_selectorIalEEZNS1_14transform_implILb0ES3_S5_N6thrust23THRUST_200600_302600_NS6detail15normal_iteratorINS8_7pointerIaNS8_11hip_rocprim3tagENS8_11use_defaultESE_EEEENSA_INSB_IlSD_SE_SE_EEEEZNS1_13binary_searchIS3_S5_NSA_INS8_10device_ptrIaEEEESG_SI_NS1_21lower_bound_search_opENS9_16wrapped_functionINS8_7greaterIaEEbEEEE10hipError_tPvRmT1_T2_T3_mmT4_T5_P12ihipStream_tbEUlRKaE_EESS_SW_SX_mSY_S11_bEUlT_E_NS1_11comp_targetILNS1_3genE4ELNS1_11target_archE910ELNS1_3gpuE8ELNS1_3repE0EEENS1_30default_config_static_selectorELNS0_4arch9wavefront6targetE0EEEvSV_.kd
    .uniform_work_group_size: 1
    .uses_dynamic_stack: false
    .vgpr_count:     0
    .vgpr_spill_count: 0
    .wavefront_size: 32
  - .args:
      - .offset:         0
        .size:           56
        .value_kind:     by_value
    .group_segment_fixed_size: 0
    .kernarg_segment_align: 8
    .kernarg_segment_size: 56
    .language:       OpenCL C
    .language_version:
      - 2
      - 0
    .max_flat_workgroup_size: 256
    .name:           _ZN7rocprim17ROCPRIM_400000_NS6detail17trampoline_kernelINS0_14default_configENS1_27lower_bound_config_selectorIalEEZNS1_14transform_implILb0ES3_S5_N6thrust23THRUST_200600_302600_NS6detail15normal_iteratorINS8_7pointerIaNS8_11hip_rocprim3tagENS8_11use_defaultESE_EEEENSA_INSB_IlSD_SE_SE_EEEEZNS1_13binary_searchIS3_S5_NSA_INS8_10device_ptrIaEEEESG_SI_NS1_21lower_bound_search_opENS9_16wrapped_functionINS8_7greaterIaEEbEEEE10hipError_tPvRmT1_T2_T3_mmT4_T5_P12ihipStream_tbEUlRKaE_EESS_SW_SX_mSY_S11_bEUlT_E_NS1_11comp_targetILNS1_3genE3ELNS1_11target_archE908ELNS1_3gpuE7ELNS1_3repE0EEENS1_30default_config_static_selectorELNS0_4arch9wavefront6targetE0EEEvSV_
    .private_segment_fixed_size: 0
    .sgpr_count:     0
    .sgpr_spill_count: 0
    .symbol:         _ZN7rocprim17ROCPRIM_400000_NS6detail17trampoline_kernelINS0_14default_configENS1_27lower_bound_config_selectorIalEEZNS1_14transform_implILb0ES3_S5_N6thrust23THRUST_200600_302600_NS6detail15normal_iteratorINS8_7pointerIaNS8_11hip_rocprim3tagENS8_11use_defaultESE_EEEENSA_INSB_IlSD_SE_SE_EEEEZNS1_13binary_searchIS3_S5_NSA_INS8_10device_ptrIaEEEESG_SI_NS1_21lower_bound_search_opENS9_16wrapped_functionINS8_7greaterIaEEbEEEE10hipError_tPvRmT1_T2_T3_mmT4_T5_P12ihipStream_tbEUlRKaE_EESS_SW_SX_mSY_S11_bEUlT_E_NS1_11comp_targetILNS1_3genE3ELNS1_11target_archE908ELNS1_3gpuE7ELNS1_3repE0EEENS1_30default_config_static_selectorELNS0_4arch9wavefront6targetE0EEEvSV_.kd
    .uniform_work_group_size: 1
    .uses_dynamic_stack: false
    .vgpr_count:     0
    .vgpr_spill_count: 0
    .wavefront_size: 32
  - .args:
      - .offset:         0
        .size:           56
        .value_kind:     by_value
    .group_segment_fixed_size: 0
    .kernarg_segment_align: 8
    .kernarg_segment_size: 56
    .language:       OpenCL C
    .language_version:
      - 2
      - 0
    .max_flat_workgroup_size: 256
    .name:           _ZN7rocprim17ROCPRIM_400000_NS6detail17trampoline_kernelINS0_14default_configENS1_27lower_bound_config_selectorIalEEZNS1_14transform_implILb0ES3_S5_N6thrust23THRUST_200600_302600_NS6detail15normal_iteratorINS8_7pointerIaNS8_11hip_rocprim3tagENS8_11use_defaultESE_EEEENSA_INSB_IlSD_SE_SE_EEEEZNS1_13binary_searchIS3_S5_NSA_INS8_10device_ptrIaEEEESG_SI_NS1_21lower_bound_search_opENS9_16wrapped_functionINS8_7greaterIaEEbEEEE10hipError_tPvRmT1_T2_T3_mmT4_T5_P12ihipStream_tbEUlRKaE_EESS_SW_SX_mSY_S11_bEUlT_E_NS1_11comp_targetILNS1_3genE2ELNS1_11target_archE906ELNS1_3gpuE6ELNS1_3repE0EEENS1_30default_config_static_selectorELNS0_4arch9wavefront6targetE0EEEvSV_
    .private_segment_fixed_size: 0
    .sgpr_count:     0
    .sgpr_spill_count: 0
    .symbol:         _ZN7rocprim17ROCPRIM_400000_NS6detail17trampoline_kernelINS0_14default_configENS1_27lower_bound_config_selectorIalEEZNS1_14transform_implILb0ES3_S5_N6thrust23THRUST_200600_302600_NS6detail15normal_iteratorINS8_7pointerIaNS8_11hip_rocprim3tagENS8_11use_defaultESE_EEEENSA_INSB_IlSD_SE_SE_EEEEZNS1_13binary_searchIS3_S5_NSA_INS8_10device_ptrIaEEEESG_SI_NS1_21lower_bound_search_opENS9_16wrapped_functionINS8_7greaterIaEEbEEEE10hipError_tPvRmT1_T2_T3_mmT4_T5_P12ihipStream_tbEUlRKaE_EESS_SW_SX_mSY_S11_bEUlT_E_NS1_11comp_targetILNS1_3genE2ELNS1_11target_archE906ELNS1_3gpuE6ELNS1_3repE0EEENS1_30default_config_static_selectorELNS0_4arch9wavefront6targetE0EEEvSV_.kd
    .uniform_work_group_size: 1
    .uses_dynamic_stack: false
    .vgpr_count:     0
    .vgpr_spill_count: 0
    .wavefront_size: 32
  - .args:
      - .offset:         0
        .size:           56
        .value_kind:     by_value
    .group_segment_fixed_size: 0
    .kernarg_segment_align: 8
    .kernarg_segment_size: 56
    .language:       OpenCL C
    .language_version:
      - 2
      - 0
    .max_flat_workgroup_size: 64
    .name:           _ZN7rocprim17ROCPRIM_400000_NS6detail17trampoline_kernelINS0_14default_configENS1_27lower_bound_config_selectorIalEEZNS1_14transform_implILb0ES3_S5_N6thrust23THRUST_200600_302600_NS6detail15normal_iteratorINS8_7pointerIaNS8_11hip_rocprim3tagENS8_11use_defaultESE_EEEENSA_INSB_IlSD_SE_SE_EEEEZNS1_13binary_searchIS3_S5_NSA_INS8_10device_ptrIaEEEESG_SI_NS1_21lower_bound_search_opENS9_16wrapped_functionINS8_7greaterIaEEbEEEE10hipError_tPvRmT1_T2_T3_mmT4_T5_P12ihipStream_tbEUlRKaE_EESS_SW_SX_mSY_S11_bEUlT_E_NS1_11comp_targetILNS1_3genE10ELNS1_11target_archE1201ELNS1_3gpuE5ELNS1_3repE0EEENS1_30default_config_static_selectorELNS0_4arch9wavefront6targetE0EEEvSV_
    .private_segment_fixed_size: 0
    .sgpr_count:     0
    .sgpr_spill_count: 0
    .symbol:         _ZN7rocprim17ROCPRIM_400000_NS6detail17trampoline_kernelINS0_14default_configENS1_27lower_bound_config_selectorIalEEZNS1_14transform_implILb0ES3_S5_N6thrust23THRUST_200600_302600_NS6detail15normal_iteratorINS8_7pointerIaNS8_11hip_rocprim3tagENS8_11use_defaultESE_EEEENSA_INSB_IlSD_SE_SE_EEEEZNS1_13binary_searchIS3_S5_NSA_INS8_10device_ptrIaEEEESG_SI_NS1_21lower_bound_search_opENS9_16wrapped_functionINS8_7greaterIaEEbEEEE10hipError_tPvRmT1_T2_T3_mmT4_T5_P12ihipStream_tbEUlRKaE_EESS_SW_SX_mSY_S11_bEUlT_E_NS1_11comp_targetILNS1_3genE10ELNS1_11target_archE1201ELNS1_3gpuE5ELNS1_3repE0EEENS1_30default_config_static_selectorELNS0_4arch9wavefront6targetE0EEEvSV_.kd
    .uniform_work_group_size: 1
    .uses_dynamic_stack: false
    .vgpr_count:     0
    .vgpr_spill_count: 0
    .wavefront_size: 32
  - .args:
      - .offset:         0
        .size:           56
        .value_kind:     by_value
    .group_segment_fixed_size: 0
    .kernarg_segment_align: 8
    .kernarg_segment_size: 56
    .language:       OpenCL C
    .language_version:
      - 2
      - 0
    .max_flat_workgroup_size: 256
    .name:           _ZN7rocprim17ROCPRIM_400000_NS6detail17trampoline_kernelINS0_14default_configENS1_27lower_bound_config_selectorIalEEZNS1_14transform_implILb0ES3_S5_N6thrust23THRUST_200600_302600_NS6detail15normal_iteratorINS8_7pointerIaNS8_11hip_rocprim3tagENS8_11use_defaultESE_EEEENSA_INSB_IlSD_SE_SE_EEEEZNS1_13binary_searchIS3_S5_NSA_INS8_10device_ptrIaEEEESG_SI_NS1_21lower_bound_search_opENS9_16wrapped_functionINS8_7greaterIaEEbEEEE10hipError_tPvRmT1_T2_T3_mmT4_T5_P12ihipStream_tbEUlRKaE_EESS_SW_SX_mSY_S11_bEUlT_E_NS1_11comp_targetILNS1_3genE10ELNS1_11target_archE1200ELNS1_3gpuE4ELNS1_3repE0EEENS1_30default_config_static_selectorELNS0_4arch9wavefront6targetE0EEEvSV_
    .private_segment_fixed_size: 0
    .sgpr_count:     0
    .sgpr_spill_count: 0
    .symbol:         _ZN7rocprim17ROCPRIM_400000_NS6detail17trampoline_kernelINS0_14default_configENS1_27lower_bound_config_selectorIalEEZNS1_14transform_implILb0ES3_S5_N6thrust23THRUST_200600_302600_NS6detail15normal_iteratorINS8_7pointerIaNS8_11hip_rocprim3tagENS8_11use_defaultESE_EEEENSA_INSB_IlSD_SE_SE_EEEEZNS1_13binary_searchIS3_S5_NSA_INS8_10device_ptrIaEEEESG_SI_NS1_21lower_bound_search_opENS9_16wrapped_functionINS8_7greaterIaEEbEEEE10hipError_tPvRmT1_T2_T3_mmT4_T5_P12ihipStream_tbEUlRKaE_EESS_SW_SX_mSY_S11_bEUlT_E_NS1_11comp_targetILNS1_3genE10ELNS1_11target_archE1200ELNS1_3gpuE4ELNS1_3repE0EEENS1_30default_config_static_selectorELNS0_4arch9wavefront6targetE0EEEvSV_.kd
    .uniform_work_group_size: 1
    .uses_dynamic_stack: false
    .vgpr_count:     0
    .vgpr_spill_count: 0
    .wavefront_size: 32
  - .args:
      - .offset:         0
        .size:           56
        .value_kind:     by_value
    .group_segment_fixed_size: 0
    .kernarg_segment_align: 8
    .kernarg_segment_size: 56
    .language:       OpenCL C
    .language_version:
      - 2
      - 0
    .max_flat_workgroup_size: 256
    .name:           _ZN7rocprim17ROCPRIM_400000_NS6detail17trampoline_kernelINS0_14default_configENS1_27lower_bound_config_selectorIalEEZNS1_14transform_implILb0ES3_S5_N6thrust23THRUST_200600_302600_NS6detail15normal_iteratorINS8_7pointerIaNS8_11hip_rocprim3tagENS8_11use_defaultESE_EEEENSA_INSB_IlSD_SE_SE_EEEEZNS1_13binary_searchIS3_S5_NSA_INS8_10device_ptrIaEEEESG_SI_NS1_21lower_bound_search_opENS9_16wrapped_functionINS8_7greaterIaEEbEEEE10hipError_tPvRmT1_T2_T3_mmT4_T5_P12ihipStream_tbEUlRKaE_EESS_SW_SX_mSY_S11_bEUlT_E_NS1_11comp_targetILNS1_3genE9ELNS1_11target_archE1100ELNS1_3gpuE3ELNS1_3repE0EEENS1_30default_config_static_selectorELNS0_4arch9wavefront6targetE0EEEvSV_
    .private_segment_fixed_size: 0
    .sgpr_count:     0
    .sgpr_spill_count: 0
    .symbol:         _ZN7rocprim17ROCPRIM_400000_NS6detail17trampoline_kernelINS0_14default_configENS1_27lower_bound_config_selectorIalEEZNS1_14transform_implILb0ES3_S5_N6thrust23THRUST_200600_302600_NS6detail15normal_iteratorINS8_7pointerIaNS8_11hip_rocprim3tagENS8_11use_defaultESE_EEEENSA_INSB_IlSD_SE_SE_EEEEZNS1_13binary_searchIS3_S5_NSA_INS8_10device_ptrIaEEEESG_SI_NS1_21lower_bound_search_opENS9_16wrapped_functionINS8_7greaterIaEEbEEEE10hipError_tPvRmT1_T2_T3_mmT4_T5_P12ihipStream_tbEUlRKaE_EESS_SW_SX_mSY_S11_bEUlT_E_NS1_11comp_targetILNS1_3genE9ELNS1_11target_archE1100ELNS1_3gpuE3ELNS1_3repE0EEENS1_30default_config_static_selectorELNS0_4arch9wavefront6targetE0EEEvSV_.kd
    .uniform_work_group_size: 1
    .uses_dynamic_stack: false
    .vgpr_count:     0
    .vgpr_spill_count: 0
    .wavefront_size: 32
  - .args:
      - .offset:         0
        .size:           56
        .value_kind:     by_value
    .group_segment_fixed_size: 0
    .kernarg_segment_align: 8
    .kernarg_segment_size: 56
    .language:       OpenCL C
    .language_version:
      - 2
      - 0
    .max_flat_workgroup_size: 128
    .name:           _ZN7rocprim17ROCPRIM_400000_NS6detail17trampoline_kernelINS0_14default_configENS1_27lower_bound_config_selectorIalEEZNS1_14transform_implILb0ES3_S5_N6thrust23THRUST_200600_302600_NS6detail15normal_iteratorINS8_7pointerIaNS8_11hip_rocprim3tagENS8_11use_defaultESE_EEEENSA_INSB_IlSD_SE_SE_EEEEZNS1_13binary_searchIS3_S5_NSA_INS8_10device_ptrIaEEEESG_SI_NS1_21lower_bound_search_opENS9_16wrapped_functionINS8_7greaterIaEEbEEEE10hipError_tPvRmT1_T2_T3_mmT4_T5_P12ihipStream_tbEUlRKaE_EESS_SW_SX_mSY_S11_bEUlT_E_NS1_11comp_targetILNS1_3genE8ELNS1_11target_archE1030ELNS1_3gpuE2ELNS1_3repE0EEENS1_30default_config_static_selectorELNS0_4arch9wavefront6targetE0EEEvSV_
    .private_segment_fixed_size: 0
    .sgpr_count:     0
    .sgpr_spill_count: 0
    .symbol:         _ZN7rocprim17ROCPRIM_400000_NS6detail17trampoline_kernelINS0_14default_configENS1_27lower_bound_config_selectorIalEEZNS1_14transform_implILb0ES3_S5_N6thrust23THRUST_200600_302600_NS6detail15normal_iteratorINS8_7pointerIaNS8_11hip_rocprim3tagENS8_11use_defaultESE_EEEENSA_INSB_IlSD_SE_SE_EEEEZNS1_13binary_searchIS3_S5_NSA_INS8_10device_ptrIaEEEESG_SI_NS1_21lower_bound_search_opENS9_16wrapped_functionINS8_7greaterIaEEbEEEE10hipError_tPvRmT1_T2_T3_mmT4_T5_P12ihipStream_tbEUlRKaE_EESS_SW_SX_mSY_S11_bEUlT_E_NS1_11comp_targetILNS1_3genE8ELNS1_11target_archE1030ELNS1_3gpuE2ELNS1_3repE0EEENS1_30default_config_static_selectorELNS0_4arch9wavefront6targetE0EEEvSV_.kd
    .uniform_work_group_size: 1
    .uses_dynamic_stack: false
    .vgpr_count:     0
    .vgpr_spill_count: 0
    .wavefront_size: 32
  - .args:
      - .offset:         0
        .size:           16
        .value_kind:     by_value
      - .offset:         16
        .size:           8
        .value_kind:     by_value
      - .offset:         24
        .size:           8
        .value_kind:     by_value
    .group_segment_fixed_size: 0
    .kernarg_segment_align: 8
    .kernarg_segment_size: 32
    .language:       OpenCL C
    .language_version:
      - 2
      - 0
    .max_flat_workgroup_size: 256
    .name:           _ZN6thrust23THRUST_200600_302600_NS11hip_rocprim14__parallel_for6kernelILj256ENS1_20__uninitialized_fill7functorINS0_10device_ptrIsEEsEEmLj1EEEvT0_T1_SA_
    .private_segment_fixed_size: 0
    .sgpr_count:     14
    .sgpr_spill_count: 0
    .symbol:         _ZN6thrust23THRUST_200600_302600_NS11hip_rocprim14__parallel_for6kernelILj256ENS1_20__uninitialized_fill7functorINS0_10device_ptrIsEEsEEmLj1EEEvT0_T1_SA_.kd
    .uniform_work_group_size: 1
    .uses_dynamic_stack: false
    .vgpr_count:     2
    .vgpr_spill_count: 0
    .wavefront_size: 32
  - .args:
      - .offset:         0
        .size:           56
        .value_kind:     by_value
      - .offset:         56
        .size:           4
        .value_kind:     hidden_block_count_x
      - .offset:         60
        .size:           4
        .value_kind:     hidden_block_count_y
      - .offset:         64
        .size:           4
        .value_kind:     hidden_block_count_z
      - .offset:         68
        .size:           2
        .value_kind:     hidden_group_size_x
      - .offset:         70
        .size:           2
        .value_kind:     hidden_group_size_y
      - .offset:         72
        .size:           2
        .value_kind:     hidden_group_size_z
      - .offset:         74
        .size:           2
        .value_kind:     hidden_remainder_x
      - .offset:         76
        .size:           2
        .value_kind:     hidden_remainder_y
      - .offset:         78
        .size:           2
        .value_kind:     hidden_remainder_z
      - .offset:         96
        .size:           8
        .value_kind:     hidden_global_offset_x
      - .offset:         104
        .size:           8
        .value_kind:     hidden_global_offset_y
      - .offset:         112
        .size:           8
        .value_kind:     hidden_global_offset_z
      - .offset:         120
        .size:           2
        .value_kind:     hidden_grid_dims
    .group_segment_fixed_size: 0
    .kernarg_segment_align: 8
    .kernarg_segment_size: 312
    .language:       OpenCL C
    .language_version:
      - 2
      - 0
    .max_flat_workgroup_size: 256
    .name:           _ZN7rocprim17ROCPRIM_400000_NS6detail17trampoline_kernelINS0_14default_configENS1_27lower_bound_config_selectorIslEEZNS1_14transform_implILb0ES3_S5_N6thrust23THRUST_200600_302600_NS6detail15normal_iteratorINS8_7pointerIsNS8_11hip_rocprim3tagENS8_11use_defaultESE_EEEENSA_INSB_IlSD_SE_SE_EEEEZNS1_13binary_searchIS3_S5_NSA_INS8_10device_ptrIsEEEESG_SI_NS1_21lower_bound_search_opENS9_16wrapped_functionINS8_7greaterIsEEbEEEE10hipError_tPvRmT1_T2_T3_mmT4_T5_P12ihipStream_tbEUlRKsE_EESS_SW_SX_mSY_S11_bEUlT_E_NS1_11comp_targetILNS1_3genE0ELNS1_11target_archE4294967295ELNS1_3gpuE0ELNS1_3repE0EEENS1_30default_config_static_selectorELNS0_4arch9wavefront6targetE0EEEvSV_
    .private_segment_fixed_size: 0
    .sgpr_count:     21
    .sgpr_spill_count: 0
    .symbol:         _ZN7rocprim17ROCPRIM_400000_NS6detail17trampoline_kernelINS0_14default_configENS1_27lower_bound_config_selectorIslEEZNS1_14transform_implILb0ES3_S5_N6thrust23THRUST_200600_302600_NS6detail15normal_iteratorINS8_7pointerIsNS8_11hip_rocprim3tagENS8_11use_defaultESE_EEEENSA_INSB_IlSD_SE_SE_EEEEZNS1_13binary_searchIS3_S5_NSA_INS8_10device_ptrIsEEEESG_SI_NS1_21lower_bound_search_opENS9_16wrapped_functionINS8_7greaterIsEEbEEEE10hipError_tPvRmT1_T2_T3_mmT4_T5_P12ihipStream_tbEUlRKsE_EESS_SW_SX_mSY_S11_bEUlT_E_NS1_11comp_targetILNS1_3genE0ELNS1_11target_archE4294967295ELNS1_3gpuE0ELNS1_3repE0EEENS1_30default_config_static_selectorELNS0_4arch9wavefront6targetE0EEEvSV_.kd
    .uniform_work_group_size: 1
    .uses_dynamic_stack: false
    .vgpr_count:     17
    .vgpr_spill_count: 0
    .wavefront_size: 32
  - .args:
      - .offset:         0
        .size:           56
        .value_kind:     by_value
    .group_segment_fixed_size: 0
    .kernarg_segment_align: 8
    .kernarg_segment_size: 56
    .language:       OpenCL C
    .language_version:
      - 2
      - 0
    .max_flat_workgroup_size: 256
    .name:           _ZN7rocprim17ROCPRIM_400000_NS6detail17trampoline_kernelINS0_14default_configENS1_27lower_bound_config_selectorIslEEZNS1_14transform_implILb0ES3_S5_N6thrust23THRUST_200600_302600_NS6detail15normal_iteratorINS8_7pointerIsNS8_11hip_rocprim3tagENS8_11use_defaultESE_EEEENSA_INSB_IlSD_SE_SE_EEEEZNS1_13binary_searchIS3_S5_NSA_INS8_10device_ptrIsEEEESG_SI_NS1_21lower_bound_search_opENS9_16wrapped_functionINS8_7greaterIsEEbEEEE10hipError_tPvRmT1_T2_T3_mmT4_T5_P12ihipStream_tbEUlRKsE_EESS_SW_SX_mSY_S11_bEUlT_E_NS1_11comp_targetILNS1_3genE5ELNS1_11target_archE942ELNS1_3gpuE9ELNS1_3repE0EEENS1_30default_config_static_selectorELNS0_4arch9wavefront6targetE0EEEvSV_
    .private_segment_fixed_size: 0
    .sgpr_count:     0
    .sgpr_spill_count: 0
    .symbol:         _ZN7rocprim17ROCPRIM_400000_NS6detail17trampoline_kernelINS0_14default_configENS1_27lower_bound_config_selectorIslEEZNS1_14transform_implILb0ES3_S5_N6thrust23THRUST_200600_302600_NS6detail15normal_iteratorINS8_7pointerIsNS8_11hip_rocprim3tagENS8_11use_defaultESE_EEEENSA_INSB_IlSD_SE_SE_EEEEZNS1_13binary_searchIS3_S5_NSA_INS8_10device_ptrIsEEEESG_SI_NS1_21lower_bound_search_opENS9_16wrapped_functionINS8_7greaterIsEEbEEEE10hipError_tPvRmT1_T2_T3_mmT4_T5_P12ihipStream_tbEUlRKsE_EESS_SW_SX_mSY_S11_bEUlT_E_NS1_11comp_targetILNS1_3genE5ELNS1_11target_archE942ELNS1_3gpuE9ELNS1_3repE0EEENS1_30default_config_static_selectorELNS0_4arch9wavefront6targetE0EEEvSV_.kd
    .uniform_work_group_size: 1
    .uses_dynamic_stack: false
    .vgpr_count:     0
    .vgpr_spill_count: 0
    .wavefront_size: 32
  - .args:
      - .offset:         0
        .size:           56
        .value_kind:     by_value
    .group_segment_fixed_size: 0
    .kernarg_segment_align: 8
    .kernarg_segment_size: 56
    .language:       OpenCL C
    .language_version:
      - 2
      - 0
    .max_flat_workgroup_size: 256
    .name:           _ZN7rocprim17ROCPRIM_400000_NS6detail17trampoline_kernelINS0_14default_configENS1_27lower_bound_config_selectorIslEEZNS1_14transform_implILb0ES3_S5_N6thrust23THRUST_200600_302600_NS6detail15normal_iteratorINS8_7pointerIsNS8_11hip_rocprim3tagENS8_11use_defaultESE_EEEENSA_INSB_IlSD_SE_SE_EEEEZNS1_13binary_searchIS3_S5_NSA_INS8_10device_ptrIsEEEESG_SI_NS1_21lower_bound_search_opENS9_16wrapped_functionINS8_7greaterIsEEbEEEE10hipError_tPvRmT1_T2_T3_mmT4_T5_P12ihipStream_tbEUlRKsE_EESS_SW_SX_mSY_S11_bEUlT_E_NS1_11comp_targetILNS1_3genE4ELNS1_11target_archE910ELNS1_3gpuE8ELNS1_3repE0EEENS1_30default_config_static_selectorELNS0_4arch9wavefront6targetE0EEEvSV_
    .private_segment_fixed_size: 0
    .sgpr_count:     0
    .sgpr_spill_count: 0
    .symbol:         _ZN7rocprim17ROCPRIM_400000_NS6detail17trampoline_kernelINS0_14default_configENS1_27lower_bound_config_selectorIslEEZNS1_14transform_implILb0ES3_S5_N6thrust23THRUST_200600_302600_NS6detail15normal_iteratorINS8_7pointerIsNS8_11hip_rocprim3tagENS8_11use_defaultESE_EEEENSA_INSB_IlSD_SE_SE_EEEEZNS1_13binary_searchIS3_S5_NSA_INS8_10device_ptrIsEEEESG_SI_NS1_21lower_bound_search_opENS9_16wrapped_functionINS8_7greaterIsEEbEEEE10hipError_tPvRmT1_T2_T3_mmT4_T5_P12ihipStream_tbEUlRKsE_EESS_SW_SX_mSY_S11_bEUlT_E_NS1_11comp_targetILNS1_3genE4ELNS1_11target_archE910ELNS1_3gpuE8ELNS1_3repE0EEENS1_30default_config_static_selectorELNS0_4arch9wavefront6targetE0EEEvSV_.kd
    .uniform_work_group_size: 1
    .uses_dynamic_stack: false
    .vgpr_count:     0
    .vgpr_spill_count: 0
    .wavefront_size: 32
  - .args:
      - .offset:         0
        .size:           56
        .value_kind:     by_value
    .group_segment_fixed_size: 0
    .kernarg_segment_align: 8
    .kernarg_segment_size: 56
    .language:       OpenCL C
    .language_version:
      - 2
      - 0
    .max_flat_workgroup_size: 256
    .name:           _ZN7rocprim17ROCPRIM_400000_NS6detail17trampoline_kernelINS0_14default_configENS1_27lower_bound_config_selectorIslEEZNS1_14transform_implILb0ES3_S5_N6thrust23THRUST_200600_302600_NS6detail15normal_iteratorINS8_7pointerIsNS8_11hip_rocprim3tagENS8_11use_defaultESE_EEEENSA_INSB_IlSD_SE_SE_EEEEZNS1_13binary_searchIS3_S5_NSA_INS8_10device_ptrIsEEEESG_SI_NS1_21lower_bound_search_opENS9_16wrapped_functionINS8_7greaterIsEEbEEEE10hipError_tPvRmT1_T2_T3_mmT4_T5_P12ihipStream_tbEUlRKsE_EESS_SW_SX_mSY_S11_bEUlT_E_NS1_11comp_targetILNS1_3genE3ELNS1_11target_archE908ELNS1_3gpuE7ELNS1_3repE0EEENS1_30default_config_static_selectorELNS0_4arch9wavefront6targetE0EEEvSV_
    .private_segment_fixed_size: 0
    .sgpr_count:     0
    .sgpr_spill_count: 0
    .symbol:         _ZN7rocprim17ROCPRIM_400000_NS6detail17trampoline_kernelINS0_14default_configENS1_27lower_bound_config_selectorIslEEZNS1_14transform_implILb0ES3_S5_N6thrust23THRUST_200600_302600_NS6detail15normal_iteratorINS8_7pointerIsNS8_11hip_rocprim3tagENS8_11use_defaultESE_EEEENSA_INSB_IlSD_SE_SE_EEEEZNS1_13binary_searchIS3_S5_NSA_INS8_10device_ptrIsEEEESG_SI_NS1_21lower_bound_search_opENS9_16wrapped_functionINS8_7greaterIsEEbEEEE10hipError_tPvRmT1_T2_T3_mmT4_T5_P12ihipStream_tbEUlRKsE_EESS_SW_SX_mSY_S11_bEUlT_E_NS1_11comp_targetILNS1_3genE3ELNS1_11target_archE908ELNS1_3gpuE7ELNS1_3repE0EEENS1_30default_config_static_selectorELNS0_4arch9wavefront6targetE0EEEvSV_.kd
    .uniform_work_group_size: 1
    .uses_dynamic_stack: false
    .vgpr_count:     0
    .vgpr_spill_count: 0
    .wavefront_size: 32
  - .args:
      - .offset:         0
        .size:           56
        .value_kind:     by_value
    .group_segment_fixed_size: 0
    .kernarg_segment_align: 8
    .kernarg_segment_size: 56
    .language:       OpenCL C
    .language_version:
      - 2
      - 0
    .max_flat_workgroup_size: 256
    .name:           _ZN7rocprim17ROCPRIM_400000_NS6detail17trampoline_kernelINS0_14default_configENS1_27lower_bound_config_selectorIslEEZNS1_14transform_implILb0ES3_S5_N6thrust23THRUST_200600_302600_NS6detail15normal_iteratorINS8_7pointerIsNS8_11hip_rocprim3tagENS8_11use_defaultESE_EEEENSA_INSB_IlSD_SE_SE_EEEEZNS1_13binary_searchIS3_S5_NSA_INS8_10device_ptrIsEEEESG_SI_NS1_21lower_bound_search_opENS9_16wrapped_functionINS8_7greaterIsEEbEEEE10hipError_tPvRmT1_T2_T3_mmT4_T5_P12ihipStream_tbEUlRKsE_EESS_SW_SX_mSY_S11_bEUlT_E_NS1_11comp_targetILNS1_3genE2ELNS1_11target_archE906ELNS1_3gpuE6ELNS1_3repE0EEENS1_30default_config_static_selectorELNS0_4arch9wavefront6targetE0EEEvSV_
    .private_segment_fixed_size: 0
    .sgpr_count:     0
    .sgpr_spill_count: 0
    .symbol:         _ZN7rocprim17ROCPRIM_400000_NS6detail17trampoline_kernelINS0_14default_configENS1_27lower_bound_config_selectorIslEEZNS1_14transform_implILb0ES3_S5_N6thrust23THRUST_200600_302600_NS6detail15normal_iteratorINS8_7pointerIsNS8_11hip_rocprim3tagENS8_11use_defaultESE_EEEENSA_INSB_IlSD_SE_SE_EEEEZNS1_13binary_searchIS3_S5_NSA_INS8_10device_ptrIsEEEESG_SI_NS1_21lower_bound_search_opENS9_16wrapped_functionINS8_7greaterIsEEbEEEE10hipError_tPvRmT1_T2_T3_mmT4_T5_P12ihipStream_tbEUlRKsE_EESS_SW_SX_mSY_S11_bEUlT_E_NS1_11comp_targetILNS1_3genE2ELNS1_11target_archE906ELNS1_3gpuE6ELNS1_3repE0EEENS1_30default_config_static_selectorELNS0_4arch9wavefront6targetE0EEEvSV_.kd
    .uniform_work_group_size: 1
    .uses_dynamic_stack: false
    .vgpr_count:     0
    .vgpr_spill_count: 0
    .wavefront_size: 32
  - .args:
      - .offset:         0
        .size:           56
        .value_kind:     by_value
    .group_segment_fixed_size: 0
    .kernarg_segment_align: 8
    .kernarg_segment_size: 56
    .language:       OpenCL C
    .language_version:
      - 2
      - 0
    .max_flat_workgroup_size: 256
    .name:           _ZN7rocprim17ROCPRIM_400000_NS6detail17trampoline_kernelINS0_14default_configENS1_27lower_bound_config_selectorIslEEZNS1_14transform_implILb0ES3_S5_N6thrust23THRUST_200600_302600_NS6detail15normal_iteratorINS8_7pointerIsNS8_11hip_rocprim3tagENS8_11use_defaultESE_EEEENSA_INSB_IlSD_SE_SE_EEEEZNS1_13binary_searchIS3_S5_NSA_INS8_10device_ptrIsEEEESG_SI_NS1_21lower_bound_search_opENS9_16wrapped_functionINS8_7greaterIsEEbEEEE10hipError_tPvRmT1_T2_T3_mmT4_T5_P12ihipStream_tbEUlRKsE_EESS_SW_SX_mSY_S11_bEUlT_E_NS1_11comp_targetILNS1_3genE10ELNS1_11target_archE1201ELNS1_3gpuE5ELNS1_3repE0EEENS1_30default_config_static_selectorELNS0_4arch9wavefront6targetE0EEEvSV_
    .private_segment_fixed_size: 0
    .sgpr_count:     0
    .sgpr_spill_count: 0
    .symbol:         _ZN7rocprim17ROCPRIM_400000_NS6detail17trampoline_kernelINS0_14default_configENS1_27lower_bound_config_selectorIslEEZNS1_14transform_implILb0ES3_S5_N6thrust23THRUST_200600_302600_NS6detail15normal_iteratorINS8_7pointerIsNS8_11hip_rocprim3tagENS8_11use_defaultESE_EEEENSA_INSB_IlSD_SE_SE_EEEEZNS1_13binary_searchIS3_S5_NSA_INS8_10device_ptrIsEEEESG_SI_NS1_21lower_bound_search_opENS9_16wrapped_functionINS8_7greaterIsEEbEEEE10hipError_tPvRmT1_T2_T3_mmT4_T5_P12ihipStream_tbEUlRKsE_EESS_SW_SX_mSY_S11_bEUlT_E_NS1_11comp_targetILNS1_3genE10ELNS1_11target_archE1201ELNS1_3gpuE5ELNS1_3repE0EEENS1_30default_config_static_selectorELNS0_4arch9wavefront6targetE0EEEvSV_.kd
    .uniform_work_group_size: 1
    .uses_dynamic_stack: false
    .vgpr_count:     0
    .vgpr_spill_count: 0
    .wavefront_size: 32
  - .args:
      - .offset:         0
        .size:           56
        .value_kind:     by_value
    .group_segment_fixed_size: 0
    .kernarg_segment_align: 8
    .kernarg_segment_size: 56
    .language:       OpenCL C
    .language_version:
      - 2
      - 0
    .max_flat_workgroup_size: 256
    .name:           _ZN7rocprim17ROCPRIM_400000_NS6detail17trampoline_kernelINS0_14default_configENS1_27lower_bound_config_selectorIslEEZNS1_14transform_implILb0ES3_S5_N6thrust23THRUST_200600_302600_NS6detail15normal_iteratorINS8_7pointerIsNS8_11hip_rocprim3tagENS8_11use_defaultESE_EEEENSA_INSB_IlSD_SE_SE_EEEEZNS1_13binary_searchIS3_S5_NSA_INS8_10device_ptrIsEEEESG_SI_NS1_21lower_bound_search_opENS9_16wrapped_functionINS8_7greaterIsEEbEEEE10hipError_tPvRmT1_T2_T3_mmT4_T5_P12ihipStream_tbEUlRKsE_EESS_SW_SX_mSY_S11_bEUlT_E_NS1_11comp_targetILNS1_3genE10ELNS1_11target_archE1200ELNS1_3gpuE4ELNS1_3repE0EEENS1_30default_config_static_selectorELNS0_4arch9wavefront6targetE0EEEvSV_
    .private_segment_fixed_size: 0
    .sgpr_count:     0
    .sgpr_spill_count: 0
    .symbol:         _ZN7rocprim17ROCPRIM_400000_NS6detail17trampoline_kernelINS0_14default_configENS1_27lower_bound_config_selectorIslEEZNS1_14transform_implILb0ES3_S5_N6thrust23THRUST_200600_302600_NS6detail15normal_iteratorINS8_7pointerIsNS8_11hip_rocprim3tagENS8_11use_defaultESE_EEEENSA_INSB_IlSD_SE_SE_EEEEZNS1_13binary_searchIS3_S5_NSA_INS8_10device_ptrIsEEEESG_SI_NS1_21lower_bound_search_opENS9_16wrapped_functionINS8_7greaterIsEEbEEEE10hipError_tPvRmT1_T2_T3_mmT4_T5_P12ihipStream_tbEUlRKsE_EESS_SW_SX_mSY_S11_bEUlT_E_NS1_11comp_targetILNS1_3genE10ELNS1_11target_archE1200ELNS1_3gpuE4ELNS1_3repE0EEENS1_30default_config_static_selectorELNS0_4arch9wavefront6targetE0EEEvSV_.kd
    .uniform_work_group_size: 1
    .uses_dynamic_stack: false
    .vgpr_count:     0
    .vgpr_spill_count: 0
    .wavefront_size: 32
  - .args:
      - .offset:         0
        .size:           56
        .value_kind:     by_value
    .group_segment_fixed_size: 0
    .kernarg_segment_align: 8
    .kernarg_segment_size: 56
    .language:       OpenCL C
    .language_version:
      - 2
      - 0
    .max_flat_workgroup_size: 64
    .name:           _ZN7rocprim17ROCPRIM_400000_NS6detail17trampoline_kernelINS0_14default_configENS1_27lower_bound_config_selectorIslEEZNS1_14transform_implILb0ES3_S5_N6thrust23THRUST_200600_302600_NS6detail15normal_iteratorINS8_7pointerIsNS8_11hip_rocprim3tagENS8_11use_defaultESE_EEEENSA_INSB_IlSD_SE_SE_EEEEZNS1_13binary_searchIS3_S5_NSA_INS8_10device_ptrIsEEEESG_SI_NS1_21lower_bound_search_opENS9_16wrapped_functionINS8_7greaterIsEEbEEEE10hipError_tPvRmT1_T2_T3_mmT4_T5_P12ihipStream_tbEUlRKsE_EESS_SW_SX_mSY_S11_bEUlT_E_NS1_11comp_targetILNS1_3genE9ELNS1_11target_archE1100ELNS1_3gpuE3ELNS1_3repE0EEENS1_30default_config_static_selectorELNS0_4arch9wavefront6targetE0EEEvSV_
    .private_segment_fixed_size: 0
    .sgpr_count:     0
    .sgpr_spill_count: 0
    .symbol:         _ZN7rocprim17ROCPRIM_400000_NS6detail17trampoline_kernelINS0_14default_configENS1_27lower_bound_config_selectorIslEEZNS1_14transform_implILb0ES3_S5_N6thrust23THRUST_200600_302600_NS6detail15normal_iteratorINS8_7pointerIsNS8_11hip_rocprim3tagENS8_11use_defaultESE_EEEENSA_INSB_IlSD_SE_SE_EEEEZNS1_13binary_searchIS3_S5_NSA_INS8_10device_ptrIsEEEESG_SI_NS1_21lower_bound_search_opENS9_16wrapped_functionINS8_7greaterIsEEbEEEE10hipError_tPvRmT1_T2_T3_mmT4_T5_P12ihipStream_tbEUlRKsE_EESS_SW_SX_mSY_S11_bEUlT_E_NS1_11comp_targetILNS1_3genE9ELNS1_11target_archE1100ELNS1_3gpuE3ELNS1_3repE0EEENS1_30default_config_static_selectorELNS0_4arch9wavefront6targetE0EEEvSV_.kd
    .uniform_work_group_size: 1
    .uses_dynamic_stack: false
    .vgpr_count:     0
    .vgpr_spill_count: 0
    .wavefront_size: 32
  - .args:
      - .offset:         0
        .size:           56
        .value_kind:     by_value
    .group_segment_fixed_size: 0
    .kernarg_segment_align: 8
    .kernarg_segment_size: 56
    .language:       OpenCL C
    .language_version:
      - 2
      - 0
    .max_flat_workgroup_size: 128
    .name:           _ZN7rocprim17ROCPRIM_400000_NS6detail17trampoline_kernelINS0_14default_configENS1_27lower_bound_config_selectorIslEEZNS1_14transform_implILb0ES3_S5_N6thrust23THRUST_200600_302600_NS6detail15normal_iteratorINS8_7pointerIsNS8_11hip_rocprim3tagENS8_11use_defaultESE_EEEENSA_INSB_IlSD_SE_SE_EEEEZNS1_13binary_searchIS3_S5_NSA_INS8_10device_ptrIsEEEESG_SI_NS1_21lower_bound_search_opENS9_16wrapped_functionINS8_7greaterIsEEbEEEE10hipError_tPvRmT1_T2_T3_mmT4_T5_P12ihipStream_tbEUlRKsE_EESS_SW_SX_mSY_S11_bEUlT_E_NS1_11comp_targetILNS1_3genE8ELNS1_11target_archE1030ELNS1_3gpuE2ELNS1_3repE0EEENS1_30default_config_static_selectorELNS0_4arch9wavefront6targetE0EEEvSV_
    .private_segment_fixed_size: 0
    .sgpr_count:     0
    .sgpr_spill_count: 0
    .symbol:         _ZN7rocprim17ROCPRIM_400000_NS6detail17trampoline_kernelINS0_14default_configENS1_27lower_bound_config_selectorIslEEZNS1_14transform_implILb0ES3_S5_N6thrust23THRUST_200600_302600_NS6detail15normal_iteratorINS8_7pointerIsNS8_11hip_rocprim3tagENS8_11use_defaultESE_EEEENSA_INSB_IlSD_SE_SE_EEEEZNS1_13binary_searchIS3_S5_NSA_INS8_10device_ptrIsEEEESG_SI_NS1_21lower_bound_search_opENS9_16wrapped_functionINS8_7greaterIsEEbEEEE10hipError_tPvRmT1_T2_T3_mmT4_T5_P12ihipStream_tbEUlRKsE_EESS_SW_SX_mSY_S11_bEUlT_E_NS1_11comp_targetILNS1_3genE8ELNS1_11target_archE1030ELNS1_3gpuE2ELNS1_3repE0EEENS1_30default_config_static_selectorELNS0_4arch9wavefront6targetE0EEEvSV_.kd
    .uniform_work_group_size: 1
    .uses_dynamic_stack: false
    .vgpr_count:     0
    .vgpr_spill_count: 0
    .wavefront_size: 32
  - .args:
      - .offset:         0
        .size:           16
        .value_kind:     by_value
      - .offset:         16
        .size:           8
        .value_kind:     by_value
      - .offset:         24
        .size:           8
        .value_kind:     by_value
    .group_segment_fixed_size: 0
    .kernarg_segment_align: 8
    .kernarg_segment_size: 32
    .language:       OpenCL C
    .language_version:
      - 2
      - 0
    .max_flat_workgroup_size: 256
    .name:           _ZN6thrust23THRUST_200600_302600_NS11hip_rocprim14__parallel_for6kernelILj256ENS1_20__uninitialized_fill7functorINS0_10device_ptrIiEEiEEmLj1EEEvT0_T1_SA_
    .private_segment_fixed_size: 0
    .sgpr_count:     14
    .sgpr_spill_count: 0
    .symbol:         _ZN6thrust23THRUST_200600_302600_NS11hip_rocprim14__parallel_for6kernelILj256ENS1_20__uninitialized_fill7functorINS0_10device_ptrIiEEiEEmLj1EEEvT0_T1_SA_.kd
    .uniform_work_group_size: 1
    .uses_dynamic_stack: false
    .vgpr_count:     2
    .vgpr_spill_count: 0
    .wavefront_size: 32
  - .args:
      - .offset:         0
        .size:           56
        .value_kind:     by_value
      - .offset:         56
        .size:           4
        .value_kind:     hidden_block_count_x
      - .offset:         60
        .size:           4
        .value_kind:     hidden_block_count_y
      - .offset:         64
        .size:           4
        .value_kind:     hidden_block_count_z
      - .offset:         68
        .size:           2
        .value_kind:     hidden_group_size_x
      - .offset:         70
        .size:           2
        .value_kind:     hidden_group_size_y
      - .offset:         72
        .size:           2
        .value_kind:     hidden_group_size_z
      - .offset:         74
        .size:           2
        .value_kind:     hidden_remainder_x
      - .offset:         76
        .size:           2
        .value_kind:     hidden_remainder_y
      - .offset:         78
        .size:           2
        .value_kind:     hidden_remainder_z
      - .offset:         96
        .size:           8
        .value_kind:     hidden_global_offset_x
      - .offset:         104
        .size:           8
        .value_kind:     hidden_global_offset_y
      - .offset:         112
        .size:           8
        .value_kind:     hidden_global_offset_z
      - .offset:         120
        .size:           2
        .value_kind:     hidden_grid_dims
    .group_segment_fixed_size: 0
    .kernarg_segment_align: 8
    .kernarg_segment_size: 312
    .language:       OpenCL C
    .language_version:
      - 2
      - 0
    .max_flat_workgroup_size: 256
    .name:           _ZN7rocprim17ROCPRIM_400000_NS6detail17trampoline_kernelINS0_14default_configENS1_27lower_bound_config_selectorIilEEZNS1_14transform_implILb0ES3_S5_N6thrust23THRUST_200600_302600_NS6detail15normal_iteratorINS8_7pointerIiNS8_11hip_rocprim3tagENS8_11use_defaultESE_EEEENSA_INSB_IlSD_SE_SE_EEEEZNS1_13binary_searchIS3_S5_NSA_INS8_10device_ptrIiEEEESG_SI_NS1_21lower_bound_search_opENS9_16wrapped_functionINS8_7greaterIiEEbEEEE10hipError_tPvRmT1_T2_T3_mmT4_T5_P12ihipStream_tbEUlRKiE_EESS_SW_SX_mSY_S11_bEUlT_E_NS1_11comp_targetILNS1_3genE0ELNS1_11target_archE4294967295ELNS1_3gpuE0ELNS1_3repE0EEENS1_30default_config_static_selectorELNS0_4arch9wavefront6targetE0EEEvSV_
    .private_segment_fixed_size: 0
    .sgpr_count:     20
    .sgpr_spill_count: 0
    .symbol:         _ZN7rocprim17ROCPRIM_400000_NS6detail17trampoline_kernelINS0_14default_configENS1_27lower_bound_config_selectorIilEEZNS1_14transform_implILb0ES3_S5_N6thrust23THRUST_200600_302600_NS6detail15normal_iteratorINS8_7pointerIiNS8_11hip_rocprim3tagENS8_11use_defaultESE_EEEENSA_INSB_IlSD_SE_SE_EEEEZNS1_13binary_searchIS3_S5_NSA_INS8_10device_ptrIiEEEESG_SI_NS1_21lower_bound_search_opENS9_16wrapped_functionINS8_7greaterIiEEbEEEE10hipError_tPvRmT1_T2_T3_mmT4_T5_P12ihipStream_tbEUlRKiE_EESS_SW_SX_mSY_S11_bEUlT_E_NS1_11comp_targetILNS1_3genE0ELNS1_11target_archE4294967295ELNS1_3gpuE0ELNS1_3repE0EEENS1_30default_config_static_selectorELNS0_4arch9wavefront6targetE0EEEvSV_.kd
    .uniform_work_group_size: 1
    .uses_dynamic_stack: false
    .vgpr_count:     11
    .vgpr_spill_count: 0
    .wavefront_size: 32
  - .args:
      - .offset:         0
        .size:           56
        .value_kind:     by_value
    .group_segment_fixed_size: 0
    .kernarg_segment_align: 8
    .kernarg_segment_size: 56
    .language:       OpenCL C
    .language_version:
      - 2
      - 0
    .max_flat_workgroup_size: 256
    .name:           _ZN7rocprim17ROCPRIM_400000_NS6detail17trampoline_kernelINS0_14default_configENS1_27lower_bound_config_selectorIilEEZNS1_14transform_implILb0ES3_S5_N6thrust23THRUST_200600_302600_NS6detail15normal_iteratorINS8_7pointerIiNS8_11hip_rocprim3tagENS8_11use_defaultESE_EEEENSA_INSB_IlSD_SE_SE_EEEEZNS1_13binary_searchIS3_S5_NSA_INS8_10device_ptrIiEEEESG_SI_NS1_21lower_bound_search_opENS9_16wrapped_functionINS8_7greaterIiEEbEEEE10hipError_tPvRmT1_T2_T3_mmT4_T5_P12ihipStream_tbEUlRKiE_EESS_SW_SX_mSY_S11_bEUlT_E_NS1_11comp_targetILNS1_3genE5ELNS1_11target_archE942ELNS1_3gpuE9ELNS1_3repE0EEENS1_30default_config_static_selectorELNS0_4arch9wavefront6targetE0EEEvSV_
    .private_segment_fixed_size: 0
    .sgpr_count:     0
    .sgpr_spill_count: 0
    .symbol:         _ZN7rocprim17ROCPRIM_400000_NS6detail17trampoline_kernelINS0_14default_configENS1_27lower_bound_config_selectorIilEEZNS1_14transform_implILb0ES3_S5_N6thrust23THRUST_200600_302600_NS6detail15normal_iteratorINS8_7pointerIiNS8_11hip_rocprim3tagENS8_11use_defaultESE_EEEENSA_INSB_IlSD_SE_SE_EEEEZNS1_13binary_searchIS3_S5_NSA_INS8_10device_ptrIiEEEESG_SI_NS1_21lower_bound_search_opENS9_16wrapped_functionINS8_7greaterIiEEbEEEE10hipError_tPvRmT1_T2_T3_mmT4_T5_P12ihipStream_tbEUlRKiE_EESS_SW_SX_mSY_S11_bEUlT_E_NS1_11comp_targetILNS1_3genE5ELNS1_11target_archE942ELNS1_3gpuE9ELNS1_3repE0EEENS1_30default_config_static_selectorELNS0_4arch9wavefront6targetE0EEEvSV_.kd
    .uniform_work_group_size: 1
    .uses_dynamic_stack: false
    .vgpr_count:     0
    .vgpr_spill_count: 0
    .wavefront_size: 32
  - .args:
      - .offset:         0
        .size:           56
        .value_kind:     by_value
    .group_segment_fixed_size: 0
    .kernarg_segment_align: 8
    .kernarg_segment_size: 56
    .language:       OpenCL C
    .language_version:
      - 2
      - 0
    .max_flat_workgroup_size: 256
    .name:           _ZN7rocprim17ROCPRIM_400000_NS6detail17trampoline_kernelINS0_14default_configENS1_27lower_bound_config_selectorIilEEZNS1_14transform_implILb0ES3_S5_N6thrust23THRUST_200600_302600_NS6detail15normal_iteratorINS8_7pointerIiNS8_11hip_rocprim3tagENS8_11use_defaultESE_EEEENSA_INSB_IlSD_SE_SE_EEEEZNS1_13binary_searchIS3_S5_NSA_INS8_10device_ptrIiEEEESG_SI_NS1_21lower_bound_search_opENS9_16wrapped_functionINS8_7greaterIiEEbEEEE10hipError_tPvRmT1_T2_T3_mmT4_T5_P12ihipStream_tbEUlRKiE_EESS_SW_SX_mSY_S11_bEUlT_E_NS1_11comp_targetILNS1_3genE4ELNS1_11target_archE910ELNS1_3gpuE8ELNS1_3repE0EEENS1_30default_config_static_selectorELNS0_4arch9wavefront6targetE0EEEvSV_
    .private_segment_fixed_size: 0
    .sgpr_count:     0
    .sgpr_spill_count: 0
    .symbol:         _ZN7rocprim17ROCPRIM_400000_NS6detail17trampoline_kernelINS0_14default_configENS1_27lower_bound_config_selectorIilEEZNS1_14transform_implILb0ES3_S5_N6thrust23THRUST_200600_302600_NS6detail15normal_iteratorINS8_7pointerIiNS8_11hip_rocprim3tagENS8_11use_defaultESE_EEEENSA_INSB_IlSD_SE_SE_EEEEZNS1_13binary_searchIS3_S5_NSA_INS8_10device_ptrIiEEEESG_SI_NS1_21lower_bound_search_opENS9_16wrapped_functionINS8_7greaterIiEEbEEEE10hipError_tPvRmT1_T2_T3_mmT4_T5_P12ihipStream_tbEUlRKiE_EESS_SW_SX_mSY_S11_bEUlT_E_NS1_11comp_targetILNS1_3genE4ELNS1_11target_archE910ELNS1_3gpuE8ELNS1_3repE0EEENS1_30default_config_static_selectorELNS0_4arch9wavefront6targetE0EEEvSV_.kd
    .uniform_work_group_size: 1
    .uses_dynamic_stack: false
    .vgpr_count:     0
    .vgpr_spill_count: 0
    .wavefront_size: 32
  - .args:
      - .offset:         0
        .size:           56
        .value_kind:     by_value
    .group_segment_fixed_size: 0
    .kernarg_segment_align: 8
    .kernarg_segment_size: 56
    .language:       OpenCL C
    .language_version:
      - 2
      - 0
    .max_flat_workgroup_size: 256
    .name:           _ZN7rocprim17ROCPRIM_400000_NS6detail17trampoline_kernelINS0_14default_configENS1_27lower_bound_config_selectorIilEEZNS1_14transform_implILb0ES3_S5_N6thrust23THRUST_200600_302600_NS6detail15normal_iteratorINS8_7pointerIiNS8_11hip_rocprim3tagENS8_11use_defaultESE_EEEENSA_INSB_IlSD_SE_SE_EEEEZNS1_13binary_searchIS3_S5_NSA_INS8_10device_ptrIiEEEESG_SI_NS1_21lower_bound_search_opENS9_16wrapped_functionINS8_7greaterIiEEbEEEE10hipError_tPvRmT1_T2_T3_mmT4_T5_P12ihipStream_tbEUlRKiE_EESS_SW_SX_mSY_S11_bEUlT_E_NS1_11comp_targetILNS1_3genE3ELNS1_11target_archE908ELNS1_3gpuE7ELNS1_3repE0EEENS1_30default_config_static_selectorELNS0_4arch9wavefront6targetE0EEEvSV_
    .private_segment_fixed_size: 0
    .sgpr_count:     0
    .sgpr_spill_count: 0
    .symbol:         _ZN7rocprim17ROCPRIM_400000_NS6detail17trampoline_kernelINS0_14default_configENS1_27lower_bound_config_selectorIilEEZNS1_14transform_implILb0ES3_S5_N6thrust23THRUST_200600_302600_NS6detail15normal_iteratorINS8_7pointerIiNS8_11hip_rocprim3tagENS8_11use_defaultESE_EEEENSA_INSB_IlSD_SE_SE_EEEEZNS1_13binary_searchIS3_S5_NSA_INS8_10device_ptrIiEEEESG_SI_NS1_21lower_bound_search_opENS9_16wrapped_functionINS8_7greaterIiEEbEEEE10hipError_tPvRmT1_T2_T3_mmT4_T5_P12ihipStream_tbEUlRKiE_EESS_SW_SX_mSY_S11_bEUlT_E_NS1_11comp_targetILNS1_3genE3ELNS1_11target_archE908ELNS1_3gpuE7ELNS1_3repE0EEENS1_30default_config_static_selectorELNS0_4arch9wavefront6targetE0EEEvSV_.kd
    .uniform_work_group_size: 1
    .uses_dynamic_stack: false
    .vgpr_count:     0
    .vgpr_spill_count: 0
    .wavefront_size: 32
  - .args:
      - .offset:         0
        .size:           56
        .value_kind:     by_value
    .group_segment_fixed_size: 0
    .kernarg_segment_align: 8
    .kernarg_segment_size: 56
    .language:       OpenCL C
    .language_version:
      - 2
      - 0
    .max_flat_workgroup_size: 256
    .name:           _ZN7rocprim17ROCPRIM_400000_NS6detail17trampoline_kernelINS0_14default_configENS1_27lower_bound_config_selectorIilEEZNS1_14transform_implILb0ES3_S5_N6thrust23THRUST_200600_302600_NS6detail15normal_iteratorINS8_7pointerIiNS8_11hip_rocprim3tagENS8_11use_defaultESE_EEEENSA_INSB_IlSD_SE_SE_EEEEZNS1_13binary_searchIS3_S5_NSA_INS8_10device_ptrIiEEEESG_SI_NS1_21lower_bound_search_opENS9_16wrapped_functionINS8_7greaterIiEEbEEEE10hipError_tPvRmT1_T2_T3_mmT4_T5_P12ihipStream_tbEUlRKiE_EESS_SW_SX_mSY_S11_bEUlT_E_NS1_11comp_targetILNS1_3genE2ELNS1_11target_archE906ELNS1_3gpuE6ELNS1_3repE0EEENS1_30default_config_static_selectorELNS0_4arch9wavefront6targetE0EEEvSV_
    .private_segment_fixed_size: 0
    .sgpr_count:     0
    .sgpr_spill_count: 0
    .symbol:         _ZN7rocprim17ROCPRIM_400000_NS6detail17trampoline_kernelINS0_14default_configENS1_27lower_bound_config_selectorIilEEZNS1_14transform_implILb0ES3_S5_N6thrust23THRUST_200600_302600_NS6detail15normal_iteratorINS8_7pointerIiNS8_11hip_rocprim3tagENS8_11use_defaultESE_EEEENSA_INSB_IlSD_SE_SE_EEEEZNS1_13binary_searchIS3_S5_NSA_INS8_10device_ptrIiEEEESG_SI_NS1_21lower_bound_search_opENS9_16wrapped_functionINS8_7greaterIiEEbEEEE10hipError_tPvRmT1_T2_T3_mmT4_T5_P12ihipStream_tbEUlRKiE_EESS_SW_SX_mSY_S11_bEUlT_E_NS1_11comp_targetILNS1_3genE2ELNS1_11target_archE906ELNS1_3gpuE6ELNS1_3repE0EEENS1_30default_config_static_selectorELNS0_4arch9wavefront6targetE0EEEvSV_.kd
    .uniform_work_group_size: 1
    .uses_dynamic_stack: false
    .vgpr_count:     0
    .vgpr_spill_count: 0
    .wavefront_size: 32
  - .args:
      - .offset:         0
        .size:           56
        .value_kind:     by_value
    .group_segment_fixed_size: 0
    .kernarg_segment_align: 8
    .kernarg_segment_size: 56
    .language:       OpenCL C
    .language_version:
      - 2
      - 0
    .max_flat_workgroup_size: 128
    .name:           _ZN7rocprim17ROCPRIM_400000_NS6detail17trampoline_kernelINS0_14default_configENS1_27lower_bound_config_selectorIilEEZNS1_14transform_implILb0ES3_S5_N6thrust23THRUST_200600_302600_NS6detail15normal_iteratorINS8_7pointerIiNS8_11hip_rocprim3tagENS8_11use_defaultESE_EEEENSA_INSB_IlSD_SE_SE_EEEEZNS1_13binary_searchIS3_S5_NSA_INS8_10device_ptrIiEEEESG_SI_NS1_21lower_bound_search_opENS9_16wrapped_functionINS8_7greaterIiEEbEEEE10hipError_tPvRmT1_T2_T3_mmT4_T5_P12ihipStream_tbEUlRKiE_EESS_SW_SX_mSY_S11_bEUlT_E_NS1_11comp_targetILNS1_3genE10ELNS1_11target_archE1201ELNS1_3gpuE5ELNS1_3repE0EEENS1_30default_config_static_selectorELNS0_4arch9wavefront6targetE0EEEvSV_
    .private_segment_fixed_size: 0
    .sgpr_count:     0
    .sgpr_spill_count: 0
    .symbol:         _ZN7rocprim17ROCPRIM_400000_NS6detail17trampoline_kernelINS0_14default_configENS1_27lower_bound_config_selectorIilEEZNS1_14transform_implILb0ES3_S5_N6thrust23THRUST_200600_302600_NS6detail15normal_iteratorINS8_7pointerIiNS8_11hip_rocprim3tagENS8_11use_defaultESE_EEEENSA_INSB_IlSD_SE_SE_EEEEZNS1_13binary_searchIS3_S5_NSA_INS8_10device_ptrIiEEEESG_SI_NS1_21lower_bound_search_opENS9_16wrapped_functionINS8_7greaterIiEEbEEEE10hipError_tPvRmT1_T2_T3_mmT4_T5_P12ihipStream_tbEUlRKiE_EESS_SW_SX_mSY_S11_bEUlT_E_NS1_11comp_targetILNS1_3genE10ELNS1_11target_archE1201ELNS1_3gpuE5ELNS1_3repE0EEENS1_30default_config_static_selectorELNS0_4arch9wavefront6targetE0EEEvSV_.kd
    .uniform_work_group_size: 1
    .uses_dynamic_stack: false
    .vgpr_count:     0
    .vgpr_spill_count: 0
    .wavefront_size: 32
  - .args:
      - .offset:         0
        .size:           56
        .value_kind:     by_value
    .group_segment_fixed_size: 0
    .kernarg_segment_align: 8
    .kernarg_segment_size: 56
    .language:       OpenCL C
    .language_version:
      - 2
      - 0
    .max_flat_workgroup_size: 128
    .name:           _ZN7rocprim17ROCPRIM_400000_NS6detail17trampoline_kernelINS0_14default_configENS1_27lower_bound_config_selectorIilEEZNS1_14transform_implILb0ES3_S5_N6thrust23THRUST_200600_302600_NS6detail15normal_iteratorINS8_7pointerIiNS8_11hip_rocprim3tagENS8_11use_defaultESE_EEEENSA_INSB_IlSD_SE_SE_EEEEZNS1_13binary_searchIS3_S5_NSA_INS8_10device_ptrIiEEEESG_SI_NS1_21lower_bound_search_opENS9_16wrapped_functionINS8_7greaterIiEEbEEEE10hipError_tPvRmT1_T2_T3_mmT4_T5_P12ihipStream_tbEUlRKiE_EESS_SW_SX_mSY_S11_bEUlT_E_NS1_11comp_targetILNS1_3genE10ELNS1_11target_archE1200ELNS1_3gpuE4ELNS1_3repE0EEENS1_30default_config_static_selectorELNS0_4arch9wavefront6targetE0EEEvSV_
    .private_segment_fixed_size: 0
    .sgpr_count:     0
    .sgpr_spill_count: 0
    .symbol:         _ZN7rocprim17ROCPRIM_400000_NS6detail17trampoline_kernelINS0_14default_configENS1_27lower_bound_config_selectorIilEEZNS1_14transform_implILb0ES3_S5_N6thrust23THRUST_200600_302600_NS6detail15normal_iteratorINS8_7pointerIiNS8_11hip_rocprim3tagENS8_11use_defaultESE_EEEENSA_INSB_IlSD_SE_SE_EEEEZNS1_13binary_searchIS3_S5_NSA_INS8_10device_ptrIiEEEESG_SI_NS1_21lower_bound_search_opENS9_16wrapped_functionINS8_7greaterIiEEbEEEE10hipError_tPvRmT1_T2_T3_mmT4_T5_P12ihipStream_tbEUlRKiE_EESS_SW_SX_mSY_S11_bEUlT_E_NS1_11comp_targetILNS1_3genE10ELNS1_11target_archE1200ELNS1_3gpuE4ELNS1_3repE0EEENS1_30default_config_static_selectorELNS0_4arch9wavefront6targetE0EEEvSV_.kd
    .uniform_work_group_size: 1
    .uses_dynamic_stack: false
    .vgpr_count:     0
    .vgpr_spill_count: 0
    .wavefront_size: 32
  - .args:
      - .offset:         0
        .size:           56
        .value_kind:     by_value
    .group_segment_fixed_size: 0
    .kernarg_segment_align: 8
    .kernarg_segment_size: 56
    .language:       OpenCL C
    .language_version:
      - 2
      - 0
    .max_flat_workgroup_size: 256
    .name:           _ZN7rocprim17ROCPRIM_400000_NS6detail17trampoline_kernelINS0_14default_configENS1_27lower_bound_config_selectorIilEEZNS1_14transform_implILb0ES3_S5_N6thrust23THRUST_200600_302600_NS6detail15normal_iteratorINS8_7pointerIiNS8_11hip_rocprim3tagENS8_11use_defaultESE_EEEENSA_INSB_IlSD_SE_SE_EEEEZNS1_13binary_searchIS3_S5_NSA_INS8_10device_ptrIiEEEESG_SI_NS1_21lower_bound_search_opENS9_16wrapped_functionINS8_7greaterIiEEbEEEE10hipError_tPvRmT1_T2_T3_mmT4_T5_P12ihipStream_tbEUlRKiE_EESS_SW_SX_mSY_S11_bEUlT_E_NS1_11comp_targetILNS1_3genE9ELNS1_11target_archE1100ELNS1_3gpuE3ELNS1_3repE0EEENS1_30default_config_static_selectorELNS0_4arch9wavefront6targetE0EEEvSV_
    .private_segment_fixed_size: 0
    .sgpr_count:     0
    .sgpr_spill_count: 0
    .symbol:         _ZN7rocprim17ROCPRIM_400000_NS6detail17trampoline_kernelINS0_14default_configENS1_27lower_bound_config_selectorIilEEZNS1_14transform_implILb0ES3_S5_N6thrust23THRUST_200600_302600_NS6detail15normal_iteratorINS8_7pointerIiNS8_11hip_rocprim3tagENS8_11use_defaultESE_EEEENSA_INSB_IlSD_SE_SE_EEEEZNS1_13binary_searchIS3_S5_NSA_INS8_10device_ptrIiEEEESG_SI_NS1_21lower_bound_search_opENS9_16wrapped_functionINS8_7greaterIiEEbEEEE10hipError_tPvRmT1_T2_T3_mmT4_T5_P12ihipStream_tbEUlRKiE_EESS_SW_SX_mSY_S11_bEUlT_E_NS1_11comp_targetILNS1_3genE9ELNS1_11target_archE1100ELNS1_3gpuE3ELNS1_3repE0EEENS1_30default_config_static_selectorELNS0_4arch9wavefront6targetE0EEEvSV_.kd
    .uniform_work_group_size: 1
    .uses_dynamic_stack: false
    .vgpr_count:     0
    .vgpr_spill_count: 0
    .wavefront_size: 32
  - .args:
      - .offset:         0
        .size:           56
        .value_kind:     by_value
    .group_segment_fixed_size: 0
    .kernarg_segment_align: 8
    .kernarg_segment_size: 56
    .language:       OpenCL C
    .language_version:
      - 2
      - 0
    .max_flat_workgroup_size: 256
    .name:           _ZN7rocprim17ROCPRIM_400000_NS6detail17trampoline_kernelINS0_14default_configENS1_27lower_bound_config_selectorIilEEZNS1_14transform_implILb0ES3_S5_N6thrust23THRUST_200600_302600_NS6detail15normal_iteratorINS8_7pointerIiNS8_11hip_rocprim3tagENS8_11use_defaultESE_EEEENSA_INSB_IlSD_SE_SE_EEEEZNS1_13binary_searchIS3_S5_NSA_INS8_10device_ptrIiEEEESG_SI_NS1_21lower_bound_search_opENS9_16wrapped_functionINS8_7greaterIiEEbEEEE10hipError_tPvRmT1_T2_T3_mmT4_T5_P12ihipStream_tbEUlRKiE_EESS_SW_SX_mSY_S11_bEUlT_E_NS1_11comp_targetILNS1_3genE8ELNS1_11target_archE1030ELNS1_3gpuE2ELNS1_3repE0EEENS1_30default_config_static_selectorELNS0_4arch9wavefront6targetE0EEEvSV_
    .private_segment_fixed_size: 0
    .sgpr_count:     0
    .sgpr_spill_count: 0
    .symbol:         _ZN7rocprim17ROCPRIM_400000_NS6detail17trampoline_kernelINS0_14default_configENS1_27lower_bound_config_selectorIilEEZNS1_14transform_implILb0ES3_S5_N6thrust23THRUST_200600_302600_NS6detail15normal_iteratorINS8_7pointerIiNS8_11hip_rocprim3tagENS8_11use_defaultESE_EEEENSA_INSB_IlSD_SE_SE_EEEEZNS1_13binary_searchIS3_S5_NSA_INS8_10device_ptrIiEEEESG_SI_NS1_21lower_bound_search_opENS9_16wrapped_functionINS8_7greaterIiEEbEEEE10hipError_tPvRmT1_T2_T3_mmT4_T5_P12ihipStream_tbEUlRKiE_EESS_SW_SX_mSY_S11_bEUlT_E_NS1_11comp_targetILNS1_3genE8ELNS1_11target_archE1030ELNS1_3gpuE2ELNS1_3repE0EEENS1_30default_config_static_selectorELNS0_4arch9wavefront6targetE0EEEvSV_.kd
    .uniform_work_group_size: 1
    .uses_dynamic_stack: false
    .vgpr_count:     0
    .vgpr_spill_count: 0
    .wavefront_size: 32
  - .args:
      - .offset:         0
        .size:           16
        .value_kind:     by_value
      - .offset:         16
        .size:           8
        .value_kind:     by_value
      - .offset:         24
        .size:           8
        .value_kind:     by_value
    .group_segment_fixed_size: 0
    .kernarg_segment_align: 8
    .kernarg_segment_size: 32
    .language:       OpenCL C
    .language_version:
      - 2
      - 0
    .max_flat_workgroup_size: 256
    .name:           _ZN6thrust23THRUST_200600_302600_NS11hip_rocprim14__parallel_for6kernelILj256ENS1_20__uninitialized_fill7functorINS0_10device_ptrIfEEfEEmLj1EEEvT0_T1_SA_
    .private_segment_fixed_size: 0
    .sgpr_count:     14
    .sgpr_spill_count: 0
    .symbol:         _ZN6thrust23THRUST_200600_302600_NS11hip_rocprim14__parallel_for6kernelILj256ENS1_20__uninitialized_fill7functorINS0_10device_ptrIfEEfEEmLj1EEEvT0_T1_SA_.kd
    .uniform_work_group_size: 1
    .uses_dynamic_stack: false
    .vgpr_count:     2
    .vgpr_spill_count: 0
    .wavefront_size: 32
  - .args:
      - .offset:         0
        .size:           56
        .value_kind:     by_value
      - .offset:         56
        .size:           4
        .value_kind:     hidden_block_count_x
      - .offset:         60
        .size:           4
        .value_kind:     hidden_block_count_y
      - .offset:         64
        .size:           4
        .value_kind:     hidden_block_count_z
      - .offset:         68
        .size:           2
        .value_kind:     hidden_group_size_x
      - .offset:         70
        .size:           2
        .value_kind:     hidden_group_size_y
      - .offset:         72
        .size:           2
        .value_kind:     hidden_group_size_z
      - .offset:         74
        .size:           2
        .value_kind:     hidden_remainder_x
      - .offset:         76
        .size:           2
        .value_kind:     hidden_remainder_y
      - .offset:         78
        .size:           2
        .value_kind:     hidden_remainder_z
      - .offset:         96
        .size:           8
        .value_kind:     hidden_global_offset_x
      - .offset:         104
        .size:           8
        .value_kind:     hidden_global_offset_y
      - .offset:         112
        .size:           8
        .value_kind:     hidden_global_offset_z
      - .offset:         120
        .size:           2
        .value_kind:     hidden_grid_dims
    .group_segment_fixed_size: 0
    .kernarg_segment_align: 8
    .kernarg_segment_size: 312
    .language:       OpenCL C
    .language_version:
      - 2
      - 0
    .max_flat_workgroup_size: 256
    .name:           _ZN7rocprim17ROCPRIM_400000_NS6detail17trampoline_kernelINS0_14default_configENS1_27lower_bound_config_selectorIflEEZNS1_14transform_implILb0ES3_S5_N6thrust23THRUST_200600_302600_NS6detail15normal_iteratorINS8_7pointerIfNS8_11hip_rocprim3tagENS8_11use_defaultESE_EEEENSA_INSB_IlSD_SE_SE_EEEEZNS1_13binary_searchIS3_S5_NSA_INS8_10device_ptrIfEEEESG_SI_NS1_21lower_bound_search_opENS9_16wrapped_functionINS8_7greaterIfEEbEEEE10hipError_tPvRmT1_T2_T3_mmT4_T5_P12ihipStream_tbEUlRKfE_EESS_SW_SX_mSY_S11_bEUlT_E_NS1_11comp_targetILNS1_3genE0ELNS1_11target_archE4294967295ELNS1_3gpuE0ELNS1_3repE0EEENS1_30default_config_static_selectorELNS0_4arch9wavefront6targetE0EEEvSV_
    .private_segment_fixed_size: 0
    .sgpr_count:     20
    .sgpr_spill_count: 0
    .symbol:         _ZN7rocprim17ROCPRIM_400000_NS6detail17trampoline_kernelINS0_14default_configENS1_27lower_bound_config_selectorIflEEZNS1_14transform_implILb0ES3_S5_N6thrust23THRUST_200600_302600_NS6detail15normal_iteratorINS8_7pointerIfNS8_11hip_rocprim3tagENS8_11use_defaultESE_EEEENSA_INSB_IlSD_SE_SE_EEEEZNS1_13binary_searchIS3_S5_NSA_INS8_10device_ptrIfEEEESG_SI_NS1_21lower_bound_search_opENS9_16wrapped_functionINS8_7greaterIfEEbEEEE10hipError_tPvRmT1_T2_T3_mmT4_T5_P12ihipStream_tbEUlRKfE_EESS_SW_SX_mSY_S11_bEUlT_E_NS1_11comp_targetILNS1_3genE0ELNS1_11target_archE4294967295ELNS1_3gpuE0ELNS1_3repE0EEENS1_30default_config_static_selectorELNS0_4arch9wavefront6targetE0EEEvSV_.kd
    .uniform_work_group_size: 1
    .uses_dynamic_stack: false
    .vgpr_count:     11
    .vgpr_spill_count: 0
    .wavefront_size: 32
  - .args:
      - .offset:         0
        .size:           56
        .value_kind:     by_value
    .group_segment_fixed_size: 0
    .kernarg_segment_align: 8
    .kernarg_segment_size: 56
    .language:       OpenCL C
    .language_version:
      - 2
      - 0
    .max_flat_workgroup_size: 256
    .name:           _ZN7rocprim17ROCPRIM_400000_NS6detail17trampoline_kernelINS0_14default_configENS1_27lower_bound_config_selectorIflEEZNS1_14transform_implILb0ES3_S5_N6thrust23THRUST_200600_302600_NS6detail15normal_iteratorINS8_7pointerIfNS8_11hip_rocprim3tagENS8_11use_defaultESE_EEEENSA_INSB_IlSD_SE_SE_EEEEZNS1_13binary_searchIS3_S5_NSA_INS8_10device_ptrIfEEEESG_SI_NS1_21lower_bound_search_opENS9_16wrapped_functionINS8_7greaterIfEEbEEEE10hipError_tPvRmT1_T2_T3_mmT4_T5_P12ihipStream_tbEUlRKfE_EESS_SW_SX_mSY_S11_bEUlT_E_NS1_11comp_targetILNS1_3genE5ELNS1_11target_archE942ELNS1_3gpuE9ELNS1_3repE0EEENS1_30default_config_static_selectorELNS0_4arch9wavefront6targetE0EEEvSV_
    .private_segment_fixed_size: 0
    .sgpr_count:     0
    .sgpr_spill_count: 0
    .symbol:         _ZN7rocprim17ROCPRIM_400000_NS6detail17trampoline_kernelINS0_14default_configENS1_27lower_bound_config_selectorIflEEZNS1_14transform_implILb0ES3_S5_N6thrust23THRUST_200600_302600_NS6detail15normal_iteratorINS8_7pointerIfNS8_11hip_rocprim3tagENS8_11use_defaultESE_EEEENSA_INSB_IlSD_SE_SE_EEEEZNS1_13binary_searchIS3_S5_NSA_INS8_10device_ptrIfEEEESG_SI_NS1_21lower_bound_search_opENS9_16wrapped_functionINS8_7greaterIfEEbEEEE10hipError_tPvRmT1_T2_T3_mmT4_T5_P12ihipStream_tbEUlRKfE_EESS_SW_SX_mSY_S11_bEUlT_E_NS1_11comp_targetILNS1_3genE5ELNS1_11target_archE942ELNS1_3gpuE9ELNS1_3repE0EEENS1_30default_config_static_selectorELNS0_4arch9wavefront6targetE0EEEvSV_.kd
    .uniform_work_group_size: 1
    .uses_dynamic_stack: false
    .vgpr_count:     0
    .vgpr_spill_count: 0
    .wavefront_size: 32
  - .args:
      - .offset:         0
        .size:           56
        .value_kind:     by_value
    .group_segment_fixed_size: 0
    .kernarg_segment_align: 8
    .kernarg_segment_size: 56
    .language:       OpenCL C
    .language_version:
      - 2
      - 0
    .max_flat_workgroup_size: 256
    .name:           _ZN7rocprim17ROCPRIM_400000_NS6detail17trampoline_kernelINS0_14default_configENS1_27lower_bound_config_selectorIflEEZNS1_14transform_implILb0ES3_S5_N6thrust23THRUST_200600_302600_NS6detail15normal_iteratorINS8_7pointerIfNS8_11hip_rocprim3tagENS8_11use_defaultESE_EEEENSA_INSB_IlSD_SE_SE_EEEEZNS1_13binary_searchIS3_S5_NSA_INS8_10device_ptrIfEEEESG_SI_NS1_21lower_bound_search_opENS9_16wrapped_functionINS8_7greaterIfEEbEEEE10hipError_tPvRmT1_T2_T3_mmT4_T5_P12ihipStream_tbEUlRKfE_EESS_SW_SX_mSY_S11_bEUlT_E_NS1_11comp_targetILNS1_3genE4ELNS1_11target_archE910ELNS1_3gpuE8ELNS1_3repE0EEENS1_30default_config_static_selectorELNS0_4arch9wavefront6targetE0EEEvSV_
    .private_segment_fixed_size: 0
    .sgpr_count:     0
    .sgpr_spill_count: 0
    .symbol:         _ZN7rocprim17ROCPRIM_400000_NS6detail17trampoline_kernelINS0_14default_configENS1_27lower_bound_config_selectorIflEEZNS1_14transform_implILb0ES3_S5_N6thrust23THRUST_200600_302600_NS6detail15normal_iteratorINS8_7pointerIfNS8_11hip_rocprim3tagENS8_11use_defaultESE_EEEENSA_INSB_IlSD_SE_SE_EEEEZNS1_13binary_searchIS3_S5_NSA_INS8_10device_ptrIfEEEESG_SI_NS1_21lower_bound_search_opENS9_16wrapped_functionINS8_7greaterIfEEbEEEE10hipError_tPvRmT1_T2_T3_mmT4_T5_P12ihipStream_tbEUlRKfE_EESS_SW_SX_mSY_S11_bEUlT_E_NS1_11comp_targetILNS1_3genE4ELNS1_11target_archE910ELNS1_3gpuE8ELNS1_3repE0EEENS1_30default_config_static_selectorELNS0_4arch9wavefront6targetE0EEEvSV_.kd
    .uniform_work_group_size: 1
    .uses_dynamic_stack: false
    .vgpr_count:     0
    .vgpr_spill_count: 0
    .wavefront_size: 32
  - .args:
      - .offset:         0
        .size:           56
        .value_kind:     by_value
    .group_segment_fixed_size: 0
    .kernarg_segment_align: 8
    .kernarg_segment_size: 56
    .language:       OpenCL C
    .language_version:
      - 2
      - 0
    .max_flat_workgroup_size: 256
    .name:           _ZN7rocprim17ROCPRIM_400000_NS6detail17trampoline_kernelINS0_14default_configENS1_27lower_bound_config_selectorIflEEZNS1_14transform_implILb0ES3_S5_N6thrust23THRUST_200600_302600_NS6detail15normal_iteratorINS8_7pointerIfNS8_11hip_rocprim3tagENS8_11use_defaultESE_EEEENSA_INSB_IlSD_SE_SE_EEEEZNS1_13binary_searchIS3_S5_NSA_INS8_10device_ptrIfEEEESG_SI_NS1_21lower_bound_search_opENS9_16wrapped_functionINS8_7greaterIfEEbEEEE10hipError_tPvRmT1_T2_T3_mmT4_T5_P12ihipStream_tbEUlRKfE_EESS_SW_SX_mSY_S11_bEUlT_E_NS1_11comp_targetILNS1_3genE3ELNS1_11target_archE908ELNS1_3gpuE7ELNS1_3repE0EEENS1_30default_config_static_selectorELNS0_4arch9wavefront6targetE0EEEvSV_
    .private_segment_fixed_size: 0
    .sgpr_count:     0
    .sgpr_spill_count: 0
    .symbol:         _ZN7rocprim17ROCPRIM_400000_NS6detail17trampoline_kernelINS0_14default_configENS1_27lower_bound_config_selectorIflEEZNS1_14transform_implILb0ES3_S5_N6thrust23THRUST_200600_302600_NS6detail15normal_iteratorINS8_7pointerIfNS8_11hip_rocprim3tagENS8_11use_defaultESE_EEEENSA_INSB_IlSD_SE_SE_EEEEZNS1_13binary_searchIS3_S5_NSA_INS8_10device_ptrIfEEEESG_SI_NS1_21lower_bound_search_opENS9_16wrapped_functionINS8_7greaterIfEEbEEEE10hipError_tPvRmT1_T2_T3_mmT4_T5_P12ihipStream_tbEUlRKfE_EESS_SW_SX_mSY_S11_bEUlT_E_NS1_11comp_targetILNS1_3genE3ELNS1_11target_archE908ELNS1_3gpuE7ELNS1_3repE0EEENS1_30default_config_static_selectorELNS0_4arch9wavefront6targetE0EEEvSV_.kd
    .uniform_work_group_size: 1
    .uses_dynamic_stack: false
    .vgpr_count:     0
    .vgpr_spill_count: 0
    .wavefront_size: 32
  - .args:
      - .offset:         0
        .size:           56
        .value_kind:     by_value
    .group_segment_fixed_size: 0
    .kernarg_segment_align: 8
    .kernarg_segment_size: 56
    .language:       OpenCL C
    .language_version:
      - 2
      - 0
    .max_flat_workgroup_size: 256
    .name:           _ZN7rocprim17ROCPRIM_400000_NS6detail17trampoline_kernelINS0_14default_configENS1_27lower_bound_config_selectorIflEEZNS1_14transform_implILb0ES3_S5_N6thrust23THRUST_200600_302600_NS6detail15normal_iteratorINS8_7pointerIfNS8_11hip_rocprim3tagENS8_11use_defaultESE_EEEENSA_INSB_IlSD_SE_SE_EEEEZNS1_13binary_searchIS3_S5_NSA_INS8_10device_ptrIfEEEESG_SI_NS1_21lower_bound_search_opENS9_16wrapped_functionINS8_7greaterIfEEbEEEE10hipError_tPvRmT1_T2_T3_mmT4_T5_P12ihipStream_tbEUlRKfE_EESS_SW_SX_mSY_S11_bEUlT_E_NS1_11comp_targetILNS1_3genE2ELNS1_11target_archE906ELNS1_3gpuE6ELNS1_3repE0EEENS1_30default_config_static_selectorELNS0_4arch9wavefront6targetE0EEEvSV_
    .private_segment_fixed_size: 0
    .sgpr_count:     0
    .sgpr_spill_count: 0
    .symbol:         _ZN7rocprim17ROCPRIM_400000_NS6detail17trampoline_kernelINS0_14default_configENS1_27lower_bound_config_selectorIflEEZNS1_14transform_implILb0ES3_S5_N6thrust23THRUST_200600_302600_NS6detail15normal_iteratorINS8_7pointerIfNS8_11hip_rocprim3tagENS8_11use_defaultESE_EEEENSA_INSB_IlSD_SE_SE_EEEEZNS1_13binary_searchIS3_S5_NSA_INS8_10device_ptrIfEEEESG_SI_NS1_21lower_bound_search_opENS9_16wrapped_functionINS8_7greaterIfEEbEEEE10hipError_tPvRmT1_T2_T3_mmT4_T5_P12ihipStream_tbEUlRKfE_EESS_SW_SX_mSY_S11_bEUlT_E_NS1_11comp_targetILNS1_3genE2ELNS1_11target_archE906ELNS1_3gpuE6ELNS1_3repE0EEENS1_30default_config_static_selectorELNS0_4arch9wavefront6targetE0EEEvSV_.kd
    .uniform_work_group_size: 1
    .uses_dynamic_stack: false
    .vgpr_count:     0
    .vgpr_spill_count: 0
    .wavefront_size: 32
  - .args:
      - .offset:         0
        .size:           56
        .value_kind:     by_value
    .group_segment_fixed_size: 0
    .kernarg_segment_align: 8
    .kernarg_segment_size: 56
    .language:       OpenCL C
    .language_version:
      - 2
      - 0
    .max_flat_workgroup_size: 128
    .name:           _ZN7rocprim17ROCPRIM_400000_NS6detail17trampoline_kernelINS0_14default_configENS1_27lower_bound_config_selectorIflEEZNS1_14transform_implILb0ES3_S5_N6thrust23THRUST_200600_302600_NS6detail15normal_iteratorINS8_7pointerIfNS8_11hip_rocprim3tagENS8_11use_defaultESE_EEEENSA_INSB_IlSD_SE_SE_EEEEZNS1_13binary_searchIS3_S5_NSA_INS8_10device_ptrIfEEEESG_SI_NS1_21lower_bound_search_opENS9_16wrapped_functionINS8_7greaterIfEEbEEEE10hipError_tPvRmT1_T2_T3_mmT4_T5_P12ihipStream_tbEUlRKfE_EESS_SW_SX_mSY_S11_bEUlT_E_NS1_11comp_targetILNS1_3genE10ELNS1_11target_archE1201ELNS1_3gpuE5ELNS1_3repE0EEENS1_30default_config_static_selectorELNS0_4arch9wavefront6targetE0EEEvSV_
    .private_segment_fixed_size: 0
    .sgpr_count:     0
    .sgpr_spill_count: 0
    .symbol:         _ZN7rocprim17ROCPRIM_400000_NS6detail17trampoline_kernelINS0_14default_configENS1_27lower_bound_config_selectorIflEEZNS1_14transform_implILb0ES3_S5_N6thrust23THRUST_200600_302600_NS6detail15normal_iteratorINS8_7pointerIfNS8_11hip_rocprim3tagENS8_11use_defaultESE_EEEENSA_INSB_IlSD_SE_SE_EEEEZNS1_13binary_searchIS3_S5_NSA_INS8_10device_ptrIfEEEESG_SI_NS1_21lower_bound_search_opENS9_16wrapped_functionINS8_7greaterIfEEbEEEE10hipError_tPvRmT1_T2_T3_mmT4_T5_P12ihipStream_tbEUlRKfE_EESS_SW_SX_mSY_S11_bEUlT_E_NS1_11comp_targetILNS1_3genE10ELNS1_11target_archE1201ELNS1_3gpuE5ELNS1_3repE0EEENS1_30default_config_static_selectorELNS0_4arch9wavefront6targetE0EEEvSV_.kd
    .uniform_work_group_size: 1
    .uses_dynamic_stack: false
    .vgpr_count:     0
    .vgpr_spill_count: 0
    .wavefront_size: 32
  - .args:
      - .offset:         0
        .size:           56
        .value_kind:     by_value
    .group_segment_fixed_size: 0
    .kernarg_segment_align: 8
    .kernarg_segment_size: 56
    .language:       OpenCL C
    .language_version:
      - 2
      - 0
    .max_flat_workgroup_size: 128
    .name:           _ZN7rocprim17ROCPRIM_400000_NS6detail17trampoline_kernelINS0_14default_configENS1_27lower_bound_config_selectorIflEEZNS1_14transform_implILb0ES3_S5_N6thrust23THRUST_200600_302600_NS6detail15normal_iteratorINS8_7pointerIfNS8_11hip_rocprim3tagENS8_11use_defaultESE_EEEENSA_INSB_IlSD_SE_SE_EEEEZNS1_13binary_searchIS3_S5_NSA_INS8_10device_ptrIfEEEESG_SI_NS1_21lower_bound_search_opENS9_16wrapped_functionINS8_7greaterIfEEbEEEE10hipError_tPvRmT1_T2_T3_mmT4_T5_P12ihipStream_tbEUlRKfE_EESS_SW_SX_mSY_S11_bEUlT_E_NS1_11comp_targetILNS1_3genE10ELNS1_11target_archE1200ELNS1_3gpuE4ELNS1_3repE0EEENS1_30default_config_static_selectorELNS0_4arch9wavefront6targetE0EEEvSV_
    .private_segment_fixed_size: 0
    .sgpr_count:     0
    .sgpr_spill_count: 0
    .symbol:         _ZN7rocprim17ROCPRIM_400000_NS6detail17trampoline_kernelINS0_14default_configENS1_27lower_bound_config_selectorIflEEZNS1_14transform_implILb0ES3_S5_N6thrust23THRUST_200600_302600_NS6detail15normal_iteratorINS8_7pointerIfNS8_11hip_rocprim3tagENS8_11use_defaultESE_EEEENSA_INSB_IlSD_SE_SE_EEEEZNS1_13binary_searchIS3_S5_NSA_INS8_10device_ptrIfEEEESG_SI_NS1_21lower_bound_search_opENS9_16wrapped_functionINS8_7greaterIfEEbEEEE10hipError_tPvRmT1_T2_T3_mmT4_T5_P12ihipStream_tbEUlRKfE_EESS_SW_SX_mSY_S11_bEUlT_E_NS1_11comp_targetILNS1_3genE10ELNS1_11target_archE1200ELNS1_3gpuE4ELNS1_3repE0EEENS1_30default_config_static_selectorELNS0_4arch9wavefront6targetE0EEEvSV_.kd
    .uniform_work_group_size: 1
    .uses_dynamic_stack: false
    .vgpr_count:     0
    .vgpr_spill_count: 0
    .wavefront_size: 32
  - .args:
      - .offset:         0
        .size:           56
        .value_kind:     by_value
    .group_segment_fixed_size: 0
    .kernarg_segment_align: 8
    .kernarg_segment_size: 56
    .language:       OpenCL C
    .language_version:
      - 2
      - 0
    .max_flat_workgroup_size: 256
    .name:           _ZN7rocprim17ROCPRIM_400000_NS6detail17trampoline_kernelINS0_14default_configENS1_27lower_bound_config_selectorIflEEZNS1_14transform_implILb0ES3_S5_N6thrust23THRUST_200600_302600_NS6detail15normal_iteratorINS8_7pointerIfNS8_11hip_rocprim3tagENS8_11use_defaultESE_EEEENSA_INSB_IlSD_SE_SE_EEEEZNS1_13binary_searchIS3_S5_NSA_INS8_10device_ptrIfEEEESG_SI_NS1_21lower_bound_search_opENS9_16wrapped_functionINS8_7greaterIfEEbEEEE10hipError_tPvRmT1_T2_T3_mmT4_T5_P12ihipStream_tbEUlRKfE_EESS_SW_SX_mSY_S11_bEUlT_E_NS1_11comp_targetILNS1_3genE9ELNS1_11target_archE1100ELNS1_3gpuE3ELNS1_3repE0EEENS1_30default_config_static_selectorELNS0_4arch9wavefront6targetE0EEEvSV_
    .private_segment_fixed_size: 0
    .sgpr_count:     0
    .sgpr_spill_count: 0
    .symbol:         _ZN7rocprim17ROCPRIM_400000_NS6detail17trampoline_kernelINS0_14default_configENS1_27lower_bound_config_selectorIflEEZNS1_14transform_implILb0ES3_S5_N6thrust23THRUST_200600_302600_NS6detail15normal_iteratorINS8_7pointerIfNS8_11hip_rocprim3tagENS8_11use_defaultESE_EEEENSA_INSB_IlSD_SE_SE_EEEEZNS1_13binary_searchIS3_S5_NSA_INS8_10device_ptrIfEEEESG_SI_NS1_21lower_bound_search_opENS9_16wrapped_functionINS8_7greaterIfEEbEEEE10hipError_tPvRmT1_T2_T3_mmT4_T5_P12ihipStream_tbEUlRKfE_EESS_SW_SX_mSY_S11_bEUlT_E_NS1_11comp_targetILNS1_3genE9ELNS1_11target_archE1100ELNS1_3gpuE3ELNS1_3repE0EEENS1_30default_config_static_selectorELNS0_4arch9wavefront6targetE0EEEvSV_.kd
    .uniform_work_group_size: 1
    .uses_dynamic_stack: false
    .vgpr_count:     0
    .vgpr_spill_count: 0
    .wavefront_size: 32
  - .args:
      - .offset:         0
        .size:           56
        .value_kind:     by_value
    .group_segment_fixed_size: 0
    .kernarg_segment_align: 8
    .kernarg_segment_size: 56
    .language:       OpenCL C
    .language_version:
      - 2
      - 0
    .max_flat_workgroup_size: 256
    .name:           _ZN7rocprim17ROCPRIM_400000_NS6detail17trampoline_kernelINS0_14default_configENS1_27lower_bound_config_selectorIflEEZNS1_14transform_implILb0ES3_S5_N6thrust23THRUST_200600_302600_NS6detail15normal_iteratorINS8_7pointerIfNS8_11hip_rocprim3tagENS8_11use_defaultESE_EEEENSA_INSB_IlSD_SE_SE_EEEEZNS1_13binary_searchIS3_S5_NSA_INS8_10device_ptrIfEEEESG_SI_NS1_21lower_bound_search_opENS9_16wrapped_functionINS8_7greaterIfEEbEEEE10hipError_tPvRmT1_T2_T3_mmT4_T5_P12ihipStream_tbEUlRKfE_EESS_SW_SX_mSY_S11_bEUlT_E_NS1_11comp_targetILNS1_3genE8ELNS1_11target_archE1030ELNS1_3gpuE2ELNS1_3repE0EEENS1_30default_config_static_selectorELNS0_4arch9wavefront6targetE0EEEvSV_
    .private_segment_fixed_size: 0
    .sgpr_count:     0
    .sgpr_spill_count: 0
    .symbol:         _ZN7rocprim17ROCPRIM_400000_NS6detail17trampoline_kernelINS0_14default_configENS1_27lower_bound_config_selectorIflEEZNS1_14transform_implILb0ES3_S5_N6thrust23THRUST_200600_302600_NS6detail15normal_iteratorINS8_7pointerIfNS8_11hip_rocprim3tagENS8_11use_defaultESE_EEEENSA_INSB_IlSD_SE_SE_EEEEZNS1_13binary_searchIS3_S5_NSA_INS8_10device_ptrIfEEEESG_SI_NS1_21lower_bound_search_opENS9_16wrapped_functionINS8_7greaterIfEEbEEEE10hipError_tPvRmT1_T2_T3_mmT4_T5_P12ihipStream_tbEUlRKfE_EESS_SW_SX_mSY_S11_bEUlT_E_NS1_11comp_targetILNS1_3genE8ELNS1_11target_archE1030ELNS1_3gpuE2ELNS1_3repE0EEENS1_30default_config_static_selectorELNS0_4arch9wavefront6targetE0EEEvSV_.kd
    .uniform_work_group_size: 1
    .uses_dynamic_stack: false
    .vgpr_count:     0
    .vgpr_spill_count: 0
    .wavefront_size: 32
  - .args:
      - .offset:         0
        .size:           16
        .value_kind:     by_value
      - .offset:         16
        .size:           8
        .value_kind:     by_value
      - .offset:         24
        .size:           8
        .value_kind:     by_value
    .group_segment_fixed_size: 0
    .kernarg_segment_align: 8
    .kernarg_segment_size: 32
    .language:       OpenCL C
    .language_version:
      - 2
      - 0
    .max_flat_workgroup_size: 256
    .name:           _ZN6thrust23THRUST_200600_302600_NS11hip_rocprim14__parallel_for6kernelILj256ENS1_10for_each_fINS0_10device_ptrI14custom_numericEENS0_6detail16wrapped_functionINS8_23allocator_traits_detail24construct1_via_allocatorINS0_16device_allocatorIS6_EEEEvEEEEmLj1EEEvT0_T1_SI_
    .private_segment_fixed_size: 0
    .sgpr_count:     11
    .sgpr_spill_count: 0
    .symbol:         _ZN6thrust23THRUST_200600_302600_NS11hip_rocprim14__parallel_for6kernelILj256ENS1_10for_each_fINS0_10device_ptrI14custom_numericEENS0_6detail16wrapped_functionINS8_23allocator_traits_detail24construct1_via_allocatorINS0_16device_allocatorIS6_EEEEvEEEEmLj1EEEvT0_T1_SI_.kd
    .uniform_work_group_size: 1
    .uses_dynamic_stack: false
    .vgpr_count:     8
    .vgpr_spill_count: 0
    .wavefront_size: 32
  - .args:
      - .offset:         0
        .size:           16
        .value_kind:     by_value
      - .offset:         16
        .size:           8
        .value_kind:     by_value
      - .offset:         24
        .size:           8
        .value_kind:     by_value
    .group_segment_fixed_size: 0
    .kernarg_segment_align: 8
    .kernarg_segment_size: 32
    .language:       OpenCL C
    .language_version:
      - 2
      - 0
    .max_flat_workgroup_size: 256
    .name:           _ZN6thrust23THRUST_200600_302600_NS11hip_rocprim14__parallel_for6kernelILj256ENS1_10for_each_fINS0_10device_ptrI14custom_numericEENS0_6detail16wrapped_functionINS8_23allocator_traits_detail5gozerEvEEEElLj1EEEvT0_T1_SF_
    .private_segment_fixed_size: 0
    .sgpr_count:     0
    .sgpr_spill_count: 0
    .symbol:         _ZN6thrust23THRUST_200600_302600_NS11hip_rocprim14__parallel_for6kernelILj256ENS1_10for_each_fINS0_10device_ptrI14custom_numericEENS0_6detail16wrapped_functionINS8_23allocator_traits_detail5gozerEvEEEElLj1EEEvT0_T1_SF_.kd
    .uniform_work_group_size: 1
    .uses_dynamic_stack: false
    .vgpr_count:     0
    .vgpr_spill_count: 0
    .wavefront_size: 32
  - .args:
      - .offset:         0
        .size:           16
        .value_kind:     by_value
      - .offset:         16
        .size:           8
        .value_kind:     by_value
      - .offset:         24
        .size:           8
        .value_kind:     by_value
    .group_segment_fixed_size: 0
    .kernarg_segment_align: 8
    .kernarg_segment_size: 32
    .language:       OpenCL C
    .language_version:
      - 2
      - 0
    .max_flat_workgroup_size: 256
    .name:           _ZN6thrust23THRUST_200600_302600_NS11hip_rocprim14__parallel_for6kernelILj256ENS1_10for_each_fINS0_7pointerI14custom_numericNS1_3tagENS0_11use_defaultES8_EENS0_6detail16wrapped_functionINSA_23allocator_traits_detail24construct1_via_allocatorINSA_18no_throw_allocatorINSA_19temporary_allocatorIS6_S7_EEEEEEvEEEEmLj1EEEvT0_T1_SM_
    .private_segment_fixed_size: 0
    .sgpr_count:     11
    .sgpr_spill_count: 0
    .symbol:         _ZN6thrust23THRUST_200600_302600_NS11hip_rocprim14__parallel_for6kernelILj256ENS1_10for_each_fINS0_7pointerI14custom_numericNS1_3tagENS0_11use_defaultES8_EENS0_6detail16wrapped_functionINSA_23allocator_traits_detail24construct1_via_allocatorINSA_18no_throw_allocatorINSA_19temporary_allocatorIS6_S7_EEEEEEvEEEEmLj1EEEvT0_T1_SM_.kd
    .uniform_work_group_size: 1
    .uses_dynamic_stack: false
    .vgpr_count:     8
    .vgpr_spill_count: 0
    .wavefront_size: 32
  - .args:
      - .offset:         0
        .size:           16
        .value_kind:     by_value
      - .offset:         16
        .size:           8
        .value_kind:     by_value
      - .offset:         24
        .size:           8
        .value_kind:     by_value
    .group_segment_fixed_size: 0
    .kernarg_segment_align: 8
    .kernarg_segment_size: 32
    .language:       OpenCL C
    .language_version:
      - 2
      - 0
    .max_flat_workgroup_size: 256
    .name:           _ZN6thrust23THRUST_200600_302600_NS11hip_rocprim14__parallel_for6kernelILj256ENS1_10for_each_fINS0_7pointerI14custom_numericNS1_3tagENS0_11use_defaultES8_EENS0_6detail16wrapped_functionINSA_23allocator_traits_detail5gozerEvEEEElLj1EEEvT0_T1_SH_
    .private_segment_fixed_size: 0
    .sgpr_count:     0
    .sgpr_spill_count: 0
    .symbol:         _ZN6thrust23THRUST_200600_302600_NS11hip_rocprim14__parallel_for6kernelILj256ENS1_10for_each_fINS0_7pointerI14custom_numericNS1_3tagENS0_11use_defaultES8_EENS0_6detail16wrapped_functionINSA_23allocator_traits_detail5gozerEvEEEElLj1EEEvT0_T1_SH_.kd
    .uniform_work_group_size: 1
    .uses_dynamic_stack: false
    .vgpr_count:     0
    .vgpr_spill_count: 0
    .wavefront_size: 32
  - .args:
      - .offset:         0
        .size:           24
        .value_kind:     by_value
      - .offset:         24
        .size:           8
        .value_kind:     by_value
      - .offset:         32
        .size:           8
        .value_kind:     by_value
    .group_segment_fixed_size: 0
    .kernarg_segment_align: 8
    .kernarg_segment_size: 40
    .language:       OpenCL C
    .language_version:
      - 2
      - 0
    .max_flat_workgroup_size: 256
    .name:           _ZN6thrust23THRUST_200600_302600_NS11hip_rocprim14__parallel_for6kernelILj256ENS1_11__transform17unary_transform_fINS0_7pointerI14custom_numericNS1_3tagENS0_11use_defaultES9_EENS0_10device_ptrIS7_EENS4_14no_stencil_tagENS0_8identityIS7_EENS4_21always_true_predicateEEElLj1EEEvT0_T1_SJ_
    .private_segment_fixed_size: 0
    .sgpr_count:     11
    .sgpr_spill_count: 0
    .symbol:         _ZN6thrust23THRUST_200600_302600_NS11hip_rocprim14__parallel_for6kernelILj256ENS1_11__transform17unary_transform_fINS0_7pointerI14custom_numericNS1_3tagENS0_11use_defaultES9_EENS0_10device_ptrIS7_EENS4_14no_stencil_tagENS0_8identityIS7_EENS4_21always_true_predicateEEElLj1EEEvT0_T1_SJ_.kd
    .uniform_work_group_size: 1
    .uses_dynamic_stack: false
    .vgpr_count:     8
    .vgpr_spill_count: 0
    .wavefront_size: 32
  - .args:
      - .offset:         0
        .size:           16
        .value_kind:     by_value
      - .offset:         16
        .size:           8
        .value_kind:     by_value
      - .offset:         24
        .size:           8
        .value_kind:     by_value
    .group_segment_fixed_size: 0
    .kernarg_segment_align: 8
    .kernarg_segment_size: 32
    .language:       OpenCL C
    .language_version:
      - 2
      - 0
    .max_flat_workgroup_size: 256
    .name:           _ZN6thrust23THRUST_200600_302600_NS11hip_rocprim14__parallel_for6kernelILj256ENS1_20__uninitialized_copy7functorINS0_7pointerI14custom_numericNS1_3tagENS0_11use_defaultES9_EESA_EEmLj1EEEvT0_T1_SD_
    .private_segment_fixed_size: 0
    .sgpr_count:     14
    .sgpr_spill_count: 0
    .symbol:         _ZN6thrust23THRUST_200600_302600_NS11hip_rocprim14__parallel_for6kernelILj256ENS1_20__uninitialized_copy7functorINS0_7pointerI14custom_numericNS1_3tagENS0_11use_defaultES9_EESA_EEmLj1EEEvT0_T1_SD_.kd
    .uniform_work_group_size: 1
    .uses_dynamic_stack: false
    .vgpr_count:     8
    .vgpr_spill_count: 0
    .wavefront_size: 32
  - .args:
      - .offset:         0
        .size:           24
        .value_kind:     by_value
      - .offset:         24
        .size:           8
        .value_kind:     by_value
      - .offset:         32
        .size:           8
        .value_kind:     by_value
    .group_segment_fixed_size: 0
    .kernarg_segment_align: 8
    .kernarg_segment_size: 40
    .language:       OpenCL C
    .language_version:
      - 2
      - 0
    .max_flat_workgroup_size: 256
    .name:           _ZN6thrust23THRUST_200600_302600_NS11hip_rocprim14__parallel_for6kernelILj256ENS1_11__transform17unary_transform_fINS0_7pointerI14custom_numericNS1_3tagENS0_11use_defaultES9_EENS0_6detail15normal_iteratorISA_EENS4_14no_stencil_tagENS0_8identityIS7_EENS4_21always_true_predicateEEElLj1EEEvT0_T1_SK_
    .private_segment_fixed_size: 0
    .sgpr_count:     11
    .sgpr_spill_count: 0
    .symbol:         _ZN6thrust23THRUST_200600_302600_NS11hip_rocprim14__parallel_for6kernelILj256ENS1_11__transform17unary_transform_fINS0_7pointerI14custom_numericNS1_3tagENS0_11use_defaultES9_EENS0_6detail15normal_iteratorISA_EENS4_14no_stencil_tagENS0_8identityIS7_EENS4_21always_true_predicateEEElLj1EEEvT0_T1_SK_.kd
    .uniform_work_group_size: 1
    .uses_dynamic_stack: false
    .vgpr_count:     8
    .vgpr_spill_count: 0
    .wavefront_size: 32
  - .args:
      - .offset:         0
        .size:           24
        .value_kind:     by_value
      - .offset:         24
        .size:           8
        .value_kind:     by_value
      - .offset:         32
        .size:           8
        .value_kind:     by_value
    .group_segment_fixed_size: 0
    .kernarg_segment_align: 8
    .kernarg_segment_size: 40
    .language:       OpenCL C
    .language_version:
      - 2
      - 0
    .max_flat_workgroup_size: 256
    .name:           _ZN6thrust23THRUST_200600_302600_NS11hip_rocprim14__parallel_for6kernelILj256ENS1_11__transform17unary_transform_fINS0_7pointerI14custom_numericNS1_3tagENS0_11use_defaultES9_EESA_NS4_14no_stencil_tagENS0_8identityIS7_EENS4_21always_true_predicateEEElLj1EEEvT0_T1_SH_
    .private_segment_fixed_size: 0
    .sgpr_count:     11
    .sgpr_spill_count: 0
    .symbol:         _ZN6thrust23THRUST_200600_302600_NS11hip_rocprim14__parallel_for6kernelILj256ENS1_11__transform17unary_transform_fINS0_7pointerI14custom_numericNS1_3tagENS0_11use_defaultES9_EESA_NS4_14no_stencil_tagENS0_8identityIS7_EENS4_21always_true_predicateEEElLj1EEEvT0_T1_SH_.kd
    .uniform_work_group_size: 1
    .uses_dynamic_stack: false
    .vgpr_count:     8
    .vgpr_spill_count: 0
    .wavefront_size: 32
  - .args:
      - .offset:         0
        .size:           56
        .value_kind:     by_value
      - .offset:         56
        .size:           4
        .value_kind:     hidden_block_count_x
      - .offset:         60
        .size:           4
        .value_kind:     hidden_block_count_y
      - .offset:         64
        .size:           4
        .value_kind:     hidden_block_count_z
      - .offset:         68
        .size:           2
        .value_kind:     hidden_group_size_x
      - .offset:         70
        .size:           2
        .value_kind:     hidden_group_size_y
      - .offset:         72
        .size:           2
        .value_kind:     hidden_group_size_z
      - .offset:         74
        .size:           2
        .value_kind:     hidden_remainder_x
      - .offset:         76
        .size:           2
        .value_kind:     hidden_remainder_y
      - .offset:         78
        .size:           2
        .value_kind:     hidden_remainder_z
      - .offset:         96
        .size:           8
        .value_kind:     hidden_global_offset_x
      - .offset:         104
        .size:           8
        .value_kind:     hidden_global_offset_y
      - .offset:         112
        .size:           8
        .value_kind:     hidden_global_offset_z
      - .offset:         120
        .size:           2
        .value_kind:     hidden_grid_dims
    .group_segment_fixed_size: 0
    .kernarg_segment_align: 8
    .kernarg_segment_size: 312
    .language:       OpenCL C
    .language_version:
      - 2
      - 0
    .max_flat_workgroup_size: 256
    .name:           _ZN7rocprim17ROCPRIM_400000_NS6detail17trampoline_kernelINS0_14default_configENS1_27lower_bound_config_selectorI14custom_numericlEEZNS1_14transform_implILb0ES3_S6_N6thrust23THRUST_200600_302600_NS6detail15normal_iteratorINS9_7pointerIS5_NS9_11hip_rocprim3tagENS9_11use_defaultESF_EEEENSB_INSC_IlSE_SF_SF_EEEEZNS1_13binary_searchIS3_S6_NSB_INS9_10device_ptrIS5_EEEESH_SJ_NS1_21lower_bound_search_opENSA_16wrapped_functionINS9_7greaterIS5_EEbEEEE10hipError_tPvRmT1_T2_T3_mmT4_T5_P12ihipStream_tbEUlRKS5_E_EEST_SX_SY_mSZ_S12_bEUlT_E_NS1_11comp_targetILNS1_3genE0ELNS1_11target_archE4294967295ELNS1_3gpuE0ELNS1_3repE0EEENS1_30default_config_static_selectorELNS0_4arch9wavefront6targetE0EEEvSW_
    .private_segment_fixed_size: 0
    .sgpr_count:     20
    .sgpr_spill_count: 0
    .symbol:         _ZN7rocprim17ROCPRIM_400000_NS6detail17trampoline_kernelINS0_14default_configENS1_27lower_bound_config_selectorI14custom_numericlEEZNS1_14transform_implILb0ES3_S6_N6thrust23THRUST_200600_302600_NS6detail15normal_iteratorINS9_7pointerIS5_NS9_11hip_rocprim3tagENS9_11use_defaultESF_EEEENSB_INSC_IlSE_SF_SF_EEEEZNS1_13binary_searchIS3_S6_NSB_INS9_10device_ptrIS5_EEEESH_SJ_NS1_21lower_bound_search_opENSA_16wrapped_functionINS9_7greaterIS5_EEbEEEE10hipError_tPvRmT1_T2_T3_mmT4_T5_P12ihipStream_tbEUlRKS5_E_EEST_SX_SY_mSZ_S12_bEUlT_E_NS1_11comp_targetILNS1_3genE0ELNS1_11target_archE4294967295ELNS1_3gpuE0ELNS1_3repE0EEENS1_30default_config_static_selectorELNS0_4arch9wavefront6targetE0EEEvSW_.kd
    .uniform_work_group_size: 1
    .uses_dynamic_stack: false
    .vgpr_count:     11
    .vgpr_spill_count: 0
    .wavefront_size: 32
  - .args:
      - .offset:         0
        .size:           56
        .value_kind:     by_value
    .group_segment_fixed_size: 0
    .kernarg_segment_align: 8
    .kernarg_segment_size: 56
    .language:       OpenCL C
    .language_version:
      - 2
      - 0
    .max_flat_workgroup_size: 256
    .name:           _ZN7rocprim17ROCPRIM_400000_NS6detail17trampoline_kernelINS0_14default_configENS1_27lower_bound_config_selectorI14custom_numericlEEZNS1_14transform_implILb0ES3_S6_N6thrust23THRUST_200600_302600_NS6detail15normal_iteratorINS9_7pointerIS5_NS9_11hip_rocprim3tagENS9_11use_defaultESF_EEEENSB_INSC_IlSE_SF_SF_EEEEZNS1_13binary_searchIS3_S6_NSB_INS9_10device_ptrIS5_EEEESH_SJ_NS1_21lower_bound_search_opENSA_16wrapped_functionINS9_7greaterIS5_EEbEEEE10hipError_tPvRmT1_T2_T3_mmT4_T5_P12ihipStream_tbEUlRKS5_E_EEST_SX_SY_mSZ_S12_bEUlT_E_NS1_11comp_targetILNS1_3genE5ELNS1_11target_archE942ELNS1_3gpuE9ELNS1_3repE0EEENS1_30default_config_static_selectorELNS0_4arch9wavefront6targetE0EEEvSW_
    .private_segment_fixed_size: 0
    .sgpr_count:     0
    .sgpr_spill_count: 0
    .symbol:         _ZN7rocprim17ROCPRIM_400000_NS6detail17trampoline_kernelINS0_14default_configENS1_27lower_bound_config_selectorI14custom_numericlEEZNS1_14transform_implILb0ES3_S6_N6thrust23THRUST_200600_302600_NS6detail15normal_iteratorINS9_7pointerIS5_NS9_11hip_rocprim3tagENS9_11use_defaultESF_EEEENSB_INSC_IlSE_SF_SF_EEEEZNS1_13binary_searchIS3_S6_NSB_INS9_10device_ptrIS5_EEEESH_SJ_NS1_21lower_bound_search_opENSA_16wrapped_functionINS9_7greaterIS5_EEbEEEE10hipError_tPvRmT1_T2_T3_mmT4_T5_P12ihipStream_tbEUlRKS5_E_EEST_SX_SY_mSZ_S12_bEUlT_E_NS1_11comp_targetILNS1_3genE5ELNS1_11target_archE942ELNS1_3gpuE9ELNS1_3repE0EEENS1_30default_config_static_selectorELNS0_4arch9wavefront6targetE0EEEvSW_.kd
    .uniform_work_group_size: 1
    .uses_dynamic_stack: false
    .vgpr_count:     0
    .vgpr_spill_count: 0
    .wavefront_size: 32
  - .args:
      - .offset:         0
        .size:           56
        .value_kind:     by_value
    .group_segment_fixed_size: 0
    .kernarg_segment_align: 8
    .kernarg_segment_size: 56
    .language:       OpenCL C
    .language_version:
      - 2
      - 0
    .max_flat_workgroup_size: 256
    .name:           _ZN7rocprim17ROCPRIM_400000_NS6detail17trampoline_kernelINS0_14default_configENS1_27lower_bound_config_selectorI14custom_numericlEEZNS1_14transform_implILb0ES3_S6_N6thrust23THRUST_200600_302600_NS6detail15normal_iteratorINS9_7pointerIS5_NS9_11hip_rocprim3tagENS9_11use_defaultESF_EEEENSB_INSC_IlSE_SF_SF_EEEEZNS1_13binary_searchIS3_S6_NSB_INS9_10device_ptrIS5_EEEESH_SJ_NS1_21lower_bound_search_opENSA_16wrapped_functionINS9_7greaterIS5_EEbEEEE10hipError_tPvRmT1_T2_T3_mmT4_T5_P12ihipStream_tbEUlRKS5_E_EEST_SX_SY_mSZ_S12_bEUlT_E_NS1_11comp_targetILNS1_3genE4ELNS1_11target_archE910ELNS1_3gpuE8ELNS1_3repE0EEENS1_30default_config_static_selectorELNS0_4arch9wavefront6targetE0EEEvSW_
    .private_segment_fixed_size: 0
    .sgpr_count:     0
    .sgpr_spill_count: 0
    .symbol:         _ZN7rocprim17ROCPRIM_400000_NS6detail17trampoline_kernelINS0_14default_configENS1_27lower_bound_config_selectorI14custom_numericlEEZNS1_14transform_implILb0ES3_S6_N6thrust23THRUST_200600_302600_NS6detail15normal_iteratorINS9_7pointerIS5_NS9_11hip_rocprim3tagENS9_11use_defaultESF_EEEENSB_INSC_IlSE_SF_SF_EEEEZNS1_13binary_searchIS3_S6_NSB_INS9_10device_ptrIS5_EEEESH_SJ_NS1_21lower_bound_search_opENSA_16wrapped_functionINS9_7greaterIS5_EEbEEEE10hipError_tPvRmT1_T2_T3_mmT4_T5_P12ihipStream_tbEUlRKS5_E_EEST_SX_SY_mSZ_S12_bEUlT_E_NS1_11comp_targetILNS1_3genE4ELNS1_11target_archE910ELNS1_3gpuE8ELNS1_3repE0EEENS1_30default_config_static_selectorELNS0_4arch9wavefront6targetE0EEEvSW_.kd
    .uniform_work_group_size: 1
    .uses_dynamic_stack: false
    .vgpr_count:     0
    .vgpr_spill_count: 0
    .wavefront_size: 32
  - .args:
      - .offset:         0
        .size:           56
        .value_kind:     by_value
    .group_segment_fixed_size: 0
    .kernarg_segment_align: 8
    .kernarg_segment_size: 56
    .language:       OpenCL C
    .language_version:
      - 2
      - 0
    .max_flat_workgroup_size: 256
    .name:           _ZN7rocprim17ROCPRIM_400000_NS6detail17trampoline_kernelINS0_14default_configENS1_27lower_bound_config_selectorI14custom_numericlEEZNS1_14transform_implILb0ES3_S6_N6thrust23THRUST_200600_302600_NS6detail15normal_iteratorINS9_7pointerIS5_NS9_11hip_rocprim3tagENS9_11use_defaultESF_EEEENSB_INSC_IlSE_SF_SF_EEEEZNS1_13binary_searchIS3_S6_NSB_INS9_10device_ptrIS5_EEEESH_SJ_NS1_21lower_bound_search_opENSA_16wrapped_functionINS9_7greaterIS5_EEbEEEE10hipError_tPvRmT1_T2_T3_mmT4_T5_P12ihipStream_tbEUlRKS5_E_EEST_SX_SY_mSZ_S12_bEUlT_E_NS1_11comp_targetILNS1_3genE3ELNS1_11target_archE908ELNS1_3gpuE7ELNS1_3repE0EEENS1_30default_config_static_selectorELNS0_4arch9wavefront6targetE0EEEvSW_
    .private_segment_fixed_size: 0
    .sgpr_count:     0
    .sgpr_spill_count: 0
    .symbol:         _ZN7rocprim17ROCPRIM_400000_NS6detail17trampoline_kernelINS0_14default_configENS1_27lower_bound_config_selectorI14custom_numericlEEZNS1_14transform_implILb0ES3_S6_N6thrust23THRUST_200600_302600_NS6detail15normal_iteratorINS9_7pointerIS5_NS9_11hip_rocprim3tagENS9_11use_defaultESF_EEEENSB_INSC_IlSE_SF_SF_EEEEZNS1_13binary_searchIS3_S6_NSB_INS9_10device_ptrIS5_EEEESH_SJ_NS1_21lower_bound_search_opENSA_16wrapped_functionINS9_7greaterIS5_EEbEEEE10hipError_tPvRmT1_T2_T3_mmT4_T5_P12ihipStream_tbEUlRKS5_E_EEST_SX_SY_mSZ_S12_bEUlT_E_NS1_11comp_targetILNS1_3genE3ELNS1_11target_archE908ELNS1_3gpuE7ELNS1_3repE0EEENS1_30default_config_static_selectorELNS0_4arch9wavefront6targetE0EEEvSW_.kd
    .uniform_work_group_size: 1
    .uses_dynamic_stack: false
    .vgpr_count:     0
    .vgpr_spill_count: 0
    .wavefront_size: 32
  - .args:
      - .offset:         0
        .size:           56
        .value_kind:     by_value
    .group_segment_fixed_size: 0
    .kernarg_segment_align: 8
    .kernarg_segment_size: 56
    .language:       OpenCL C
    .language_version:
      - 2
      - 0
    .max_flat_workgroup_size: 256
    .name:           _ZN7rocprim17ROCPRIM_400000_NS6detail17trampoline_kernelINS0_14default_configENS1_27lower_bound_config_selectorI14custom_numericlEEZNS1_14transform_implILb0ES3_S6_N6thrust23THRUST_200600_302600_NS6detail15normal_iteratorINS9_7pointerIS5_NS9_11hip_rocprim3tagENS9_11use_defaultESF_EEEENSB_INSC_IlSE_SF_SF_EEEEZNS1_13binary_searchIS3_S6_NSB_INS9_10device_ptrIS5_EEEESH_SJ_NS1_21lower_bound_search_opENSA_16wrapped_functionINS9_7greaterIS5_EEbEEEE10hipError_tPvRmT1_T2_T3_mmT4_T5_P12ihipStream_tbEUlRKS5_E_EEST_SX_SY_mSZ_S12_bEUlT_E_NS1_11comp_targetILNS1_3genE2ELNS1_11target_archE906ELNS1_3gpuE6ELNS1_3repE0EEENS1_30default_config_static_selectorELNS0_4arch9wavefront6targetE0EEEvSW_
    .private_segment_fixed_size: 0
    .sgpr_count:     0
    .sgpr_spill_count: 0
    .symbol:         _ZN7rocprim17ROCPRIM_400000_NS6detail17trampoline_kernelINS0_14default_configENS1_27lower_bound_config_selectorI14custom_numericlEEZNS1_14transform_implILb0ES3_S6_N6thrust23THRUST_200600_302600_NS6detail15normal_iteratorINS9_7pointerIS5_NS9_11hip_rocprim3tagENS9_11use_defaultESF_EEEENSB_INSC_IlSE_SF_SF_EEEEZNS1_13binary_searchIS3_S6_NSB_INS9_10device_ptrIS5_EEEESH_SJ_NS1_21lower_bound_search_opENSA_16wrapped_functionINS9_7greaterIS5_EEbEEEE10hipError_tPvRmT1_T2_T3_mmT4_T5_P12ihipStream_tbEUlRKS5_E_EEST_SX_SY_mSZ_S12_bEUlT_E_NS1_11comp_targetILNS1_3genE2ELNS1_11target_archE906ELNS1_3gpuE6ELNS1_3repE0EEENS1_30default_config_static_selectorELNS0_4arch9wavefront6targetE0EEEvSW_.kd
    .uniform_work_group_size: 1
    .uses_dynamic_stack: false
    .vgpr_count:     0
    .vgpr_spill_count: 0
    .wavefront_size: 32
  - .args:
      - .offset:         0
        .size:           56
        .value_kind:     by_value
    .group_segment_fixed_size: 0
    .kernarg_segment_align: 8
    .kernarg_segment_size: 56
    .language:       OpenCL C
    .language_version:
      - 2
      - 0
    .max_flat_workgroup_size: 256
    .name:           _ZN7rocprim17ROCPRIM_400000_NS6detail17trampoline_kernelINS0_14default_configENS1_27lower_bound_config_selectorI14custom_numericlEEZNS1_14transform_implILb0ES3_S6_N6thrust23THRUST_200600_302600_NS6detail15normal_iteratorINS9_7pointerIS5_NS9_11hip_rocprim3tagENS9_11use_defaultESF_EEEENSB_INSC_IlSE_SF_SF_EEEEZNS1_13binary_searchIS3_S6_NSB_INS9_10device_ptrIS5_EEEESH_SJ_NS1_21lower_bound_search_opENSA_16wrapped_functionINS9_7greaterIS5_EEbEEEE10hipError_tPvRmT1_T2_T3_mmT4_T5_P12ihipStream_tbEUlRKS5_E_EEST_SX_SY_mSZ_S12_bEUlT_E_NS1_11comp_targetILNS1_3genE10ELNS1_11target_archE1201ELNS1_3gpuE5ELNS1_3repE0EEENS1_30default_config_static_selectorELNS0_4arch9wavefront6targetE0EEEvSW_
    .private_segment_fixed_size: 0
    .sgpr_count:     0
    .sgpr_spill_count: 0
    .symbol:         _ZN7rocprim17ROCPRIM_400000_NS6detail17trampoline_kernelINS0_14default_configENS1_27lower_bound_config_selectorI14custom_numericlEEZNS1_14transform_implILb0ES3_S6_N6thrust23THRUST_200600_302600_NS6detail15normal_iteratorINS9_7pointerIS5_NS9_11hip_rocprim3tagENS9_11use_defaultESF_EEEENSB_INSC_IlSE_SF_SF_EEEEZNS1_13binary_searchIS3_S6_NSB_INS9_10device_ptrIS5_EEEESH_SJ_NS1_21lower_bound_search_opENSA_16wrapped_functionINS9_7greaterIS5_EEbEEEE10hipError_tPvRmT1_T2_T3_mmT4_T5_P12ihipStream_tbEUlRKS5_E_EEST_SX_SY_mSZ_S12_bEUlT_E_NS1_11comp_targetILNS1_3genE10ELNS1_11target_archE1201ELNS1_3gpuE5ELNS1_3repE0EEENS1_30default_config_static_selectorELNS0_4arch9wavefront6targetE0EEEvSW_.kd
    .uniform_work_group_size: 1
    .uses_dynamic_stack: false
    .vgpr_count:     0
    .vgpr_spill_count: 0
    .wavefront_size: 32
  - .args:
      - .offset:         0
        .size:           56
        .value_kind:     by_value
    .group_segment_fixed_size: 0
    .kernarg_segment_align: 8
    .kernarg_segment_size: 56
    .language:       OpenCL C
    .language_version:
      - 2
      - 0
    .max_flat_workgroup_size: 256
    .name:           _ZN7rocprim17ROCPRIM_400000_NS6detail17trampoline_kernelINS0_14default_configENS1_27lower_bound_config_selectorI14custom_numericlEEZNS1_14transform_implILb0ES3_S6_N6thrust23THRUST_200600_302600_NS6detail15normal_iteratorINS9_7pointerIS5_NS9_11hip_rocprim3tagENS9_11use_defaultESF_EEEENSB_INSC_IlSE_SF_SF_EEEEZNS1_13binary_searchIS3_S6_NSB_INS9_10device_ptrIS5_EEEESH_SJ_NS1_21lower_bound_search_opENSA_16wrapped_functionINS9_7greaterIS5_EEbEEEE10hipError_tPvRmT1_T2_T3_mmT4_T5_P12ihipStream_tbEUlRKS5_E_EEST_SX_SY_mSZ_S12_bEUlT_E_NS1_11comp_targetILNS1_3genE10ELNS1_11target_archE1200ELNS1_3gpuE4ELNS1_3repE0EEENS1_30default_config_static_selectorELNS0_4arch9wavefront6targetE0EEEvSW_
    .private_segment_fixed_size: 0
    .sgpr_count:     0
    .sgpr_spill_count: 0
    .symbol:         _ZN7rocprim17ROCPRIM_400000_NS6detail17trampoline_kernelINS0_14default_configENS1_27lower_bound_config_selectorI14custom_numericlEEZNS1_14transform_implILb0ES3_S6_N6thrust23THRUST_200600_302600_NS6detail15normal_iteratorINS9_7pointerIS5_NS9_11hip_rocprim3tagENS9_11use_defaultESF_EEEENSB_INSC_IlSE_SF_SF_EEEEZNS1_13binary_searchIS3_S6_NSB_INS9_10device_ptrIS5_EEEESH_SJ_NS1_21lower_bound_search_opENSA_16wrapped_functionINS9_7greaterIS5_EEbEEEE10hipError_tPvRmT1_T2_T3_mmT4_T5_P12ihipStream_tbEUlRKS5_E_EEST_SX_SY_mSZ_S12_bEUlT_E_NS1_11comp_targetILNS1_3genE10ELNS1_11target_archE1200ELNS1_3gpuE4ELNS1_3repE0EEENS1_30default_config_static_selectorELNS0_4arch9wavefront6targetE0EEEvSW_.kd
    .uniform_work_group_size: 1
    .uses_dynamic_stack: false
    .vgpr_count:     0
    .vgpr_spill_count: 0
    .wavefront_size: 32
  - .args:
      - .offset:         0
        .size:           56
        .value_kind:     by_value
    .group_segment_fixed_size: 0
    .kernarg_segment_align: 8
    .kernarg_segment_size: 56
    .language:       OpenCL C
    .language_version:
      - 2
      - 0
    .max_flat_workgroup_size: 256
    .name:           _ZN7rocprim17ROCPRIM_400000_NS6detail17trampoline_kernelINS0_14default_configENS1_27lower_bound_config_selectorI14custom_numericlEEZNS1_14transform_implILb0ES3_S6_N6thrust23THRUST_200600_302600_NS6detail15normal_iteratorINS9_7pointerIS5_NS9_11hip_rocprim3tagENS9_11use_defaultESF_EEEENSB_INSC_IlSE_SF_SF_EEEEZNS1_13binary_searchIS3_S6_NSB_INS9_10device_ptrIS5_EEEESH_SJ_NS1_21lower_bound_search_opENSA_16wrapped_functionINS9_7greaterIS5_EEbEEEE10hipError_tPvRmT1_T2_T3_mmT4_T5_P12ihipStream_tbEUlRKS5_E_EEST_SX_SY_mSZ_S12_bEUlT_E_NS1_11comp_targetILNS1_3genE9ELNS1_11target_archE1100ELNS1_3gpuE3ELNS1_3repE0EEENS1_30default_config_static_selectorELNS0_4arch9wavefront6targetE0EEEvSW_
    .private_segment_fixed_size: 0
    .sgpr_count:     0
    .sgpr_spill_count: 0
    .symbol:         _ZN7rocprim17ROCPRIM_400000_NS6detail17trampoline_kernelINS0_14default_configENS1_27lower_bound_config_selectorI14custom_numericlEEZNS1_14transform_implILb0ES3_S6_N6thrust23THRUST_200600_302600_NS6detail15normal_iteratorINS9_7pointerIS5_NS9_11hip_rocprim3tagENS9_11use_defaultESF_EEEENSB_INSC_IlSE_SF_SF_EEEEZNS1_13binary_searchIS3_S6_NSB_INS9_10device_ptrIS5_EEEESH_SJ_NS1_21lower_bound_search_opENSA_16wrapped_functionINS9_7greaterIS5_EEbEEEE10hipError_tPvRmT1_T2_T3_mmT4_T5_P12ihipStream_tbEUlRKS5_E_EEST_SX_SY_mSZ_S12_bEUlT_E_NS1_11comp_targetILNS1_3genE9ELNS1_11target_archE1100ELNS1_3gpuE3ELNS1_3repE0EEENS1_30default_config_static_selectorELNS0_4arch9wavefront6targetE0EEEvSW_.kd
    .uniform_work_group_size: 1
    .uses_dynamic_stack: false
    .vgpr_count:     0
    .vgpr_spill_count: 0
    .wavefront_size: 32
  - .args:
      - .offset:         0
        .size:           56
        .value_kind:     by_value
    .group_segment_fixed_size: 0
    .kernarg_segment_align: 8
    .kernarg_segment_size: 56
    .language:       OpenCL C
    .language_version:
      - 2
      - 0
    .max_flat_workgroup_size: 256
    .name:           _ZN7rocprim17ROCPRIM_400000_NS6detail17trampoline_kernelINS0_14default_configENS1_27lower_bound_config_selectorI14custom_numericlEEZNS1_14transform_implILb0ES3_S6_N6thrust23THRUST_200600_302600_NS6detail15normal_iteratorINS9_7pointerIS5_NS9_11hip_rocprim3tagENS9_11use_defaultESF_EEEENSB_INSC_IlSE_SF_SF_EEEEZNS1_13binary_searchIS3_S6_NSB_INS9_10device_ptrIS5_EEEESH_SJ_NS1_21lower_bound_search_opENSA_16wrapped_functionINS9_7greaterIS5_EEbEEEE10hipError_tPvRmT1_T2_T3_mmT4_T5_P12ihipStream_tbEUlRKS5_E_EEST_SX_SY_mSZ_S12_bEUlT_E_NS1_11comp_targetILNS1_3genE8ELNS1_11target_archE1030ELNS1_3gpuE2ELNS1_3repE0EEENS1_30default_config_static_selectorELNS0_4arch9wavefront6targetE0EEEvSW_
    .private_segment_fixed_size: 0
    .sgpr_count:     0
    .sgpr_spill_count: 0
    .symbol:         _ZN7rocprim17ROCPRIM_400000_NS6detail17trampoline_kernelINS0_14default_configENS1_27lower_bound_config_selectorI14custom_numericlEEZNS1_14transform_implILb0ES3_S6_N6thrust23THRUST_200600_302600_NS6detail15normal_iteratorINS9_7pointerIS5_NS9_11hip_rocprim3tagENS9_11use_defaultESF_EEEENSB_INSC_IlSE_SF_SF_EEEEZNS1_13binary_searchIS3_S6_NSB_INS9_10device_ptrIS5_EEEESH_SJ_NS1_21lower_bound_search_opENSA_16wrapped_functionINS9_7greaterIS5_EEbEEEE10hipError_tPvRmT1_T2_T3_mmT4_T5_P12ihipStream_tbEUlRKS5_E_EEST_SX_SY_mSZ_S12_bEUlT_E_NS1_11comp_targetILNS1_3genE8ELNS1_11target_archE1030ELNS1_3gpuE2ELNS1_3repE0EEENS1_30default_config_static_selectorELNS0_4arch9wavefront6targetE0EEEvSW_.kd
    .uniform_work_group_size: 1
    .uses_dynamic_stack: false
    .vgpr_count:     0
    .vgpr_spill_count: 0
    .wavefront_size: 32
  - .args:
      - .offset:         0
        .size:           16
        .value_kind:     by_value
      - .offset:         16
        .size:           8
        .value_kind:     by_value
      - .offset:         24
        .size:           8
        .value_kind:     by_value
    .group_segment_fixed_size: 0
    .kernarg_segment_align: 8
    .kernarg_segment_size: 32
    .language:       OpenCL C
    .language_version:
      - 2
      - 0
    .max_flat_workgroup_size: 256
    .name:           _ZN6thrust23THRUST_200600_302600_NS11hip_rocprim14__parallel_for6kernelILj256ENS1_20__uninitialized_fill7functorINS0_7pointerIiNS1_3tagENS0_16tagged_referenceIiS7_EENS0_11use_defaultEEEiEEmLj1EEEvT0_T1_SE_
    .private_segment_fixed_size: 0
    .sgpr_count:     14
    .sgpr_spill_count: 0
    .symbol:         _ZN6thrust23THRUST_200600_302600_NS11hip_rocprim14__parallel_for6kernelILj256ENS1_20__uninitialized_fill7functorINS0_7pointerIiNS1_3tagENS0_16tagged_referenceIiS7_EENS0_11use_defaultEEEiEEmLj1EEEvT0_T1_SE_.kd
    .uniform_work_group_size: 1
    .uses_dynamic_stack: false
    .vgpr_count:     2
    .vgpr_spill_count: 0
    .wavefront_size: 32
  - .args:
      - .offset:         0
        .size:           56
        .value_kind:     by_value
      - .offset:         56
        .size:           4
        .value_kind:     hidden_block_count_x
      - .offset:         60
        .size:           4
        .value_kind:     hidden_block_count_y
      - .offset:         64
        .size:           4
        .value_kind:     hidden_block_count_z
      - .offset:         68
        .size:           2
        .value_kind:     hidden_group_size_x
      - .offset:         70
        .size:           2
        .value_kind:     hidden_group_size_y
      - .offset:         72
        .size:           2
        .value_kind:     hidden_group_size_z
      - .offset:         74
        .size:           2
        .value_kind:     hidden_remainder_x
      - .offset:         76
        .size:           2
        .value_kind:     hidden_remainder_y
      - .offset:         78
        .size:           2
        .value_kind:     hidden_remainder_z
      - .offset:         96
        .size:           8
        .value_kind:     hidden_global_offset_x
      - .offset:         104
        .size:           8
        .value_kind:     hidden_global_offset_y
      - .offset:         112
        .size:           8
        .value_kind:     hidden_global_offset_z
      - .offset:         120
        .size:           2
        .value_kind:     hidden_grid_dims
    .group_segment_fixed_size: 0
    .kernarg_segment_align: 8
    .kernarg_segment_size: 312
    .language:       OpenCL C
    .language_version:
      - 2
      - 0
    .max_flat_workgroup_size: 256
    .name:           _ZN7rocprim17ROCPRIM_400000_NS6detail17trampoline_kernelINS0_14default_configENS1_27lower_bound_config_selectorIilEEZNS1_14transform_implILb0ES3_S5_N6thrust23THRUST_200600_302600_NS6detail15normal_iteratorINS8_7pointerIiNS8_11hip_rocprim3tagENS8_11use_defaultESE_EEEENSA_INSB_IlSD_SE_SE_EEEEZNS1_13binary_searchIS3_S5_NSA_INSB_IiSD_NS8_16tagged_referenceIiSD_EESE_EEEESG_SI_NS1_21lower_bound_search_opENS9_16wrapped_functionINS8_7greaterIiEEbEEEE10hipError_tPvRmT1_T2_T3_mmT4_T5_P12ihipStream_tbEUlRKiE_EEST_SX_SY_mSZ_S12_bEUlT_E_NS1_11comp_targetILNS1_3genE0ELNS1_11target_archE4294967295ELNS1_3gpuE0ELNS1_3repE0EEENS1_30default_config_static_selectorELNS0_4arch9wavefront6targetE0EEEvSW_
    .private_segment_fixed_size: 0
    .sgpr_count:     20
    .sgpr_spill_count: 0
    .symbol:         _ZN7rocprim17ROCPRIM_400000_NS6detail17trampoline_kernelINS0_14default_configENS1_27lower_bound_config_selectorIilEEZNS1_14transform_implILb0ES3_S5_N6thrust23THRUST_200600_302600_NS6detail15normal_iteratorINS8_7pointerIiNS8_11hip_rocprim3tagENS8_11use_defaultESE_EEEENSA_INSB_IlSD_SE_SE_EEEEZNS1_13binary_searchIS3_S5_NSA_INSB_IiSD_NS8_16tagged_referenceIiSD_EESE_EEEESG_SI_NS1_21lower_bound_search_opENS9_16wrapped_functionINS8_7greaterIiEEbEEEE10hipError_tPvRmT1_T2_T3_mmT4_T5_P12ihipStream_tbEUlRKiE_EEST_SX_SY_mSZ_S12_bEUlT_E_NS1_11comp_targetILNS1_3genE0ELNS1_11target_archE4294967295ELNS1_3gpuE0ELNS1_3repE0EEENS1_30default_config_static_selectorELNS0_4arch9wavefront6targetE0EEEvSW_.kd
    .uniform_work_group_size: 1
    .uses_dynamic_stack: false
    .vgpr_count:     11
    .vgpr_spill_count: 0
    .wavefront_size: 32
  - .args:
      - .offset:         0
        .size:           56
        .value_kind:     by_value
    .group_segment_fixed_size: 0
    .kernarg_segment_align: 8
    .kernarg_segment_size: 56
    .language:       OpenCL C
    .language_version:
      - 2
      - 0
    .max_flat_workgroup_size: 256
    .name:           _ZN7rocprim17ROCPRIM_400000_NS6detail17trampoline_kernelINS0_14default_configENS1_27lower_bound_config_selectorIilEEZNS1_14transform_implILb0ES3_S5_N6thrust23THRUST_200600_302600_NS6detail15normal_iteratorINS8_7pointerIiNS8_11hip_rocprim3tagENS8_11use_defaultESE_EEEENSA_INSB_IlSD_SE_SE_EEEEZNS1_13binary_searchIS3_S5_NSA_INSB_IiSD_NS8_16tagged_referenceIiSD_EESE_EEEESG_SI_NS1_21lower_bound_search_opENS9_16wrapped_functionINS8_7greaterIiEEbEEEE10hipError_tPvRmT1_T2_T3_mmT4_T5_P12ihipStream_tbEUlRKiE_EEST_SX_SY_mSZ_S12_bEUlT_E_NS1_11comp_targetILNS1_3genE5ELNS1_11target_archE942ELNS1_3gpuE9ELNS1_3repE0EEENS1_30default_config_static_selectorELNS0_4arch9wavefront6targetE0EEEvSW_
    .private_segment_fixed_size: 0
    .sgpr_count:     0
    .sgpr_spill_count: 0
    .symbol:         _ZN7rocprim17ROCPRIM_400000_NS6detail17trampoline_kernelINS0_14default_configENS1_27lower_bound_config_selectorIilEEZNS1_14transform_implILb0ES3_S5_N6thrust23THRUST_200600_302600_NS6detail15normal_iteratorINS8_7pointerIiNS8_11hip_rocprim3tagENS8_11use_defaultESE_EEEENSA_INSB_IlSD_SE_SE_EEEEZNS1_13binary_searchIS3_S5_NSA_INSB_IiSD_NS8_16tagged_referenceIiSD_EESE_EEEESG_SI_NS1_21lower_bound_search_opENS9_16wrapped_functionINS8_7greaterIiEEbEEEE10hipError_tPvRmT1_T2_T3_mmT4_T5_P12ihipStream_tbEUlRKiE_EEST_SX_SY_mSZ_S12_bEUlT_E_NS1_11comp_targetILNS1_3genE5ELNS1_11target_archE942ELNS1_3gpuE9ELNS1_3repE0EEENS1_30default_config_static_selectorELNS0_4arch9wavefront6targetE0EEEvSW_.kd
    .uniform_work_group_size: 1
    .uses_dynamic_stack: false
    .vgpr_count:     0
    .vgpr_spill_count: 0
    .wavefront_size: 32
  - .args:
      - .offset:         0
        .size:           56
        .value_kind:     by_value
    .group_segment_fixed_size: 0
    .kernarg_segment_align: 8
    .kernarg_segment_size: 56
    .language:       OpenCL C
    .language_version:
      - 2
      - 0
    .max_flat_workgroup_size: 256
    .name:           _ZN7rocprim17ROCPRIM_400000_NS6detail17trampoline_kernelINS0_14default_configENS1_27lower_bound_config_selectorIilEEZNS1_14transform_implILb0ES3_S5_N6thrust23THRUST_200600_302600_NS6detail15normal_iteratorINS8_7pointerIiNS8_11hip_rocprim3tagENS8_11use_defaultESE_EEEENSA_INSB_IlSD_SE_SE_EEEEZNS1_13binary_searchIS3_S5_NSA_INSB_IiSD_NS8_16tagged_referenceIiSD_EESE_EEEESG_SI_NS1_21lower_bound_search_opENS9_16wrapped_functionINS8_7greaterIiEEbEEEE10hipError_tPvRmT1_T2_T3_mmT4_T5_P12ihipStream_tbEUlRKiE_EEST_SX_SY_mSZ_S12_bEUlT_E_NS1_11comp_targetILNS1_3genE4ELNS1_11target_archE910ELNS1_3gpuE8ELNS1_3repE0EEENS1_30default_config_static_selectorELNS0_4arch9wavefront6targetE0EEEvSW_
    .private_segment_fixed_size: 0
    .sgpr_count:     0
    .sgpr_spill_count: 0
    .symbol:         _ZN7rocprim17ROCPRIM_400000_NS6detail17trampoline_kernelINS0_14default_configENS1_27lower_bound_config_selectorIilEEZNS1_14transform_implILb0ES3_S5_N6thrust23THRUST_200600_302600_NS6detail15normal_iteratorINS8_7pointerIiNS8_11hip_rocprim3tagENS8_11use_defaultESE_EEEENSA_INSB_IlSD_SE_SE_EEEEZNS1_13binary_searchIS3_S5_NSA_INSB_IiSD_NS8_16tagged_referenceIiSD_EESE_EEEESG_SI_NS1_21lower_bound_search_opENS9_16wrapped_functionINS8_7greaterIiEEbEEEE10hipError_tPvRmT1_T2_T3_mmT4_T5_P12ihipStream_tbEUlRKiE_EEST_SX_SY_mSZ_S12_bEUlT_E_NS1_11comp_targetILNS1_3genE4ELNS1_11target_archE910ELNS1_3gpuE8ELNS1_3repE0EEENS1_30default_config_static_selectorELNS0_4arch9wavefront6targetE0EEEvSW_.kd
    .uniform_work_group_size: 1
    .uses_dynamic_stack: false
    .vgpr_count:     0
    .vgpr_spill_count: 0
    .wavefront_size: 32
  - .args:
      - .offset:         0
        .size:           56
        .value_kind:     by_value
    .group_segment_fixed_size: 0
    .kernarg_segment_align: 8
    .kernarg_segment_size: 56
    .language:       OpenCL C
    .language_version:
      - 2
      - 0
    .max_flat_workgroup_size: 256
    .name:           _ZN7rocprim17ROCPRIM_400000_NS6detail17trampoline_kernelINS0_14default_configENS1_27lower_bound_config_selectorIilEEZNS1_14transform_implILb0ES3_S5_N6thrust23THRUST_200600_302600_NS6detail15normal_iteratorINS8_7pointerIiNS8_11hip_rocprim3tagENS8_11use_defaultESE_EEEENSA_INSB_IlSD_SE_SE_EEEEZNS1_13binary_searchIS3_S5_NSA_INSB_IiSD_NS8_16tagged_referenceIiSD_EESE_EEEESG_SI_NS1_21lower_bound_search_opENS9_16wrapped_functionINS8_7greaterIiEEbEEEE10hipError_tPvRmT1_T2_T3_mmT4_T5_P12ihipStream_tbEUlRKiE_EEST_SX_SY_mSZ_S12_bEUlT_E_NS1_11comp_targetILNS1_3genE3ELNS1_11target_archE908ELNS1_3gpuE7ELNS1_3repE0EEENS1_30default_config_static_selectorELNS0_4arch9wavefront6targetE0EEEvSW_
    .private_segment_fixed_size: 0
    .sgpr_count:     0
    .sgpr_spill_count: 0
    .symbol:         _ZN7rocprim17ROCPRIM_400000_NS6detail17trampoline_kernelINS0_14default_configENS1_27lower_bound_config_selectorIilEEZNS1_14transform_implILb0ES3_S5_N6thrust23THRUST_200600_302600_NS6detail15normal_iteratorINS8_7pointerIiNS8_11hip_rocprim3tagENS8_11use_defaultESE_EEEENSA_INSB_IlSD_SE_SE_EEEEZNS1_13binary_searchIS3_S5_NSA_INSB_IiSD_NS8_16tagged_referenceIiSD_EESE_EEEESG_SI_NS1_21lower_bound_search_opENS9_16wrapped_functionINS8_7greaterIiEEbEEEE10hipError_tPvRmT1_T2_T3_mmT4_T5_P12ihipStream_tbEUlRKiE_EEST_SX_SY_mSZ_S12_bEUlT_E_NS1_11comp_targetILNS1_3genE3ELNS1_11target_archE908ELNS1_3gpuE7ELNS1_3repE0EEENS1_30default_config_static_selectorELNS0_4arch9wavefront6targetE0EEEvSW_.kd
    .uniform_work_group_size: 1
    .uses_dynamic_stack: false
    .vgpr_count:     0
    .vgpr_spill_count: 0
    .wavefront_size: 32
  - .args:
      - .offset:         0
        .size:           56
        .value_kind:     by_value
    .group_segment_fixed_size: 0
    .kernarg_segment_align: 8
    .kernarg_segment_size: 56
    .language:       OpenCL C
    .language_version:
      - 2
      - 0
    .max_flat_workgroup_size: 256
    .name:           _ZN7rocprim17ROCPRIM_400000_NS6detail17trampoline_kernelINS0_14default_configENS1_27lower_bound_config_selectorIilEEZNS1_14transform_implILb0ES3_S5_N6thrust23THRUST_200600_302600_NS6detail15normal_iteratorINS8_7pointerIiNS8_11hip_rocprim3tagENS8_11use_defaultESE_EEEENSA_INSB_IlSD_SE_SE_EEEEZNS1_13binary_searchIS3_S5_NSA_INSB_IiSD_NS8_16tagged_referenceIiSD_EESE_EEEESG_SI_NS1_21lower_bound_search_opENS9_16wrapped_functionINS8_7greaterIiEEbEEEE10hipError_tPvRmT1_T2_T3_mmT4_T5_P12ihipStream_tbEUlRKiE_EEST_SX_SY_mSZ_S12_bEUlT_E_NS1_11comp_targetILNS1_3genE2ELNS1_11target_archE906ELNS1_3gpuE6ELNS1_3repE0EEENS1_30default_config_static_selectorELNS0_4arch9wavefront6targetE0EEEvSW_
    .private_segment_fixed_size: 0
    .sgpr_count:     0
    .sgpr_spill_count: 0
    .symbol:         _ZN7rocprim17ROCPRIM_400000_NS6detail17trampoline_kernelINS0_14default_configENS1_27lower_bound_config_selectorIilEEZNS1_14transform_implILb0ES3_S5_N6thrust23THRUST_200600_302600_NS6detail15normal_iteratorINS8_7pointerIiNS8_11hip_rocprim3tagENS8_11use_defaultESE_EEEENSA_INSB_IlSD_SE_SE_EEEEZNS1_13binary_searchIS3_S5_NSA_INSB_IiSD_NS8_16tagged_referenceIiSD_EESE_EEEESG_SI_NS1_21lower_bound_search_opENS9_16wrapped_functionINS8_7greaterIiEEbEEEE10hipError_tPvRmT1_T2_T3_mmT4_T5_P12ihipStream_tbEUlRKiE_EEST_SX_SY_mSZ_S12_bEUlT_E_NS1_11comp_targetILNS1_3genE2ELNS1_11target_archE906ELNS1_3gpuE6ELNS1_3repE0EEENS1_30default_config_static_selectorELNS0_4arch9wavefront6targetE0EEEvSW_.kd
    .uniform_work_group_size: 1
    .uses_dynamic_stack: false
    .vgpr_count:     0
    .vgpr_spill_count: 0
    .wavefront_size: 32
  - .args:
      - .offset:         0
        .size:           56
        .value_kind:     by_value
    .group_segment_fixed_size: 0
    .kernarg_segment_align: 8
    .kernarg_segment_size: 56
    .language:       OpenCL C
    .language_version:
      - 2
      - 0
    .max_flat_workgroup_size: 128
    .name:           _ZN7rocprim17ROCPRIM_400000_NS6detail17trampoline_kernelINS0_14default_configENS1_27lower_bound_config_selectorIilEEZNS1_14transform_implILb0ES3_S5_N6thrust23THRUST_200600_302600_NS6detail15normal_iteratorINS8_7pointerIiNS8_11hip_rocprim3tagENS8_11use_defaultESE_EEEENSA_INSB_IlSD_SE_SE_EEEEZNS1_13binary_searchIS3_S5_NSA_INSB_IiSD_NS8_16tagged_referenceIiSD_EESE_EEEESG_SI_NS1_21lower_bound_search_opENS9_16wrapped_functionINS8_7greaterIiEEbEEEE10hipError_tPvRmT1_T2_T3_mmT4_T5_P12ihipStream_tbEUlRKiE_EEST_SX_SY_mSZ_S12_bEUlT_E_NS1_11comp_targetILNS1_3genE10ELNS1_11target_archE1201ELNS1_3gpuE5ELNS1_3repE0EEENS1_30default_config_static_selectorELNS0_4arch9wavefront6targetE0EEEvSW_
    .private_segment_fixed_size: 0
    .sgpr_count:     0
    .sgpr_spill_count: 0
    .symbol:         _ZN7rocprim17ROCPRIM_400000_NS6detail17trampoline_kernelINS0_14default_configENS1_27lower_bound_config_selectorIilEEZNS1_14transform_implILb0ES3_S5_N6thrust23THRUST_200600_302600_NS6detail15normal_iteratorINS8_7pointerIiNS8_11hip_rocprim3tagENS8_11use_defaultESE_EEEENSA_INSB_IlSD_SE_SE_EEEEZNS1_13binary_searchIS3_S5_NSA_INSB_IiSD_NS8_16tagged_referenceIiSD_EESE_EEEESG_SI_NS1_21lower_bound_search_opENS9_16wrapped_functionINS8_7greaterIiEEbEEEE10hipError_tPvRmT1_T2_T3_mmT4_T5_P12ihipStream_tbEUlRKiE_EEST_SX_SY_mSZ_S12_bEUlT_E_NS1_11comp_targetILNS1_3genE10ELNS1_11target_archE1201ELNS1_3gpuE5ELNS1_3repE0EEENS1_30default_config_static_selectorELNS0_4arch9wavefront6targetE0EEEvSW_.kd
    .uniform_work_group_size: 1
    .uses_dynamic_stack: false
    .vgpr_count:     0
    .vgpr_spill_count: 0
    .wavefront_size: 32
  - .args:
      - .offset:         0
        .size:           56
        .value_kind:     by_value
    .group_segment_fixed_size: 0
    .kernarg_segment_align: 8
    .kernarg_segment_size: 56
    .language:       OpenCL C
    .language_version:
      - 2
      - 0
    .max_flat_workgroup_size: 128
    .name:           _ZN7rocprim17ROCPRIM_400000_NS6detail17trampoline_kernelINS0_14default_configENS1_27lower_bound_config_selectorIilEEZNS1_14transform_implILb0ES3_S5_N6thrust23THRUST_200600_302600_NS6detail15normal_iteratorINS8_7pointerIiNS8_11hip_rocprim3tagENS8_11use_defaultESE_EEEENSA_INSB_IlSD_SE_SE_EEEEZNS1_13binary_searchIS3_S5_NSA_INSB_IiSD_NS8_16tagged_referenceIiSD_EESE_EEEESG_SI_NS1_21lower_bound_search_opENS9_16wrapped_functionINS8_7greaterIiEEbEEEE10hipError_tPvRmT1_T2_T3_mmT4_T5_P12ihipStream_tbEUlRKiE_EEST_SX_SY_mSZ_S12_bEUlT_E_NS1_11comp_targetILNS1_3genE10ELNS1_11target_archE1200ELNS1_3gpuE4ELNS1_3repE0EEENS1_30default_config_static_selectorELNS0_4arch9wavefront6targetE0EEEvSW_
    .private_segment_fixed_size: 0
    .sgpr_count:     0
    .sgpr_spill_count: 0
    .symbol:         _ZN7rocprim17ROCPRIM_400000_NS6detail17trampoline_kernelINS0_14default_configENS1_27lower_bound_config_selectorIilEEZNS1_14transform_implILb0ES3_S5_N6thrust23THRUST_200600_302600_NS6detail15normal_iteratorINS8_7pointerIiNS8_11hip_rocprim3tagENS8_11use_defaultESE_EEEENSA_INSB_IlSD_SE_SE_EEEEZNS1_13binary_searchIS3_S5_NSA_INSB_IiSD_NS8_16tagged_referenceIiSD_EESE_EEEESG_SI_NS1_21lower_bound_search_opENS9_16wrapped_functionINS8_7greaterIiEEbEEEE10hipError_tPvRmT1_T2_T3_mmT4_T5_P12ihipStream_tbEUlRKiE_EEST_SX_SY_mSZ_S12_bEUlT_E_NS1_11comp_targetILNS1_3genE10ELNS1_11target_archE1200ELNS1_3gpuE4ELNS1_3repE0EEENS1_30default_config_static_selectorELNS0_4arch9wavefront6targetE0EEEvSW_.kd
    .uniform_work_group_size: 1
    .uses_dynamic_stack: false
    .vgpr_count:     0
    .vgpr_spill_count: 0
    .wavefront_size: 32
  - .args:
      - .offset:         0
        .size:           56
        .value_kind:     by_value
    .group_segment_fixed_size: 0
    .kernarg_segment_align: 8
    .kernarg_segment_size: 56
    .language:       OpenCL C
    .language_version:
      - 2
      - 0
    .max_flat_workgroup_size: 256
    .name:           _ZN7rocprim17ROCPRIM_400000_NS6detail17trampoline_kernelINS0_14default_configENS1_27lower_bound_config_selectorIilEEZNS1_14transform_implILb0ES3_S5_N6thrust23THRUST_200600_302600_NS6detail15normal_iteratorINS8_7pointerIiNS8_11hip_rocprim3tagENS8_11use_defaultESE_EEEENSA_INSB_IlSD_SE_SE_EEEEZNS1_13binary_searchIS3_S5_NSA_INSB_IiSD_NS8_16tagged_referenceIiSD_EESE_EEEESG_SI_NS1_21lower_bound_search_opENS9_16wrapped_functionINS8_7greaterIiEEbEEEE10hipError_tPvRmT1_T2_T3_mmT4_T5_P12ihipStream_tbEUlRKiE_EEST_SX_SY_mSZ_S12_bEUlT_E_NS1_11comp_targetILNS1_3genE9ELNS1_11target_archE1100ELNS1_3gpuE3ELNS1_3repE0EEENS1_30default_config_static_selectorELNS0_4arch9wavefront6targetE0EEEvSW_
    .private_segment_fixed_size: 0
    .sgpr_count:     0
    .sgpr_spill_count: 0
    .symbol:         _ZN7rocprim17ROCPRIM_400000_NS6detail17trampoline_kernelINS0_14default_configENS1_27lower_bound_config_selectorIilEEZNS1_14transform_implILb0ES3_S5_N6thrust23THRUST_200600_302600_NS6detail15normal_iteratorINS8_7pointerIiNS8_11hip_rocprim3tagENS8_11use_defaultESE_EEEENSA_INSB_IlSD_SE_SE_EEEEZNS1_13binary_searchIS3_S5_NSA_INSB_IiSD_NS8_16tagged_referenceIiSD_EESE_EEEESG_SI_NS1_21lower_bound_search_opENS9_16wrapped_functionINS8_7greaterIiEEbEEEE10hipError_tPvRmT1_T2_T3_mmT4_T5_P12ihipStream_tbEUlRKiE_EEST_SX_SY_mSZ_S12_bEUlT_E_NS1_11comp_targetILNS1_3genE9ELNS1_11target_archE1100ELNS1_3gpuE3ELNS1_3repE0EEENS1_30default_config_static_selectorELNS0_4arch9wavefront6targetE0EEEvSW_.kd
    .uniform_work_group_size: 1
    .uses_dynamic_stack: false
    .vgpr_count:     0
    .vgpr_spill_count: 0
    .wavefront_size: 32
  - .args:
      - .offset:         0
        .size:           56
        .value_kind:     by_value
    .group_segment_fixed_size: 0
    .kernarg_segment_align: 8
    .kernarg_segment_size: 56
    .language:       OpenCL C
    .language_version:
      - 2
      - 0
    .max_flat_workgroup_size: 256
    .name:           _ZN7rocprim17ROCPRIM_400000_NS6detail17trampoline_kernelINS0_14default_configENS1_27lower_bound_config_selectorIilEEZNS1_14transform_implILb0ES3_S5_N6thrust23THRUST_200600_302600_NS6detail15normal_iteratorINS8_7pointerIiNS8_11hip_rocprim3tagENS8_11use_defaultESE_EEEENSA_INSB_IlSD_SE_SE_EEEEZNS1_13binary_searchIS3_S5_NSA_INSB_IiSD_NS8_16tagged_referenceIiSD_EESE_EEEESG_SI_NS1_21lower_bound_search_opENS9_16wrapped_functionINS8_7greaterIiEEbEEEE10hipError_tPvRmT1_T2_T3_mmT4_T5_P12ihipStream_tbEUlRKiE_EEST_SX_SY_mSZ_S12_bEUlT_E_NS1_11comp_targetILNS1_3genE8ELNS1_11target_archE1030ELNS1_3gpuE2ELNS1_3repE0EEENS1_30default_config_static_selectorELNS0_4arch9wavefront6targetE0EEEvSW_
    .private_segment_fixed_size: 0
    .sgpr_count:     0
    .sgpr_spill_count: 0
    .symbol:         _ZN7rocprim17ROCPRIM_400000_NS6detail17trampoline_kernelINS0_14default_configENS1_27lower_bound_config_selectorIilEEZNS1_14transform_implILb0ES3_S5_N6thrust23THRUST_200600_302600_NS6detail15normal_iteratorINS8_7pointerIiNS8_11hip_rocprim3tagENS8_11use_defaultESE_EEEENSA_INSB_IlSD_SE_SE_EEEEZNS1_13binary_searchIS3_S5_NSA_INSB_IiSD_NS8_16tagged_referenceIiSD_EESE_EEEESG_SI_NS1_21lower_bound_search_opENS9_16wrapped_functionINS8_7greaterIiEEbEEEE10hipError_tPvRmT1_T2_T3_mmT4_T5_P12ihipStream_tbEUlRKiE_EEST_SX_SY_mSZ_S12_bEUlT_E_NS1_11comp_targetILNS1_3genE8ELNS1_11target_archE1030ELNS1_3gpuE2ELNS1_3repE0EEENS1_30default_config_static_selectorELNS0_4arch9wavefront6targetE0EEEvSW_.kd
    .uniform_work_group_size: 1
    .uses_dynamic_stack: false
    .vgpr_count:     0
    .vgpr_spill_count: 0
    .wavefront_size: 32
  - .args:
      - .offset:         0
        .size:           16
        .value_kind:     by_value
      - .offset:         16
        .size:           8
        .value_kind:     by_value
      - .offset:         24
        .size:           8
        .value_kind:     by_value
    .group_segment_fixed_size: 0
    .kernarg_segment_align: 8
    .kernarg_segment_size: 32
    .language:       OpenCL C
    .language_version:
      - 2
      - 0
    .max_flat_workgroup_size: 256
    .name:           _ZN6thrust23THRUST_200600_302600_NS11hip_rocprim14__parallel_for6kernelILj256ENS1_20__uninitialized_fill7functorINS0_7pointerIiNS1_3tagERiNS0_11use_defaultEEEiEEmLj1EEEvT0_T1_SD_
    .private_segment_fixed_size: 0
    .sgpr_count:     14
    .sgpr_spill_count: 0
    .symbol:         _ZN6thrust23THRUST_200600_302600_NS11hip_rocprim14__parallel_for6kernelILj256ENS1_20__uninitialized_fill7functorINS0_7pointerIiNS1_3tagERiNS0_11use_defaultEEEiEEmLj1EEEvT0_T1_SD_.kd
    .uniform_work_group_size: 1
    .uses_dynamic_stack: false
    .vgpr_count:     2
    .vgpr_spill_count: 0
    .wavefront_size: 32
  - .args:
      - .offset:         0
        .size:           56
        .value_kind:     by_value
      - .offset:         56
        .size:           4
        .value_kind:     hidden_block_count_x
      - .offset:         60
        .size:           4
        .value_kind:     hidden_block_count_y
      - .offset:         64
        .size:           4
        .value_kind:     hidden_block_count_z
      - .offset:         68
        .size:           2
        .value_kind:     hidden_group_size_x
      - .offset:         70
        .size:           2
        .value_kind:     hidden_group_size_y
      - .offset:         72
        .size:           2
        .value_kind:     hidden_group_size_z
      - .offset:         74
        .size:           2
        .value_kind:     hidden_remainder_x
      - .offset:         76
        .size:           2
        .value_kind:     hidden_remainder_y
      - .offset:         78
        .size:           2
        .value_kind:     hidden_remainder_z
      - .offset:         96
        .size:           8
        .value_kind:     hidden_global_offset_x
      - .offset:         104
        .size:           8
        .value_kind:     hidden_global_offset_y
      - .offset:         112
        .size:           8
        .value_kind:     hidden_global_offset_z
      - .offset:         120
        .size:           2
        .value_kind:     hidden_grid_dims
    .group_segment_fixed_size: 0
    .kernarg_segment_align: 8
    .kernarg_segment_size: 312
    .language:       OpenCL C
    .language_version:
      - 2
      - 0
    .max_flat_workgroup_size: 256
    .name:           _ZN7rocprim17ROCPRIM_400000_NS6detail17trampoline_kernelINS0_14default_configENS1_27lower_bound_config_selectorIilEEZNS1_14transform_implILb0ES3_S5_N6thrust23THRUST_200600_302600_NS6detail15normal_iteratorINS8_7pointerIiNS8_11hip_rocprim3tagENS8_11use_defaultESE_EEEENSA_INSB_IlSD_SE_SE_EEEEZNS1_13binary_searchIS3_S5_NSA_INSB_IiSD_RiSE_EEEESG_SI_NS1_21lower_bound_search_opENS9_16wrapped_functionINS8_7greaterIiEEbEEEE10hipError_tPvRmT1_T2_T3_mmT4_T5_P12ihipStream_tbEUlRKiE_EESS_SW_SX_mSY_S11_bEUlT_E_NS1_11comp_targetILNS1_3genE0ELNS1_11target_archE4294967295ELNS1_3gpuE0ELNS1_3repE0EEENS1_30default_config_static_selectorELNS0_4arch9wavefront6targetE0EEEvSV_
    .private_segment_fixed_size: 0
    .sgpr_count:     20
    .sgpr_spill_count: 0
    .symbol:         _ZN7rocprim17ROCPRIM_400000_NS6detail17trampoline_kernelINS0_14default_configENS1_27lower_bound_config_selectorIilEEZNS1_14transform_implILb0ES3_S5_N6thrust23THRUST_200600_302600_NS6detail15normal_iteratorINS8_7pointerIiNS8_11hip_rocprim3tagENS8_11use_defaultESE_EEEENSA_INSB_IlSD_SE_SE_EEEEZNS1_13binary_searchIS3_S5_NSA_INSB_IiSD_RiSE_EEEESG_SI_NS1_21lower_bound_search_opENS9_16wrapped_functionINS8_7greaterIiEEbEEEE10hipError_tPvRmT1_T2_T3_mmT4_T5_P12ihipStream_tbEUlRKiE_EESS_SW_SX_mSY_S11_bEUlT_E_NS1_11comp_targetILNS1_3genE0ELNS1_11target_archE4294967295ELNS1_3gpuE0ELNS1_3repE0EEENS1_30default_config_static_selectorELNS0_4arch9wavefront6targetE0EEEvSV_.kd
    .uniform_work_group_size: 1
    .uses_dynamic_stack: false
    .vgpr_count:     11
    .vgpr_spill_count: 0
    .wavefront_size: 32
  - .args:
      - .offset:         0
        .size:           56
        .value_kind:     by_value
    .group_segment_fixed_size: 0
    .kernarg_segment_align: 8
    .kernarg_segment_size: 56
    .language:       OpenCL C
    .language_version:
      - 2
      - 0
    .max_flat_workgroup_size: 256
    .name:           _ZN7rocprim17ROCPRIM_400000_NS6detail17trampoline_kernelINS0_14default_configENS1_27lower_bound_config_selectorIilEEZNS1_14transform_implILb0ES3_S5_N6thrust23THRUST_200600_302600_NS6detail15normal_iteratorINS8_7pointerIiNS8_11hip_rocprim3tagENS8_11use_defaultESE_EEEENSA_INSB_IlSD_SE_SE_EEEEZNS1_13binary_searchIS3_S5_NSA_INSB_IiSD_RiSE_EEEESG_SI_NS1_21lower_bound_search_opENS9_16wrapped_functionINS8_7greaterIiEEbEEEE10hipError_tPvRmT1_T2_T3_mmT4_T5_P12ihipStream_tbEUlRKiE_EESS_SW_SX_mSY_S11_bEUlT_E_NS1_11comp_targetILNS1_3genE5ELNS1_11target_archE942ELNS1_3gpuE9ELNS1_3repE0EEENS1_30default_config_static_selectorELNS0_4arch9wavefront6targetE0EEEvSV_
    .private_segment_fixed_size: 0
    .sgpr_count:     0
    .sgpr_spill_count: 0
    .symbol:         _ZN7rocprim17ROCPRIM_400000_NS6detail17trampoline_kernelINS0_14default_configENS1_27lower_bound_config_selectorIilEEZNS1_14transform_implILb0ES3_S5_N6thrust23THRUST_200600_302600_NS6detail15normal_iteratorINS8_7pointerIiNS8_11hip_rocprim3tagENS8_11use_defaultESE_EEEENSA_INSB_IlSD_SE_SE_EEEEZNS1_13binary_searchIS3_S5_NSA_INSB_IiSD_RiSE_EEEESG_SI_NS1_21lower_bound_search_opENS9_16wrapped_functionINS8_7greaterIiEEbEEEE10hipError_tPvRmT1_T2_T3_mmT4_T5_P12ihipStream_tbEUlRKiE_EESS_SW_SX_mSY_S11_bEUlT_E_NS1_11comp_targetILNS1_3genE5ELNS1_11target_archE942ELNS1_3gpuE9ELNS1_3repE0EEENS1_30default_config_static_selectorELNS0_4arch9wavefront6targetE0EEEvSV_.kd
    .uniform_work_group_size: 1
    .uses_dynamic_stack: false
    .vgpr_count:     0
    .vgpr_spill_count: 0
    .wavefront_size: 32
  - .args:
      - .offset:         0
        .size:           56
        .value_kind:     by_value
    .group_segment_fixed_size: 0
    .kernarg_segment_align: 8
    .kernarg_segment_size: 56
    .language:       OpenCL C
    .language_version:
      - 2
      - 0
    .max_flat_workgroup_size: 256
    .name:           _ZN7rocprim17ROCPRIM_400000_NS6detail17trampoline_kernelINS0_14default_configENS1_27lower_bound_config_selectorIilEEZNS1_14transform_implILb0ES3_S5_N6thrust23THRUST_200600_302600_NS6detail15normal_iteratorINS8_7pointerIiNS8_11hip_rocprim3tagENS8_11use_defaultESE_EEEENSA_INSB_IlSD_SE_SE_EEEEZNS1_13binary_searchIS3_S5_NSA_INSB_IiSD_RiSE_EEEESG_SI_NS1_21lower_bound_search_opENS9_16wrapped_functionINS8_7greaterIiEEbEEEE10hipError_tPvRmT1_T2_T3_mmT4_T5_P12ihipStream_tbEUlRKiE_EESS_SW_SX_mSY_S11_bEUlT_E_NS1_11comp_targetILNS1_3genE4ELNS1_11target_archE910ELNS1_3gpuE8ELNS1_3repE0EEENS1_30default_config_static_selectorELNS0_4arch9wavefront6targetE0EEEvSV_
    .private_segment_fixed_size: 0
    .sgpr_count:     0
    .sgpr_spill_count: 0
    .symbol:         _ZN7rocprim17ROCPRIM_400000_NS6detail17trampoline_kernelINS0_14default_configENS1_27lower_bound_config_selectorIilEEZNS1_14transform_implILb0ES3_S5_N6thrust23THRUST_200600_302600_NS6detail15normal_iteratorINS8_7pointerIiNS8_11hip_rocprim3tagENS8_11use_defaultESE_EEEENSA_INSB_IlSD_SE_SE_EEEEZNS1_13binary_searchIS3_S5_NSA_INSB_IiSD_RiSE_EEEESG_SI_NS1_21lower_bound_search_opENS9_16wrapped_functionINS8_7greaterIiEEbEEEE10hipError_tPvRmT1_T2_T3_mmT4_T5_P12ihipStream_tbEUlRKiE_EESS_SW_SX_mSY_S11_bEUlT_E_NS1_11comp_targetILNS1_3genE4ELNS1_11target_archE910ELNS1_3gpuE8ELNS1_3repE0EEENS1_30default_config_static_selectorELNS0_4arch9wavefront6targetE0EEEvSV_.kd
    .uniform_work_group_size: 1
    .uses_dynamic_stack: false
    .vgpr_count:     0
    .vgpr_spill_count: 0
    .wavefront_size: 32
  - .args:
      - .offset:         0
        .size:           56
        .value_kind:     by_value
    .group_segment_fixed_size: 0
    .kernarg_segment_align: 8
    .kernarg_segment_size: 56
    .language:       OpenCL C
    .language_version:
      - 2
      - 0
    .max_flat_workgroup_size: 256
    .name:           _ZN7rocprim17ROCPRIM_400000_NS6detail17trampoline_kernelINS0_14default_configENS1_27lower_bound_config_selectorIilEEZNS1_14transform_implILb0ES3_S5_N6thrust23THRUST_200600_302600_NS6detail15normal_iteratorINS8_7pointerIiNS8_11hip_rocprim3tagENS8_11use_defaultESE_EEEENSA_INSB_IlSD_SE_SE_EEEEZNS1_13binary_searchIS3_S5_NSA_INSB_IiSD_RiSE_EEEESG_SI_NS1_21lower_bound_search_opENS9_16wrapped_functionINS8_7greaterIiEEbEEEE10hipError_tPvRmT1_T2_T3_mmT4_T5_P12ihipStream_tbEUlRKiE_EESS_SW_SX_mSY_S11_bEUlT_E_NS1_11comp_targetILNS1_3genE3ELNS1_11target_archE908ELNS1_3gpuE7ELNS1_3repE0EEENS1_30default_config_static_selectorELNS0_4arch9wavefront6targetE0EEEvSV_
    .private_segment_fixed_size: 0
    .sgpr_count:     0
    .sgpr_spill_count: 0
    .symbol:         _ZN7rocprim17ROCPRIM_400000_NS6detail17trampoline_kernelINS0_14default_configENS1_27lower_bound_config_selectorIilEEZNS1_14transform_implILb0ES3_S5_N6thrust23THRUST_200600_302600_NS6detail15normal_iteratorINS8_7pointerIiNS8_11hip_rocprim3tagENS8_11use_defaultESE_EEEENSA_INSB_IlSD_SE_SE_EEEEZNS1_13binary_searchIS3_S5_NSA_INSB_IiSD_RiSE_EEEESG_SI_NS1_21lower_bound_search_opENS9_16wrapped_functionINS8_7greaterIiEEbEEEE10hipError_tPvRmT1_T2_T3_mmT4_T5_P12ihipStream_tbEUlRKiE_EESS_SW_SX_mSY_S11_bEUlT_E_NS1_11comp_targetILNS1_3genE3ELNS1_11target_archE908ELNS1_3gpuE7ELNS1_3repE0EEENS1_30default_config_static_selectorELNS0_4arch9wavefront6targetE0EEEvSV_.kd
    .uniform_work_group_size: 1
    .uses_dynamic_stack: false
    .vgpr_count:     0
    .vgpr_spill_count: 0
    .wavefront_size: 32
  - .args:
      - .offset:         0
        .size:           56
        .value_kind:     by_value
    .group_segment_fixed_size: 0
    .kernarg_segment_align: 8
    .kernarg_segment_size: 56
    .language:       OpenCL C
    .language_version:
      - 2
      - 0
    .max_flat_workgroup_size: 256
    .name:           _ZN7rocprim17ROCPRIM_400000_NS6detail17trampoline_kernelINS0_14default_configENS1_27lower_bound_config_selectorIilEEZNS1_14transform_implILb0ES3_S5_N6thrust23THRUST_200600_302600_NS6detail15normal_iteratorINS8_7pointerIiNS8_11hip_rocprim3tagENS8_11use_defaultESE_EEEENSA_INSB_IlSD_SE_SE_EEEEZNS1_13binary_searchIS3_S5_NSA_INSB_IiSD_RiSE_EEEESG_SI_NS1_21lower_bound_search_opENS9_16wrapped_functionINS8_7greaterIiEEbEEEE10hipError_tPvRmT1_T2_T3_mmT4_T5_P12ihipStream_tbEUlRKiE_EESS_SW_SX_mSY_S11_bEUlT_E_NS1_11comp_targetILNS1_3genE2ELNS1_11target_archE906ELNS1_3gpuE6ELNS1_3repE0EEENS1_30default_config_static_selectorELNS0_4arch9wavefront6targetE0EEEvSV_
    .private_segment_fixed_size: 0
    .sgpr_count:     0
    .sgpr_spill_count: 0
    .symbol:         _ZN7rocprim17ROCPRIM_400000_NS6detail17trampoline_kernelINS0_14default_configENS1_27lower_bound_config_selectorIilEEZNS1_14transform_implILb0ES3_S5_N6thrust23THRUST_200600_302600_NS6detail15normal_iteratorINS8_7pointerIiNS8_11hip_rocprim3tagENS8_11use_defaultESE_EEEENSA_INSB_IlSD_SE_SE_EEEEZNS1_13binary_searchIS3_S5_NSA_INSB_IiSD_RiSE_EEEESG_SI_NS1_21lower_bound_search_opENS9_16wrapped_functionINS8_7greaterIiEEbEEEE10hipError_tPvRmT1_T2_T3_mmT4_T5_P12ihipStream_tbEUlRKiE_EESS_SW_SX_mSY_S11_bEUlT_E_NS1_11comp_targetILNS1_3genE2ELNS1_11target_archE906ELNS1_3gpuE6ELNS1_3repE0EEENS1_30default_config_static_selectorELNS0_4arch9wavefront6targetE0EEEvSV_.kd
    .uniform_work_group_size: 1
    .uses_dynamic_stack: false
    .vgpr_count:     0
    .vgpr_spill_count: 0
    .wavefront_size: 32
  - .args:
      - .offset:         0
        .size:           56
        .value_kind:     by_value
    .group_segment_fixed_size: 0
    .kernarg_segment_align: 8
    .kernarg_segment_size: 56
    .language:       OpenCL C
    .language_version:
      - 2
      - 0
    .max_flat_workgroup_size: 128
    .name:           _ZN7rocprim17ROCPRIM_400000_NS6detail17trampoline_kernelINS0_14default_configENS1_27lower_bound_config_selectorIilEEZNS1_14transform_implILb0ES3_S5_N6thrust23THRUST_200600_302600_NS6detail15normal_iteratorINS8_7pointerIiNS8_11hip_rocprim3tagENS8_11use_defaultESE_EEEENSA_INSB_IlSD_SE_SE_EEEEZNS1_13binary_searchIS3_S5_NSA_INSB_IiSD_RiSE_EEEESG_SI_NS1_21lower_bound_search_opENS9_16wrapped_functionINS8_7greaterIiEEbEEEE10hipError_tPvRmT1_T2_T3_mmT4_T5_P12ihipStream_tbEUlRKiE_EESS_SW_SX_mSY_S11_bEUlT_E_NS1_11comp_targetILNS1_3genE10ELNS1_11target_archE1201ELNS1_3gpuE5ELNS1_3repE0EEENS1_30default_config_static_selectorELNS0_4arch9wavefront6targetE0EEEvSV_
    .private_segment_fixed_size: 0
    .sgpr_count:     0
    .sgpr_spill_count: 0
    .symbol:         _ZN7rocprim17ROCPRIM_400000_NS6detail17trampoline_kernelINS0_14default_configENS1_27lower_bound_config_selectorIilEEZNS1_14transform_implILb0ES3_S5_N6thrust23THRUST_200600_302600_NS6detail15normal_iteratorINS8_7pointerIiNS8_11hip_rocprim3tagENS8_11use_defaultESE_EEEENSA_INSB_IlSD_SE_SE_EEEEZNS1_13binary_searchIS3_S5_NSA_INSB_IiSD_RiSE_EEEESG_SI_NS1_21lower_bound_search_opENS9_16wrapped_functionINS8_7greaterIiEEbEEEE10hipError_tPvRmT1_T2_T3_mmT4_T5_P12ihipStream_tbEUlRKiE_EESS_SW_SX_mSY_S11_bEUlT_E_NS1_11comp_targetILNS1_3genE10ELNS1_11target_archE1201ELNS1_3gpuE5ELNS1_3repE0EEENS1_30default_config_static_selectorELNS0_4arch9wavefront6targetE0EEEvSV_.kd
    .uniform_work_group_size: 1
    .uses_dynamic_stack: false
    .vgpr_count:     0
    .vgpr_spill_count: 0
    .wavefront_size: 32
  - .args:
      - .offset:         0
        .size:           56
        .value_kind:     by_value
    .group_segment_fixed_size: 0
    .kernarg_segment_align: 8
    .kernarg_segment_size: 56
    .language:       OpenCL C
    .language_version:
      - 2
      - 0
    .max_flat_workgroup_size: 128
    .name:           _ZN7rocprim17ROCPRIM_400000_NS6detail17trampoline_kernelINS0_14default_configENS1_27lower_bound_config_selectorIilEEZNS1_14transform_implILb0ES3_S5_N6thrust23THRUST_200600_302600_NS6detail15normal_iteratorINS8_7pointerIiNS8_11hip_rocprim3tagENS8_11use_defaultESE_EEEENSA_INSB_IlSD_SE_SE_EEEEZNS1_13binary_searchIS3_S5_NSA_INSB_IiSD_RiSE_EEEESG_SI_NS1_21lower_bound_search_opENS9_16wrapped_functionINS8_7greaterIiEEbEEEE10hipError_tPvRmT1_T2_T3_mmT4_T5_P12ihipStream_tbEUlRKiE_EESS_SW_SX_mSY_S11_bEUlT_E_NS1_11comp_targetILNS1_3genE10ELNS1_11target_archE1200ELNS1_3gpuE4ELNS1_3repE0EEENS1_30default_config_static_selectorELNS0_4arch9wavefront6targetE0EEEvSV_
    .private_segment_fixed_size: 0
    .sgpr_count:     0
    .sgpr_spill_count: 0
    .symbol:         _ZN7rocprim17ROCPRIM_400000_NS6detail17trampoline_kernelINS0_14default_configENS1_27lower_bound_config_selectorIilEEZNS1_14transform_implILb0ES3_S5_N6thrust23THRUST_200600_302600_NS6detail15normal_iteratorINS8_7pointerIiNS8_11hip_rocprim3tagENS8_11use_defaultESE_EEEENSA_INSB_IlSD_SE_SE_EEEEZNS1_13binary_searchIS3_S5_NSA_INSB_IiSD_RiSE_EEEESG_SI_NS1_21lower_bound_search_opENS9_16wrapped_functionINS8_7greaterIiEEbEEEE10hipError_tPvRmT1_T2_T3_mmT4_T5_P12ihipStream_tbEUlRKiE_EESS_SW_SX_mSY_S11_bEUlT_E_NS1_11comp_targetILNS1_3genE10ELNS1_11target_archE1200ELNS1_3gpuE4ELNS1_3repE0EEENS1_30default_config_static_selectorELNS0_4arch9wavefront6targetE0EEEvSV_.kd
    .uniform_work_group_size: 1
    .uses_dynamic_stack: false
    .vgpr_count:     0
    .vgpr_spill_count: 0
    .wavefront_size: 32
  - .args:
      - .offset:         0
        .size:           56
        .value_kind:     by_value
    .group_segment_fixed_size: 0
    .kernarg_segment_align: 8
    .kernarg_segment_size: 56
    .language:       OpenCL C
    .language_version:
      - 2
      - 0
    .max_flat_workgroup_size: 256
    .name:           _ZN7rocprim17ROCPRIM_400000_NS6detail17trampoline_kernelINS0_14default_configENS1_27lower_bound_config_selectorIilEEZNS1_14transform_implILb0ES3_S5_N6thrust23THRUST_200600_302600_NS6detail15normal_iteratorINS8_7pointerIiNS8_11hip_rocprim3tagENS8_11use_defaultESE_EEEENSA_INSB_IlSD_SE_SE_EEEEZNS1_13binary_searchIS3_S5_NSA_INSB_IiSD_RiSE_EEEESG_SI_NS1_21lower_bound_search_opENS9_16wrapped_functionINS8_7greaterIiEEbEEEE10hipError_tPvRmT1_T2_T3_mmT4_T5_P12ihipStream_tbEUlRKiE_EESS_SW_SX_mSY_S11_bEUlT_E_NS1_11comp_targetILNS1_3genE9ELNS1_11target_archE1100ELNS1_3gpuE3ELNS1_3repE0EEENS1_30default_config_static_selectorELNS0_4arch9wavefront6targetE0EEEvSV_
    .private_segment_fixed_size: 0
    .sgpr_count:     0
    .sgpr_spill_count: 0
    .symbol:         _ZN7rocprim17ROCPRIM_400000_NS6detail17trampoline_kernelINS0_14default_configENS1_27lower_bound_config_selectorIilEEZNS1_14transform_implILb0ES3_S5_N6thrust23THRUST_200600_302600_NS6detail15normal_iteratorINS8_7pointerIiNS8_11hip_rocprim3tagENS8_11use_defaultESE_EEEENSA_INSB_IlSD_SE_SE_EEEEZNS1_13binary_searchIS3_S5_NSA_INSB_IiSD_RiSE_EEEESG_SI_NS1_21lower_bound_search_opENS9_16wrapped_functionINS8_7greaterIiEEbEEEE10hipError_tPvRmT1_T2_T3_mmT4_T5_P12ihipStream_tbEUlRKiE_EESS_SW_SX_mSY_S11_bEUlT_E_NS1_11comp_targetILNS1_3genE9ELNS1_11target_archE1100ELNS1_3gpuE3ELNS1_3repE0EEENS1_30default_config_static_selectorELNS0_4arch9wavefront6targetE0EEEvSV_.kd
    .uniform_work_group_size: 1
    .uses_dynamic_stack: false
    .vgpr_count:     0
    .vgpr_spill_count: 0
    .wavefront_size: 32
  - .args:
      - .offset:         0
        .size:           56
        .value_kind:     by_value
    .group_segment_fixed_size: 0
    .kernarg_segment_align: 8
    .kernarg_segment_size: 56
    .language:       OpenCL C
    .language_version:
      - 2
      - 0
    .max_flat_workgroup_size: 256
    .name:           _ZN7rocprim17ROCPRIM_400000_NS6detail17trampoline_kernelINS0_14default_configENS1_27lower_bound_config_selectorIilEEZNS1_14transform_implILb0ES3_S5_N6thrust23THRUST_200600_302600_NS6detail15normal_iteratorINS8_7pointerIiNS8_11hip_rocprim3tagENS8_11use_defaultESE_EEEENSA_INSB_IlSD_SE_SE_EEEEZNS1_13binary_searchIS3_S5_NSA_INSB_IiSD_RiSE_EEEESG_SI_NS1_21lower_bound_search_opENS9_16wrapped_functionINS8_7greaterIiEEbEEEE10hipError_tPvRmT1_T2_T3_mmT4_T5_P12ihipStream_tbEUlRKiE_EESS_SW_SX_mSY_S11_bEUlT_E_NS1_11comp_targetILNS1_3genE8ELNS1_11target_archE1030ELNS1_3gpuE2ELNS1_3repE0EEENS1_30default_config_static_selectorELNS0_4arch9wavefront6targetE0EEEvSV_
    .private_segment_fixed_size: 0
    .sgpr_count:     0
    .sgpr_spill_count: 0
    .symbol:         _ZN7rocprim17ROCPRIM_400000_NS6detail17trampoline_kernelINS0_14default_configENS1_27lower_bound_config_selectorIilEEZNS1_14transform_implILb0ES3_S5_N6thrust23THRUST_200600_302600_NS6detail15normal_iteratorINS8_7pointerIiNS8_11hip_rocprim3tagENS8_11use_defaultESE_EEEENSA_INSB_IlSD_SE_SE_EEEEZNS1_13binary_searchIS3_S5_NSA_INSB_IiSD_RiSE_EEEESG_SI_NS1_21lower_bound_search_opENS9_16wrapped_functionINS8_7greaterIiEEbEEEE10hipError_tPvRmT1_T2_T3_mmT4_T5_P12ihipStream_tbEUlRKiE_EESS_SW_SX_mSY_S11_bEUlT_E_NS1_11comp_targetILNS1_3genE8ELNS1_11target_archE1030ELNS1_3gpuE2ELNS1_3repE0EEENS1_30default_config_static_selectorELNS0_4arch9wavefront6targetE0EEEvSV_.kd
    .uniform_work_group_size: 1
    .uses_dynamic_stack: false
    .vgpr_count:     0
    .vgpr_spill_count: 0
    .wavefront_size: 32
  - .args:
      - .offset:         0
        .size:           56
        .value_kind:     by_value
      - .offset:         56
        .size:           4
        .value_kind:     hidden_block_count_x
      - .offset:         60
        .size:           4
        .value_kind:     hidden_block_count_y
      - .offset:         64
        .size:           4
        .value_kind:     hidden_block_count_z
      - .offset:         68
        .size:           2
        .value_kind:     hidden_group_size_x
      - .offset:         70
        .size:           2
        .value_kind:     hidden_group_size_y
      - .offset:         72
        .size:           2
        .value_kind:     hidden_group_size_z
      - .offset:         74
        .size:           2
        .value_kind:     hidden_remainder_x
      - .offset:         76
        .size:           2
        .value_kind:     hidden_remainder_y
      - .offset:         78
        .size:           2
        .value_kind:     hidden_remainder_z
      - .offset:         96
        .size:           8
        .value_kind:     hidden_global_offset_x
      - .offset:         104
        .size:           8
        .value_kind:     hidden_global_offset_y
      - .offset:         112
        .size:           8
        .value_kind:     hidden_global_offset_z
      - .offset:         120
        .size:           2
        .value_kind:     hidden_grid_dims
    .group_segment_fixed_size: 0
    .kernarg_segment_align: 8
    .kernarg_segment_size: 312
    .language:       OpenCL C
    .language_version:
      - 2
      - 0
    .max_flat_workgroup_size: 128
    .name:           _ZN7rocprim17ROCPRIM_400000_NS6detail17trampoline_kernelINS0_14default_configENS1_27upper_bound_config_selectorIalEEZNS1_14transform_implILb0ES3_S5_N6thrust23THRUST_200600_302600_NS6detail15normal_iteratorINS8_7pointerIaNS8_11hip_rocprim3tagENS8_11use_defaultESE_EEEENSA_INSB_IlSD_SE_SE_EEEEZNS1_13binary_searchIS3_S5_NSA_INS8_10device_ptrIaEEEESG_SI_NS1_21upper_bound_search_opENS9_16wrapped_functionINS8_7greaterIaEEbEEEE10hipError_tPvRmT1_T2_T3_mmT4_T5_P12ihipStream_tbEUlRKaE_EESS_SW_SX_mSY_S11_bEUlT_E_NS1_11comp_targetILNS1_3genE0ELNS1_11target_archE4294967295ELNS1_3gpuE0ELNS1_3repE0EEENS1_30default_config_static_selectorELNS0_4arch9wavefront6targetE0EEEvSV_
    .private_segment_fixed_size: 0
    .sgpr_count:     21
    .sgpr_spill_count: 0
    .symbol:         _ZN7rocprim17ROCPRIM_400000_NS6detail17trampoline_kernelINS0_14default_configENS1_27upper_bound_config_selectorIalEEZNS1_14transform_implILb0ES3_S5_N6thrust23THRUST_200600_302600_NS6detail15normal_iteratorINS8_7pointerIaNS8_11hip_rocprim3tagENS8_11use_defaultESE_EEEENSA_INSB_IlSD_SE_SE_EEEEZNS1_13binary_searchIS3_S5_NSA_INS8_10device_ptrIaEEEESG_SI_NS1_21upper_bound_search_opENS9_16wrapped_functionINS8_7greaterIaEEbEEEE10hipError_tPvRmT1_T2_T3_mmT4_T5_P12ihipStream_tbEUlRKaE_EESS_SW_SX_mSY_S11_bEUlT_E_NS1_11comp_targetILNS1_3genE0ELNS1_11target_archE4294967295ELNS1_3gpuE0ELNS1_3repE0EEENS1_30default_config_static_selectorELNS0_4arch9wavefront6targetE0EEEvSV_.kd
    .uniform_work_group_size: 1
    .uses_dynamic_stack: false
    .vgpr_count:     11
    .vgpr_spill_count: 0
    .wavefront_size: 32
  - .args:
      - .offset:         0
        .size:           56
        .value_kind:     by_value
    .group_segment_fixed_size: 0
    .kernarg_segment_align: 8
    .kernarg_segment_size: 56
    .language:       OpenCL C
    .language_version:
      - 2
      - 0
    .max_flat_workgroup_size: 128
    .name:           _ZN7rocprim17ROCPRIM_400000_NS6detail17trampoline_kernelINS0_14default_configENS1_27upper_bound_config_selectorIalEEZNS1_14transform_implILb0ES3_S5_N6thrust23THRUST_200600_302600_NS6detail15normal_iteratorINS8_7pointerIaNS8_11hip_rocprim3tagENS8_11use_defaultESE_EEEENSA_INSB_IlSD_SE_SE_EEEEZNS1_13binary_searchIS3_S5_NSA_INS8_10device_ptrIaEEEESG_SI_NS1_21upper_bound_search_opENS9_16wrapped_functionINS8_7greaterIaEEbEEEE10hipError_tPvRmT1_T2_T3_mmT4_T5_P12ihipStream_tbEUlRKaE_EESS_SW_SX_mSY_S11_bEUlT_E_NS1_11comp_targetILNS1_3genE5ELNS1_11target_archE942ELNS1_3gpuE9ELNS1_3repE0EEENS1_30default_config_static_selectorELNS0_4arch9wavefront6targetE0EEEvSV_
    .private_segment_fixed_size: 0
    .sgpr_count:     0
    .sgpr_spill_count: 0
    .symbol:         _ZN7rocprim17ROCPRIM_400000_NS6detail17trampoline_kernelINS0_14default_configENS1_27upper_bound_config_selectorIalEEZNS1_14transform_implILb0ES3_S5_N6thrust23THRUST_200600_302600_NS6detail15normal_iteratorINS8_7pointerIaNS8_11hip_rocprim3tagENS8_11use_defaultESE_EEEENSA_INSB_IlSD_SE_SE_EEEEZNS1_13binary_searchIS3_S5_NSA_INS8_10device_ptrIaEEEESG_SI_NS1_21upper_bound_search_opENS9_16wrapped_functionINS8_7greaterIaEEbEEEE10hipError_tPvRmT1_T2_T3_mmT4_T5_P12ihipStream_tbEUlRKaE_EESS_SW_SX_mSY_S11_bEUlT_E_NS1_11comp_targetILNS1_3genE5ELNS1_11target_archE942ELNS1_3gpuE9ELNS1_3repE0EEENS1_30default_config_static_selectorELNS0_4arch9wavefront6targetE0EEEvSV_.kd
    .uniform_work_group_size: 1
    .uses_dynamic_stack: false
    .vgpr_count:     0
    .vgpr_spill_count: 0
    .wavefront_size: 32
  - .args:
      - .offset:         0
        .size:           56
        .value_kind:     by_value
    .group_segment_fixed_size: 0
    .kernarg_segment_align: 8
    .kernarg_segment_size: 56
    .language:       OpenCL C
    .language_version:
      - 2
      - 0
    .max_flat_workgroup_size: 256
    .name:           _ZN7rocprim17ROCPRIM_400000_NS6detail17trampoline_kernelINS0_14default_configENS1_27upper_bound_config_selectorIalEEZNS1_14transform_implILb0ES3_S5_N6thrust23THRUST_200600_302600_NS6detail15normal_iteratorINS8_7pointerIaNS8_11hip_rocprim3tagENS8_11use_defaultESE_EEEENSA_INSB_IlSD_SE_SE_EEEEZNS1_13binary_searchIS3_S5_NSA_INS8_10device_ptrIaEEEESG_SI_NS1_21upper_bound_search_opENS9_16wrapped_functionINS8_7greaterIaEEbEEEE10hipError_tPvRmT1_T2_T3_mmT4_T5_P12ihipStream_tbEUlRKaE_EESS_SW_SX_mSY_S11_bEUlT_E_NS1_11comp_targetILNS1_3genE4ELNS1_11target_archE910ELNS1_3gpuE8ELNS1_3repE0EEENS1_30default_config_static_selectorELNS0_4arch9wavefront6targetE0EEEvSV_
    .private_segment_fixed_size: 0
    .sgpr_count:     0
    .sgpr_spill_count: 0
    .symbol:         _ZN7rocprim17ROCPRIM_400000_NS6detail17trampoline_kernelINS0_14default_configENS1_27upper_bound_config_selectorIalEEZNS1_14transform_implILb0ES3_S5_N6thrust23THRUST_200600_302600_NS6detail15normal_iteratorINS8_7pointerIaNS8_11hip_rocprim3tagENS8_11use_defaultESE_EEEENSA_INSB_IlSD_SE_SE_EEEEZNS1_13binary_searchIS3_S5_NSA_INS8_10device_ptrIaEEEESG_SI_NS1_21upper_bound_search_opENS9_16wrapped_functionINS8_7greaterIaEEbEEEE10hipError_tPvRmT1_T2_T3_mmT4_T5_P12ihipStream_tbEUlRKaE_EESS_SW_SX_mSY_S11_bEUlT_E_NS1_11comp_targetILNS1_3genE4ELNS1_11target_archE910ELNS1_3gpuE8ELNS1_3repE0EEENS1_30default_config_static_selectorELNS0_4arch9wavefront6targetE0EEEvSV_.kd
    .uniform_work_group_size: 1
    .uses_dynamic_stack: false
    .vgpr_count:     0
    .vgpr_spill_count: 0
    .wavefront_size: 32
  - .args:
      - .offset:         0
        .size:           56
        .value_kind:     by_value
    .group_segment_fixed_size: 0
    .kernarg_segment_align: 8
    .kernarg_segment_size: 56
    .language:       OpenCL C
    .language_version:
      - 2
      - 0
    .max_flat_workgroup_size: 128
    .name:           _ZN7rocprim17ROCPRIM_400000_NS6detail17trampoline_kernelINS0_14default_configENS1_27upper_bound_config_selectorIalEEZNS1_14transform_implILb0ES3_S5_N6thrust23THRUST_200600_302600_NS6detail15normal_iteratorINS8_7pointerIaNS8_11hip_rocprim3tagENS8_11use_defaultESE_EEEENSA_INSB_IlSD_SE_SE_EEEEZNS1_13binary_searchIS3_S5_NSA_INS8_10device_ptrIaEEEESG_SI_NS1_21upper_bound_search_opENS9_16wrapped_functionINS8_7greaterIaEEbEEEE10hipError_tPvRmT1_T2_T3_mmT4_T5_P12ihipStream_tbEUlRKaE_EESS_SW_SX_mSY_S11_bEUlT_E_NS1_11comp_targetILNS1_3genE3ELNS1_11target_archE908ELNS1_3gpuE7ELNS1_3repE0EEENS1_30default_config_static_selectorELNS0_4arch9wavefront6targetE0EEEvSV_
    .private_segment_fixed_size: 0
    .sgpr_count:     0
    .sgpr_spill_count: 0
    .symbol:         _ZN7rocprim17ROCPRIM_400000_NS6detail17trampoline_kernelINS0_14default_configENS1_27upper_bound_config_selectorIalEEZNS1_14transform_implILb0ES3_S5_N6thrust23THRUST_200600_302600_NS6detail15normal_iteratorINS8_7pointerIaNS8_11hip_rocprim3tagENS8_11use_defaultESE_EEEENSA_INSB_IlSD_SE_SE_EEEEZNS1_13binary_searchIS3_S5_NSA_INS8_10device_ptrIaEEEESG_SI_NS1_21upper_bound_search_opENS9_16wrapped_functionINS8_7greaterIaEEbEEEE10hipError_tPvRmT1_T2_T3_mmT4_T5_P12ihipStream_tbEUlRKaE_EESS_SW_SX_mSY_S11_bEUlT_E_NS1_11comp_targetILNS1_3genE3ELNS1_11target_archE908ELNS1_3gpuE7ELNS1_3repE0EEENS1_30default_config_static_selectorELNS0_4arch9wavefront6targetE0EEEvSV_.kd
    .uniform_work_group_size: 1
    .uses_dynamic_stack: false
    .vgpr_count:     0
    .vgpr_spill_count: 0
    .wavefront_size: 32
  - .args:
      - .offset:         0
        .size:           56
        .value_kind:     by_value
    .group_segment_fixed_size: 0
    .kernarg_segment_align: 8
    .kernarg_segment_size: 56
    .language:       OpenCL C
    .language_version:
      - 2
      - 0
    .max_flat_workgroup_size: 256
    .name:           _ZN7rocprim17ROCPRIM_400000_NS6detail17trampoline_kernelINS0_14default_configENS1_27upper_bound_config_selectorIalEEZNS1_14transform_implILb0ES3_S5_N6thrust23THRUST_200600_302600_NS6detail15normal_iteratorINS8_7pointerIaNS8_11hip_rocprim3tagENS8_11use_defaultESE_EEEENSA_INSB_IlSD_SE_SE_EEEEZNS1_13binary_searchIS3_S5_NSA_INS8_10device_ptrIaEEEESG_SI_NS1_21upper_bound_search_opENS9_16wrapped_functionINS8_7greaterIaEEbEEEE10hipError_tPvRmT1_T2_T3_mmT4_T5_P12ihipStream_tbEUlRKaE_EESS_SW_SX_mSY_S11_bEUlT_E_NS1_11comp_targetILNS1_3genE2ELNS1_11target_archE906ELNS1_3gpuE6ELNS1_3repE0EEENS1_30default_config_static_selectorELNS0_4arch9wavefront6targetE0EEEvSV_
    .private_segment_fixed_size: 0
    .sgpr_count:     0
    .sgpr_spill_count: 0
    .symbol:         _ZN7rocprim17ROCPRIM_400000_NS6detail17trampoline_kernelINS0_14default_configENS1_27upper_bound_config_selectorIalEEZNS1_14transform_implILb0ES3_S5_N6thrust23THRUST_200600_302600_NS6detail15normal_iteratorINS8_7pointerIaNS8_11hip_rocprim3tagENS8_11use_defaultESE_EEEENSA_INSB_IlSD_SE_SE_EEEEZNS1_13binary_searchIS3_S5_NSA_INS8_10device_ptrIaEEEESG_SI_NS1_21upper_bound_search_opENS9_16wrapped_functionINS8_7greaterIaEEbEEEE10hipError_tPvRmT1_T2_T3_mmT4_T5_P12ihipStream_tbEUlRKaE_EESS_SW_SX_mSY_S11_bEUlT_E_NS1_11comp_targetILNS1_3genE2ELNS1_11target_archE906ELNS1_3gpuE6ELNS1_3repE0EEENS1_30default_config_static_selectorELNS0_4arch9wavefront6targetE0EEEvSV_.kd
    .uniform_work_group_size: 1
    .uses_dynamic_stack: false
    .vgpr_count:     0
    .vgpr_spill_count: 0
    .wavefront_size: 32
  - .args:
      - .offset:         0
        .size:           56
        .value_kind:     by_value
    .group_segment_fixed_size: 0
    .kernarg_segment_align: 8
    .kernarg_segment_size: 56
    .language:       OpenCL C
    .language_version:
      - 2
      - 0
    .max_flat_workgroup_size: 128
    .name:           _ZN7rocprim17ROCPRIM_400000_NS6detail17trampoline_kernelINS0_14default_configENS1_27upper_bound_config_selectorIalEEZNS1_14transform_implILb0ES3_S5_N6thrust23THRUST_200600_302600_NS6detail15normal_iteratorINS8_7pointerIaNS8_11hip_rocprim3tagENS8_11use_defaultESE_EEEENSA_INSB_IlSD_SE_SE_EEEEZNS1_13binary_searchIS3_S5_NSA_INS8_10device_ptrIaEEEESG_SI_NS1_21upper_bound_search_opENS9_16wrapped_functionINS8_7greaterIaEEbEEEE10hipError_tPvRmT1_T2_T3_mmT4_T5_P12ihipStream_tbEUlRKaE_EESS_SW_SX_mSY_S11_bEUlT_E_NS1_11comp_targetILNS1_3genE10ELNS1_11target_archE1201ELNS1_3gpuE5ELNS1_3repE0EEENS1_30default_config_static_selectorELNS0_4arch9wavefront6targetE0EEEvSV_
    .private_segment_fixed_size: 0
    .sgpr_count:     0
    .sgpr_spill_count: 0
    .symbol:         _ZN7rocprim17ROCPRIM_400000_NS6detail17trampoline_kernelINS0_14default_configENS1_27upper_bound_config_selectorIalEEZNS1_14transform_implILb0ES3_S5_N6thrust23THRUST_200600_302600_NS6detail15normal_iteratorINS8_7pointerIaNS8_11hip_rocprim3tagENS8_11use_defaultESE_EEEENSA_INSB_IlSD_SE_SE_EEEEZNS1_13binary_searchIS3_S5_NSA_INS8_10device_ptrIaEEEESG_SI_NS1_21upper_bound_search_opENS9_16wrapped_functionINS8_7greaterIaEEbEEEE10hipError_tPvRmT1_T2_T3_mmT4_T5_P12ihipStream_tbEUlRKaE_EESS_SW_SX_mSY_S11_bEUlT_E_NS1_11comp_targetILNS1_3genE10ELNS1_11target_archE1201ELNS1_3gpuE5ELNS1_3repE0EEENS1_30default_config_static_selectorELNS0_4arch9wavefront6targetE0EEEvSV_.kd
    .uniform_work_group_size: 1
    .uses_dynamic_stack: false
    .vgpr_count:     0
    .vgpr_spill_count: 0
    .wavefront_size: 32
  - .args:
      - .offset:         0
        .size:           56
        .value_kind:     by_value
    .group_segment_fixed_size: 0
    .kernarg_segment_align: 8
    .kernarg_segment_size: 56
    .language:       OpenCL C
    .language_version:
      - 2
      - 0
    .max_flat_workgroup_size: 256
    .name:           _ZN7rocprim17ROCPRIM_400000_NS6detail17trampoline_kernelINS0_14default_configENS1_27upper_bound_config_selectorIalEEZNS1_14transform_implILb0ES3_S5_N6thrust23THRUST_200600_302600_NS6detail15normal_iteratorINS8_7pointerIaNS8_11hip_rocprim3tagENS8_11use_defaultESE_EEEENSA_INSB_IlSD_SE_SE_EEEEZNS1_13binary_searchIS3_S5_NSA_INS8_10device_ptrIaEEEESG_SI_NS1_21upper_bound_search_opENS9_16wrapped_functionINS8_7greaterIaEEbEEEE10hipError_tPvRmT1_T2_T3_mmT4_T5_P12ihipStream_tbEUlRKaE_EESS_SW_SX_mSY_S11_bEUlT_E_NS1_11comp_targetILNS1_3genE10ELNS1_11target_archE1200ELNS1_3gpuE4ELNS1_3repE0EEENS1_30default_config_static_selectorELNS0_4arch9wavefront6targetE0EEEvSV_
    .private_segment_fixed_size: 0
    .sgpr_count:     0
    .sgpr_spill_count: 0
    .symbol:         _ZN7rocprim17ROCPRIM_400000_NS6detail17trampoline_kernelINS0_14default_configENS1_27upper_bound_config_selectorIalEEZNS1_14transform_implILb0ES3_S5_N6thrust23THRUST_200600_302600_NS6detail15normal_iteratorINS8_7pointerIaNS8_11hip_rocprim3tagENS8_11use_defaultESE_EEEENSA_INSB_IlSD_SE_SE_EEEEZNS1_13binary_searchIS3_S5_NSA_INS8_10device_ptrIaEEEESG_SI_NS1_21upper_bound_search_opENS9_16wrapped_functionINS8_7greaterIaEEbEEEE10hipError_tPvRmT1_T2_T3_mmT4_T5_P12ihipStream_tbEUlRKaE_EESS_SW_SX_mSY_S11_bEUlT_E_NS1_11comp_targetILNS1_3genE10ELNS1_11target_archE1200ELNS1_3gpuE4ELNS1_3repE0EEENS1_30default_config_static_selectorELNS0_4arch9wavefront6targetE0EEEvSV_.kd
    .uniform_work_group_size: 1
    .uses_dynamic_stack: false
    .vgpr_count:     0
    .vgpr_spill_count: 0
    .wavefront_size: 32
  - .args:
      - .offset:         0
        .size:           56
        .value_kind:     by_value
    .group_segment_fixed_size: 0
    .kernarg_segment_align: 8
    .kernarg_segment_size: 56
    .language:       OpenCL C
    .language_version:
      - 2
      - 0
    .max_flat_workgroup_size: 64
    .name:           _ZN7rocprim17ROCPRIM_400000_NS6detail17trampoline_kernelINS0_14default_configENS1_27upper_bound_config_selectorIalEEZNS1_14transform_implILb0ES3_S5_N6thrust23THRUST_200600_302600_NS6detail15normal_iteratorINS8_7pointerIaNS8_11hip_rocprim3tagENS8_11use_defaultESE_EEEENSA_INSB_IlSD_SE_SE_EEEEZNS1_13binary_searchIS3_S5_NSA_INS8_10device_ptrIaEEEESG_SI_NS1_21upper_bound_search_opENS9_16wrapped_functionINS8_7greaterIaEEbEEEE10hipError_tPvRmT1_T2_T3_mmT4_T5_P12ihipStream_tbEUlRKaE_EESS_SW_SX_mSY_S11_bEUlT_E_NS1_11comp_targetILNS1_3genE9ELNS1_11target_archE1100ELNS1_3gpuE3ELNS1_3repE0EEENS1_30default_config_static_selectorELNS0_4arch9wavefront6targetE0EEEvSV_
    .private_segment_fixed_size: 0
    .sgpr_count:     0
    .sgpr_spill_count: 0
    .symbol:         _ZN7rocprim17ROCPRIM_400000_NS6detail17trampoline_kernelINS0_14default_configENS1_27upper_bound_config_selectorIalEEZNS1_14transform_implILb0ES3_S5_N6thrust23THRUST_200600_302600_NS6detail15normal_iteratorINS8_7pointerIaNS8_11hip_rocprim3tagENS8_11use_defaultESE_EEEENSA_INSB_IlSD_SE_SE_EEEEZNS1_13binary_searchIS3_S5_NSA_INS8_10device_ptrIaEEEESG_SI_NS1_21upper_bound_search_opENS9_16wrapped_functionINS8_7greaterIaEEbEEEE10hipError_tPvRmT1_T2_T3_mmT4_T5_P12ihipStream_tbEUlRKaE_EESS_SW_SX_mSY_S11_bEUlT_E_NS1_11comp_targetILNS1_3genE9ELNS1_11target_archE1100ELNS1_3gpuE3ELNS1_3repE0EEENS1_30default_config_static_selectorELNS0_4arch9wavefront6targetE0EEEvSV_.kd
    .uniform_work_group_size: 1
    .uses_dynamic_stack: false
    .vgpr_count:     0
    .vgpr_spill_count: 0
    .wavefront_size: 32
  - .args:
      - .offset:         0
        .size:           56
        .value_kind:     by_value
    .group_segment_fixed_size: 0
    .kernarg_segment_align: 8
    .kernarg_segment_size: 56
    .language:       OpenCL C
    .language_version:
      - 2
      - 0
    .max_flat_workgroup_size: 128
    .name:           _ZN7rocprim17ROCPRIM_400000_NS6detail17trampoline_kernelINS0_14default_configENS1_27upper_bound_config_selectorIalEEZNS1_14transform_implILb0ES3_S5_N6thrust23THRUST_200600_302600_NS6detail15normal_iteratorINS8_7pointerIaNS8_11hip_rocprim3tagENS8_11use_defaultESE_EEEENSA_INSB_IlSD_SE_SE_EEEEZNS1_13binary_searchIS3_S5_NSA_INS8_10device_ptrIaEEEESG_SI_NS1_21upper_bound_search_opENS9_16wrapped_functionINS8_7greaterIaEEbEEEE10hipError_tPvRmT1_T2_T3_mmT4_T5_P12ihipStream_tbEUlRKaE_EESS_SW_SX_mSY_S11_bEUlT_E_NS1_11comp_targetILNS1_3genE8ELNS1_11target_archE1030ELNS1_3gpuE2ELNS1_3repE0EEENS1_30default_config_static_selectorELNS0_4arch9wavefront6targetE0EEEvSV_
    .private_segment_fixed_size: 0
    .sgpr_count:     0
    .sgpr_spill_count: 0
    .symbol:         _ZN7rocprim17ROCPRIM_400000_NS6detail17trampoline_kernelINS0_14default_configENS1_27upper_bound_config_selectorIalEEZNS1_14transform_implILb0ES3_S5_N6thrust23THRUST_200600_302600_NS6detail15normal_iteratorINS8_7pointerIaNS8_11hip_rocprim3tagENS8_11use_defaultESE_EEEENSA_INSB_IlSD_SE_SE_EEEEZNS1_13binary_searchIS3_S5_NSA_INS8_10device_ptrIaEEEESG_SI_NS1_21upper_bound_search_opENS9_16wrapped_functionINS8_7greaterIaEEbEEEE10hipError_tPvRmT1_T2_T3_mmT4_T5_P12ihipStream_tbEUlRKaE_EESS_SW_SX_mSY_S11_bEUlT_E_NS1_11comp_targetILNS1_3genE8ELNS1_11target_archE1030ELNS1_3gpuE2ELNS1_3repE0EEENS1_30default_config_static_selectorELNS0_4arch9wavefront6targetE0EEEvSV_.kd
    .uniform_work_group_size: 1
    .uses_dynamic_stack: false
    .vgpr_count:     0
    .vgpr_spill_count: 0
    .wavefront_size: 32
  - .args:
      - .offset:         0
        .size:           56
        .value_kind:     by_value
      - .offset:         56
        .size:           4
        .value_kind:     hidden_block_count_x
      - .offset:         60
        .size:           4
        .value_kind:     hidden_block_count_y
      - .offset:         64
        .size:           4
        .value_kind:     hidden_block_count_z
      - .offset:         68
        .size:           2
        .value_kind:     hidden_group_size_x
      - .offset:         70
        .size:           2
        .value_kind:     hidden_group_size_y
      - .offset:         72
        .size:           2
        .value_kind:     hidden_group_size_z
      - .offset:         74
        .size:           2
        .value_kind:     hidden_remainder_x
      - .offset:         76
        .size:           2
        .value_kind:     hidden_remainder_y
      - .offset:         78
        .size:           2
        .value_kind:     hidden_remainder_z
      - .offset:         96
        .size:           8
        .value_kind:     hidden_global_offset_x
      - .offset:         104
        .size:           8
        .value_kind:     hidden_global_offset_y
      - .offset:         112
        .size:           8
        .value_kind:     hidden_global_offset_z
      - .offset:         120
        .size:           2
        .value_kind:     hidden_grid_dims
    .group_segment_fixed_size: 0
    .kernarg_segment_align: 8
    .kernarg_segment_size: 312
    .language:       OpenCL C
    .language_version:
      - 2
      - 0
    .max_flat_workgroup_size: 128
    .name:           _ZN7rocprim17ROCPRIM_400000_NS6detail17trampoline_kernelINS0_14default_configENS1_27upper_bound_config_selectorIslEEZNS1_14transform_implILb0ES3_S5_N6thrust23THRUST_200600_302600_NS6detail15normal_iteratorINS8_7pointerIsNS8_11hip_rocprim3tagENS8_11use_defaultESE_EEEENSA_INSB_IlSD_SE_SE_EEEEZNS1_13binary_searchIS3_S5_NSA_INS8_10device_ptrIsEEEESG_SI_NS1_21upper_bound_search_opENS9_16wrapped_functionINS8_7greaterIsEEbEEEE10hipError_tPvRmT1_T2_T3_mmT4_T5_P12ihipStream_tbEUlRKsE_EESS_SW_SX_mSY_S11_bEUlT_E_NS1_11comp_targetILNS1_3genE0ELNS1_11target_archE4294967295ELNS1_3gpuE0ELNS1_3repE0EEENS1_30default_config_static_selectorELNS0_4arch9wavefront6targetE0EEEvSV_
    .private_segment_fixed_size: 0
    .sgpr_count:     20
    .sgpr_spill_count: 0
    .symbol:         _ZN7rocprim17ROCPRIM_400000_NS6detail17trampoline_kernelINS0_14default_configENS1_27upper_bound_config_selectorIslEEZNS1_14transform_implILb0ES3_S5_N6thrust23THRUST_200600_302600_NS6detail15normal_iteratorINS8_7pointerIsNS8_11hip_rocprim3tagENS8_11use_defaultESE_EEEENSA_INSB_IlSD_SE_SE_EEEEZNS1_13binary_searchIS3_S5_NSA_INS8_10device_ptrIsEEEESG_SI_NS1_21upper_bound_search_opENS9_16wrapped_functionINS8_7greaterIsEEbEEEE10hipError_tPvRmT1_T2_T3_mmT4_T5_P12ihipStream_tbEUlRKsE_EESS_SW_SX_mSY_S11_bEUlT_E_NS1_11comp_targetILNS1_3genE0ELNS1_11target_archE4294967295ELNS1_3gpuE0ELNS1_3repE0EEENS1_30default_config_static_selectorELNS0_4arch9wavefront6targetE0EEEvSV_.kd
    .uniform_work_group_size: 1
    .uses_dynamic_stack: false
    .vgpr_count:     11
    .vgpr_spill_count: 0
    .wavefront_size: 32
  - .args:
      - .offset:         0
        .size:           56
        .value_kind:     by_value
    .group_segment_fixed_size: 0
    .kernarg_segment_align: 8
    .kernarg_segment_size: 56
    .language:       OpenCL C
    .language_version:
      - 2
      - 0
    .max_flat_workgroup_size: 256
    .name:           _ZN7rocprim17ROCPRIM_400000_NS6detail17trampoline_kernelINS0_14default_configENS1_27upper_bound_config_selectorIslEEZNS1_14transform_implILb0ES3_S5_N6thrust23THRUST_200600_302600_NS6detail15normal_iteratorINS8_7pointerIsNS8_11hip_rocprim3tagENS8_11use_defaultESE_EEEENSA_INSB_IlSD_SE_SE_EEEEZNS1_13binary_searchIS3_S5_NSA_INS8_10device_ptrIsEEEESG_SI_NS1_21upper_bound_search_opENS9_16wrapped_functionINS8_7greaterIsEEbEEEE10hipError_tPvRmT1_T2_T3_mmT4_T5_P12ihipStream_tbEUlRKsE_EESS_SW_SX_mSY_S11_bEUlT_E_NS1_11comp_targetILNS1_3genE5ELNS1_11target_archE942ELNS1_3gpuE9ELNS1_3repE0EEENS1_30default_config_static_selectorELNS0_4arch9wavefront6targetE0EEEvSV_
    .private_segment_fixed_size: 0
    .sgpr_count:     0
    .sgpr_spill_count: 0
    .symbol:         _ZN7rocprim17ROCPRIM_400000_NS6detail17trampoline_kernelINS0_14default_configENS1_27upper_bound_config_selectorIslEEZNS1_14transform_implILb0ES3_S5_N6thrust23THRUST_200600_302600_NS6detail15normal_iteratorINS8_7pointerIsNS8_11hip_rocprim3tagENS8_11use_defaultESE_EEEENSA_INSB_IlSD_SE_SE_EEEEZNS1_13binary_searchIS3_S5_NSA_INS8_10device_ptrIsEEEESG_SI_NS1_21upper_bound_search_opENS9_16wrapped_functionINS8_7greaterIsEEbEEEE10hipError_tPvRmT1_T2_T3_mmT4_T5_P12ihipStream_tbEUlRKsE_EESS_SW_SX_mSY_S11_bEUlT_E_NS1_11comp_targetILNS1_3genE5ELNS1_11target_archE942ELNS1_3gpuE9ELNS1_3repE0EEENS1_30default_config_static_selectorELNS0_4arch9wavefront6targetE0EEEvSV_.kd
    .uniform_work_group_size: 1
    .uses_dynamic_stack: false
    .vgpr_count:     0
    .vgpr_spill_count: 0
    .wavefront_size: 32
  - .args:
      - .offset:         0
        .size:           56
        .value_kind:     by_value
    .group_segment_fixed_size: 0
    .kernarg_segment_align: 8
    .kernarg_segment_size: 56
    .language:       OpenCL C
    .language_version:
      - 2
      - 0
    .max_flat_workgroup_size: 256
    .name:           _ZN7rocprim17ROCPRIM_400000_NS6detail17trampoline_kernelINS0_14default_configENS1_27upper_bound_config_selectorIslEEZNS1_14transform_implILb0ES3_S5_N6thrust23THRUST_200600_302600_NS6detail15normal_iteratorINS8_7pointerIsNS8_11hip_rocprim3tagENS8_11use_defaultESE_EEEENSA_INSB_IlSD_SE_SE_EEEEZNS1_13binary_searchIS3_S5_NSA_INS8_10device_ptrIsEEEESG_SI_NS1_21upper_bound_search_opENS9_16wrapped_functionINS8_7greaterIsEEbEEEE10hipError_tPvRmT1_T2_T3_mmT4_T5_P12ihipStream_tbEUlRKsE_EESS_SW_SX_mSY_S11_bEUlT_E_NS1_11comp_targetILNS1_3genE4ELNS1_11target_archE910ELNS1_3gpuE8ELNS1_3repE0EEENS1_30default_config_static_selectorELNS0_4arch9wavefront6targetE0EEEvSV_
    .private_segment_fixed_size: 0
    .sgpr_count:     0
    .sgpr_spill_count: 0
    .symbol:         _ZN7rocprim17ROCPRIM_400000_NS6detail17trampoline_kernelINS0_14default_configENS1_27upper_bound_config_selectorIslEEZNS1_14transform_implILb0ES3_S5_N6thrust23THRUST_200600_302600_NS6detail15normal_iteratorINS8_7pointerIsNS8_11hip_rocprim3tagENS8_11use_defaultESE_EEEENSA_INSB_IlSD_SE_SE_EEEEZNS1_13binary_searchIS3_S5_NSA_INS8_10device_ptrIsEEEESG_SI_NS1_21upper_bound_search_opENS9_16wrapped_functionINS8_7greaterIsEEbEEEE10hipError_tPvRmT1_T2_T3_mmT4_T5_P12ihipStream_tbEUlRKsE_EESS_SW_SX_mSY_S11_bEUlT_E_NS1_11comp_targetILNS1_3genE4ELNS1_11target_archE910ELNS1_3gpuE8ELNS1_3repE0EEENS1_30default_config_static_selectorELNS0_4arch9wavefront6targetE0EEEvSV_.kd
    .uniform_work_group_size: 1
    .uses_dynamic_stack: false
    .vgpr_count:     0
    .vgpr_spill_count: 0
    .wavefront_size: 32
  - .args:
      - .offset:         0
        .size:           56
        .value_kind:     by_value
    .group_segment_fixed_size: 0
    .kernarg_segment_align: 8
    .kernarg_segment_size: 56
    .language:       OpenCL C
    .language_version:
      - 2
      - 0
    .max_flat_workgroup_size: 128
    .name:           _ZN7rocprim17ROCPRIM_400000_NS6detail17trampoline_kernelINS0_14default_configENS1_27upper_bound_config_selectorIslEEZNS1_14transform_implILb0ES3_S5_N6thrust23THRUST_200600_302600_NS6detail15normal_iteratorINS8_7pointerIsNS8_11hip_rocprim3tagENS8_11use_defaultESE_EEEENSA_INSB_IlSD_SE_SE_EEEEZNS1_13binary_searchIS3_S5_NSA_INS8_10device_ptrIsEEEESG_SI_NS1_21upper_bound_search_opENS9_16wrapped_functionINS8_7greaterIsEEbEEEE10hipError_tPvRmT1_T2_T3_mmT4_T5_P12ihipStream_tbEUlRKsE_EESS_SW_SX_mSY_S11_bEUlT_E_NS1_11comp_targetILNS1_3genE3ELNS1_11target_archE908ELNS1_3gpuE7ELNS1_3repE0EEENS1_30default_config_static_selectorELNS0_4arch9wavefront6targetE0EEEvSV_
    .private_segment_fixed_size: 0
    .sgpr_count:     0
    .sgpr_spill_count: 0
    .symbol:         _ZN7rocprim17ROCPRIM_400000_NS6detail17trampoline_kernelINS0_14default_configENS1_27upper_bound_config_selectorIslEEZNS1_14transform_implILb0ES3_S5_N6thrust23THRUST_200600_302600_NS6detail15normal_iteratorINS8_7pointerIsNS8_11hip_rocprim3tagENS8_11use_defaultESE_EEEENSA_INSB_IlSD_SE_SE_EEEEZNS1_13binary_searchIS3_S5_NSA_INS8_10device_ptrIsEEEESG_SI_NS1_21upper_bound_search_opENS9_16wrapped_functionINS8_7greaterIsEEbEEEE10hipError_tPvRmT1_T2_T3_mmT4_T5_P12ihipStream_tbEUlRKsE_EESS_SW_SX_mSY_S11_bEUlT_E_NS1_11comp_targetILNS1_3genE3ELNS1_11target_archE908ELNS1_3gpuE7ELNS1_3repE0EEENS1_30default_config_static_selectorELNS0_4arch9wavefront6targetE0EEEvSV_.kd
    .uniform_work_group_size: 1
    .uses_dynamic_stack: false
    .vgpr_count:     0
    .vgpr_spill_count: 0
    .wavefront_size: 32
  - .args:
      - .offset:         0
        .size:           56
        .value_kind:     by_value
    .group_segment_fixed_size: 0
    .kernarg_segment_align: 8
    .kernarg_segment_size: 56
    .language:       OpenCL C
    .language_version:
      - 2
      - 0
    .max_flat_workgroup_size: 256
    .name:           _ZN7rocprim17ROCPRIM_400000_NS6detail17trampoline_kernelINS0_14default_configENS1_27upper_bound_config_selectorIslEEZNS1_14transform_implILb0ES3_S5_N6thrust23THRUST_200600_302600_NS6detail15normal_iteratorINS8_7pointerIsNS8_11hip_rocprim3tagENS8_11use_defaultESE_EEEENSA_INSB_IlSD_SE_SE_EEEEZNS1_13binary_searchIS3_S5_NSA_INS8_10device_ptrIsEEEESG_SI_NS1_21upper_bound_search_opENS9_16wrapped_functionINS8_7greaterIsEEbEEEE10hipError_tPvRmT1_T2_T3_mmT4_T5_P12ihipStream_tbEUlRKsE_EESS_SW_SX_mSY_S11_bEUlT_E_NS1_11comp_targetILNS1_3genE2ELNS1_11target_archE906ELNS1_3gpuE6ELNS1_3repE0EEENS1_30default_config_static_selectorELNS0_4arch9wavefront6targetE0EEEvSV_
    .private_segment_fixed_size: 0
    .sgpr_count:     0
    .sgpr_spill_count: 0
    .symbol:         _ZN7rocprim17ROCPRIM_400000_NS6detail17trampoline_kernelINS0_14default_configENS1_27upper_bound_config_selectorIslEEZNS1_14transform_implILb0ES3_S5_N6thrust23THRUST_200600_302600_NS6detail15normal_iteratorINS8_7pointerIsNS8_11hip_rocprim3tagENS8_11use_defaultESE_EEEENSA_INSB_IlSD_SE_SE_EEEEZNS1_13binary_searchIS3_S5_NSA_INS8_10device_ptrIsEEEESG_SI_NS1_21upper_bound_search_opENS9_16wrapped_functionINS8_7greaterIsEEbEEEE10hipError_tPvRmT1_T2_T3_mmT4_T5_P12ihipStream_tbEUlRKsE_EESS_SW_SX_mSY_S11_bEUlT_E_NS1_11comp_targetILNS1_3genE2ELNS1_11target_archE906ELNS1_3gpuE6ELNS1_3repE0EEENS1_30default_config_static_selectorELNS0_4arch9wavefront6targetE0EEEvSV_.kd
    .uniform_work_group_size: 1
    .uses_dynamic_stack: false
    .vgpr_count:     0
    .vgpr_spill_count: 0
    .wavefront_size: 32
  - .args:
      - .offset:         0
        .size:           56
        .value_kind:     by_value
    .group_segment_fixed_size: 0
    .kernarg_segment_align: 8
    .kernarg_segment_size: 56
    .language:       OpenCL C
    .language_version:
      - 2
      - 0
    .max_flat_workgroup_size: 256
    .name:           _ZN7rocprim17ROCPRIM_400000_NS6detail17trampoline_kernelINS0_14default_configENS1_27upper_bound_config_selectorIslEEZNS1_14transform_implILb0ES3_S5_N6thrust23THRUST_200600_302600_NS6detail15normal_iteratorINS8_7pointerIsNS8_11hip_rocprim3tagENS8_11use_defaultESE_EEEENSA_INSB_IlSD_SE_SE_EEEEZNS1_13binary_searchIS3_S5_NSA_INS8_10device_ptrIsEEEESG_SI_NS1_21upper_bound_search_opENS9_16wrapped_functionINS8_7greaterIsEEbEEEE10hipError_tPvRmT1_T2_T3_mmT4_T5_P12ihipStream_tbEUlRKsE_EESS_SW_SX_mSY_S11_bEUlT_E_NS1_11comp_targetILNS1_3genE10ELNS1_11target_archE1201ELNS1_3gpuE5ELNS1_3repE0EEENS1_30default_config_static_selectorELNS0_4arch9wavefront6targetE0EEEvSV_
    .private_segment_fixed_size: 0
    .sgpr_count:     0
    .sgpr_spill_count: 0
    .symbol:         _ZN7rocprim17ROCPRIM_400000_NS6detail17trampoline_kernelINS0_14default_configENS1_27upper_bound_config_selectorIslEEZNS1_14transform_implILb0ES3_S5_N6thrust23THRUST_200600_302600_NS6detail15normal_iteratorINS8_7pointerIsNS8_11hip_rocprim3tagENS8_11use_defaultESE_EEEENSA_INSB_IlSD_SE_SE_EEEEZNS1_13binary_searchIS3_S5_NSA_INS8_10device_ptrIsEEEESG_SI_NS1_21upper_bound_search_opENS9_16wrapped_functionINS8_7greaterIsEEbEEEE10hipError_tPvRmT1_T2_T3_mmT4_T5_P12ihipStream_tbEUlRKsE_EESS_SW_SX_mSY_S11_bEUlT_E_NS1_11comp_targetILNS1_3genE10ELNS1_11target_archE1201ELNS1_3gpuE5ELNS1_3repE0EEENS1_30default_config_static_selectorELNS0_4arch9wavefront6targetE0EEEvSV_.kd
    .uniform_work_group_size: 1
    .uses_dynamic_stack: false
    .vgpr_count:     0
    .vgpr_spill_count: 0
    .wavefront_size: 32
  - .args:
      - .offset:         0
        .size:           56
        .value_kind:     by_value
    .group_segment_fixed_size: 0
    .kernarg_segment_align: 8
    .kernarg_segment_size: 56
    .language:       OpenCL C
    .language_version:
      - 2
      - 0
    .max_flat_workgroup_size: 256
    .name:           _ZN7rocprim17ROCPRIM_400000_NS6detail17trampoline_kernelINS0_14default_configENS1_27upper_bound_config_selectorIslEEZNS1_14transform_implILb0ES3_S5_N6thrust23THRUST_200600_302600_NS6detail15normal_iteratorINS8_7pointerIsNS8_11hip_rocprim3tagENS8_11use_defaultESE_EEEENSA_INSB_IlSD_SE_SE_EEEEZNS1_13binary_searchIS3_S5_NSA_INS8_10device_ptrIsEEEESG_SI_NS1_21upper_bound_search_opENS9_16wrapped_functionINS8_7greaterIsEEbEEEE10hipError_tPvRmT1_T2_T3_mmT4_T5_P12ihipStream_tbEUlRKsE_EESS_SW_SX_mSY_S11_bEUlT_E_NS1_11comp_targetILNS1_3genE10ELNS1_11target_archE1200ELNS1_3gpuE4ELNS1_3repE0EEENS1_30default_config_static_selectorELNS0_4arch9wavefront6targetE0EEEvSV_
    .private_segment_fixed_size: 0
    .sgpr_count:     0
    .sgpr_spill_count: 0
    .symbol:         _ZN7rocprim17ROCPRIM_400000_NS6detail17trampoline_kernelINS0_14default_configENS1_27upper_bound_config_selectorIslEEZNS1_14transform_implILb0ES3_S5_N6thrust23THRUST_200600_302600_NS6detail15normal_iteratorINS8_7pointerIsNS8_11hip_rocprim3tagENS8_11use_defaultESE_EEEENSA_INSB_IlSD_SE_SE_EEEEZNS1_13binary_searchIS3_S5_NSA_INS8_10device_ptrIsEEEESG_SI_NS1_21upper_bound_search_opENS9_16wrapped_functionINS8_7greaterIsEEbEEEE10hipError_tPvRmT1_T2_T3_mmT4_T5_P12ihipStream_tbEUlRKsE_EESS_SW_SX_mSY_S11_bEUlT_E_NS1_11comp_targetILNS1_3genE10ELNS1_11target_archE1200ELNS1_3gpuE4ELNS1_3repE0EEENS1_30default_config_static_selectorELNS0_4arch9wavefront6targetE0EEEvSV_.kd
    .uniform_work_group_size: 1
    .uses_dynamic_stack: false
    .vgpr_count:     0
    .vgpr_spill_count: 0
    .wavefront_size: 32
  - .args:
      - .offset:         0
        .size:           56
        .value_kind:     by_value
    .group_segment_fixed_size: 0
    .kernarg_segment_align: 8
    .kernarg_segment_size: 56
    .language:       OpenCL C
    .language_version:
      - 2
      - 0
    .max_flat_workgroup_size: 64
    .name:           _ZN7rocprim17ROCPRIM_400000_NS6detail17trampoline_kernelINS0_14default_configENS1_27upper_bound_config_selectorIslEEZNS1_14transform_implILb0ES3_S5_N6thrust23THRUST_200600_302600_NS6detail15normal_iteratorINS8_7pointerIsNS8_11hip_rocprim3tagENS8_11use_defaultESE_EEEENSA_INSB_IlSD_SE_SE_EEEEZNS1_13binary_searchIS3_S5_NSA_INS8_10device_ptrIsEEEESG_SI_NS1_21upper_bound_search_opENS9_16wrapped_functionINS8_7greaterIsEEbEEEE10hipError_tPvRmT1_T2_T3_mmT4_T5_P12ihipStream_tbEUlRKsE_EESS_SW_SX_mSY_S11_bEUlT_E_NS1_11comp_targetILNS1_3genE9ELNS1_11target_archE1100ELNS1_3gpuE3ELNS1_3repE0EEENS1_30default_config_static_selectorELNS0_4arch9wavefront6targetE0EEEvSV_
    .private_segment_fixed_size: 0
    .sgpr_count:     0
    .sgpr_spill_count: 0
    .symbol:         _ZN7rocprim17ROCPRIM_400000_NS6detail17trampoline_kernelINS0_14default_configENS1_27upper_bound_config_selectorIslEEZNS1_14transform_implILb0ES3_S5_N6thrust23THRUST_200600_302600_NS6detail15normal_iteratorINS8_7pointerIsNS8_11hip_rocprim3tagENS8_11use_defaultESE_EEEENSA_INSB_IlSD_SE_SE_EEEEZNS1_13binary_searchIS3_S5_NSA_INS8_10device_ptrIsEEEESG_SI_NS1_21upper_bound_search_opENS9_16wrapped_functionINS8_7greaterIsEEbEEEE10hipError_tPvRmT1_T2_T3_mmT4_T5_P12ihipStream_tbEUlRKsE_EESS_SW_SX_mSY_S11_bEUlT_E_NS1_11comp_targetILNS1_3genE9ELNS1_11target_archE1100ELNS1_3gpuE3ELNS1_3repE0EEENS1_30default_config_static_selectorELNS0_4arch9wavefront6targetE0EEEvSV_.kd
    .uniform_work_group_size: 1
    .uses_dynamic_stack: false
    .vgpr_count:     0
    .vgpr_spill_count: 0
    .wavefront_size: 32
  - .args:
      - .offset:         0
        .size:           56
        .value_kind:     by_value
    .group_segment_fixed_size: 0
    .kernarg_segment_align: 8
    .kernarg_segment_size: 56
    .language:       OpenCL C
    .language_version:
      - 2
      - 0
    .max_flat_workgroup_size: 128
    .name:           _ZN7rocprim17ROCPRIM_400000_NS6detail17trampoline_kernelINS0_14default_configENS1_27upper_bound_config_selectorIslEEZNS1_14transform_implILb0ES3_S5_N6thrust23THRUST_200600_302600_NS6detail15normal_iteratorINS8_7pointerIsNS8_11hip_rocprim3tagENS8_11use_defaultESE_EEEENSA_INSB_IlSD_SE_SE_EEEEZNS1_13binary_searchIS3_S5_NSA_INS8_10device_ptrIsEEEESG_SI_NS1_21upper_bound_search_opENS9_16wrapped_functionINS8_7greaterIsEEbEEEE10hipError_tPvRmT1_T2_T3_mmT4_T5_P12ihipStream_tbEUlRKsE_EESS_SW_SX_mSY_S11_bEUlT_E_NS1_11comp_targetILNS1_3genE8ELNS1_11target_archE1030ELNS1_3gpuE2ELNS1_3repE0EEENS1_30default_config_static_selectorELNS0_4arch9wavefront6targetE0EEEvSV_
    .private_segment_fixed_size: 0
    .sgpr_count:     0
    .sgpr_spill_count: 0
    .symbol:         _ZN7rocprim17ROCPRIM_400000_NS6detail17trampoline_kernelINS0_14default_configENS1_27upper_bound_config_selectorIslEEZNS1_14transform_implILb0ES3_S5_N6thrust23THRUST_200600_302600_NS6detail15normal_iteratorINS8_7pointerIsNS8_11hip_rocprim3tagENS8_11use_defaultESE_EEEENSA_INSB_IlSD_SE_SE_EEEEZNS1_13binary_searchIS3_S5_NSA_INS8_10device_ptrIsEEEESG_SI_NS1_21upper_bound_search_opENS9_16wrapped_functionINS8_7greaterIsEEbEEEE10hipError_tPvRmT1_T2_T3_mmT4_T5_P12ihipStream_tbEUlRKsE_EESS_SW_SX_mSY_S11_bEUlT_E_NS1_11comp_targetILNS1_3genE8ELNS1_11target_archE1030ELNS1_3gpuE2ELNS1_3repE0EEENS1_30default_config_static_selectorELNS0_4arch9wavefront6targetE0EEEvSV_.kd
    .uniform_work_group_size: 1
    .uses_dynamic_stack: false
    .vgpr_count:     0
    .vgpr_spill_count: 0
    .wavefront_size: 32
  - .args:
      - .offset:         0
        .size:           56
        .value_kind:     by_value
      - .offset:         56
        .size:           4
        .value_kind:     hidden_block_count_x
      - .offset:         60
        .size:           4
        .value_kind:     hidden_block_count_y
      - .offset:         64
        .size:           4
        .value_kind:     hidden_block_count_z
      - .offset:         68
        .size:           2
        .value_kind:     hidden_group_size_x
      - .offset:         70
        .size:           2
        .value_kind:     hidden_group_size_y
      - .offset:         72
        .size:           2
        .value_kind:     hidden_group_size_z
      - .offset:         74
        .size:           2
        .value_kind:     hidden_remainder_x
      - .offset:         76
        .size:           2
        .value_kind:     hidden_remainder_y
      - .offset:         78
        .size:           2
        .value_kind:     hidden_remainder_z
      - .offset:         96
        .size:           8
        .value_kind:     hidden_global_offset_x
      - .offset:         104
        .size:           8
        .value_kind:     hidden_global_offset_y
      - .offset:         112
        .size:           8
        .value_kind:     hidden_global_offset_z
      - .offset:         120
        .size:           2
        .value_kind:     hidden_grid_dims
    .group_segment_fixed_size: 0
    .kernarg_segment_align: 8
    .kernarg_segment_size: 312
    .language:       OpenCL C
    .language_version:
      - 2
      - 0
    .max_flat_workgroup_size: 256
    .name:           _ZN7rocprim17ROCPRIM_400000_NS6detail17trampoline_kernelINS0_14default_configENS1_27upper_bound_config_selectorIilEEZNS1_14transform_implILb0ES3_S5_N6thrust23THRUST_200600_302600_NS6detail15normal_iteratorINS8_7pointerIiNS8_11hip_rocprim3tagENS8_11use_defaultESE_EEEENSA_INSB_IlSD_SE_SE_EEEEZNS1_13binary_searchIS3_S5_NSA_INS8_10device_ptrIiEEEESG_SI_NS1_21upper_bound_search_opENS9_16wrapped_functionINS8_7greaterIiEEbEEEE10hipError_tPvRmT1_T2_T3_mmT4_T5_P12ihipStream_tbEUlRKiE_EESS_SW_SX_mSY_S11_bEUlT_E_NS1_11comp_targetILNS1_3genE0ELNS1_11target_archE4294967295ELNS1_3gpuE0ELNS1_3repE0EEENS1_30default_config_static_selectorELNS0_4arch9wavefront6targetE0EEEvSV_
    .private_segment_fixed_size: 0
    .sgpr_count:     20
    .sgpr_spill_count: 0
    .symbol:         _ZN7rocprim17ROCPRIM_400000_NS6detail17trampoline_kernelINS0_14default_configENS1_27upper_bound_config_selectorIilEEZNS1_14transform_implILb0ES3_S5_N6thrust23THRUST_200600_302600_NS6detail15normal_iteratorINS8_7pointerIiNS8_11hip_rocprim3tagENS8_11use_defaultESE_EEEENSA_INSB_IlSD_SE_SE_EEEEZNS1_13binary_searchIS3_S5_NSA_INS8_10device_ptrIiEEEESG_SI_NS1_21upper_bound_search_opENS9_16wrapped_functionINS8_7greaterIiEEbEEEE10hipError_tPvRmT1_T2_T3_mmT4_T5_P12ihipStream_tbEUlRKiE_EESS_SW_SX_mSY_S11_bEUlT_E_NS1_11comp_targetILNS1_3genE0ELNS1_11target_archE4294967295ELNS1_3gpuE0ELNS1_3repE0EEENS1_30default_config_static_selectorELNS0_4arch9wavefront6targetE0EEEvSV_.kd
    .uniform_work_group_size: 1
    .uses_dynamic_stack: false
    .vgpr_count:     11
    .vgpr_spill_count: 0
    .wavefront_size: 32
  - .args:
      - .offset:         0
        .size:           56
        .value_kind:     by_value
    .group_segment_fixed_size: 0
    .kernarg_segment_align: 8
    .kernarg_segment_size: 56
    .language:       OpenCL C
    .language_version:
      - 2
      - 0
    .max_flat_workgroup_size: 256
    .name:           _ZN7rocprim17ROCPRIM_400000_NS6detail17trampoline_kernelINS0_14default_configENS1_27upper_bound_config_selectorIilEEZNS1_14transform_implILb0ES3_S5_N6thrust23THRUST_200600_302600_NS6detail15normal_iteratorINS8_7pointerIiNS8_11hip_rocprim3tagENS8_11use_defaultESE_EEEENSA_INSB_IlSD_SE_SE_EEEEZNS1_13binary_searchIS3_S5_NSA_INS8_10device_ptrIiEEEESG_SI_NS1_21upper_bound_search_opENS9_16wrapped_functionINS8_7greaterIiEEbEEEE10hipError_tPvRmT1_T2_T3_mmT4_T5_P12ihipStream_tbEUlRKiE_EESS_SW_SX_mSY_S11_bEUlT_E_NS1_11comp_targetILNS1_3genE5ELNS1_11target_archE942ELNS1_3gpuE9ELNS1_3repE0EEENS1_30default_config_static_selectorELNS0_4arch9wavefront6targetE0EEEvSV_
    .private_segment_fixed_size: 0
    .sgpr_count:     0
    .sgpr_spill_count: 0
    .symbol:         _ZN7rocprim17ROCPRIM_400000_NS6detail17trampoline_kernelINS0_14default_configENS1_27upper_bound_config_selectorIilEEZNS1_14transform_implILb0ES3_S5_N6thrust23THRUST_200600_302600_NS6detail15normal_iteratorINS8_7pointerIiNS8_11hip_rocprim3tagENS8_11use_defaultESE_EEEENSA_INSB_IlSD_SE_SE_EEEEZNS1_13binary_searchIS3_S5_NSA_INS8_10device_ptrIiEEEESG_SI_NS1_21upper_bound_search_opENS9_16wrapped_functionINS8_7greaterIiEEbEEEE10hipError_tPvRmT1_T2_T3_mmT4_T5_P12ihipStream_tbEUlRKiE_EESS_SW_SX_mSY_S11_bEUlT_E_NS1_11comp_targetILNS1_3genE5ELNS1_11target_archE942ELNS1_3gpuE9ELNS1_3repE0EEENS1_30default_config_static_selectorELNS0_4arch9wavefront6targetE0EEEvSV_.kd
    .uniform_work_group_size: 1
    .uses_dynamic_stack: false
    .vgpr_count:     0
    .vgpr_spill_count: 0
    .wavefront_size: 32
  - .args:
      - .offset:         0
        .size:           56
        .value_kind:     by_value
    .group_segment_fixed_size: 0
    .kernarg_segment_align: 8
    .kernarg_segment_size: 56
    .language:       OpenCL C
    .language_version:
      - 2
      - 0
    .max_flat_workgroup_size: 256
    .name:           _ZN7rocprim17ROCPRIM_400000_NS6detail17trampoline_kernelINS0_14default_configENS1_27upper_bound_config_selectorIilEEZNS1_14transform_implILb0ES3_S5_N6thrust23THRUST_200600_302600_NS6detail15normal_iteratorINS8_7pointerIiNS8_11hip_rocprim3tagENS8_11use_defaultESE_EEEENSA_INSB_IlSD_SE_SE_EEEEZNS1_13binary_searchIS3_S5_NSA_INS8_10device_ptrIiEEEESG_SI_NS1_21upper_bound_search_opENS9_16wrapped_functionINS8_7greaterIiEEbEEEE10hipError_tPvRmT1_T2_T3_mmT4_T5_P12ihipStream_tbEUlRKiE_EESS_SW_SX_mSY_S11_bEUlT_E_NS1_11comp_targetILNS1_3genE4ELNS1_11target_archE910ELNS1_3gpuE8ELNS1_3repE0EEENS1_30default_config_static_selectorELNS0_4arch9wavefront6targetE0EEEvSV_
    .private_segment_fixed_size: 0
    .sgpr_count:     0
    .sgpr_spill_count: 0
    .symbol:         _ZN7rocprim17ROCPRIM_400000_NS6detail17trampoline_kernelINS0_14default_configENS1_27upper_bound_config_selectorIilEEZNS1_14transform_implILb0ES3_S5_N6thrust23THRUST_200600_302600_NS6detail15normal_iteratorINS8_7pointerIiNS8_11hip_rocprim3tagENS8_11use_defaultESE_EEEENSA_INSB_IlSD_SE_SE_EEEEZNS1_13binary_searchIS3_S5_NSA_INS8_10device_ptrIiEEEESG_SI_NS1_21upper_bound_search_opENS9_16wrapped_functionINS8_7greaterIiEEbEEEE10hipError_tPvRmT1_T2_T3_mmT4_T5_P12ihipStream_tbEUlRKiE_EESS_SW_SX_mSY_S11_bEUlT_E_NS1_11comp_targetILNS1_3genE4ELNS1_11target_archE910ELNS1_3gpuE8ELNS1_3repE0EEENS1_30default_config_static_selectorELNS0_4arch9wavefront6targetE0EEEvSV_.kd
    .uniform_work_group_size: 1
    .uses_dynamic_stack: false
    .vgpr_count:     0
    .vgpr_spill_count: 0
    .wavefront_size: 32
  - .args:
      - .offset:         0
        .size:           56
        .value_kind:     by_value
    .group_segment_fixed_size: 0
    .kernarg_segment_align: 8
    .kernarg_segment_size: 56
    .language:       OpenCL C
    .language_version:
      - 2
      - 0
    .max_flat_workgroup_size: 256
    .name:           _ZN7rocprim17ROCPRIM_400000_NS6detail17trampoline_kernelINS0_14default_configENS1_27upper_bound_config_selectorIilEEZNS1_14transform_implILb0ES3_S5_N6thrust23THRUST_200600_302600_NS6detail15normal_iteratorINS8_7pointerIiNS8_11hip_rocprim3tagENS8_11use_defaultESE_EEEENSA_INSB_IlSD_SE_SE_EEEEZNS1_13binary_searchIS3_S5_NSA_INS8_10device_ptrIiEEEESG_SI_NS1_21upper_bound_search_opENS9_16wrapped_functionINS8_7greaterIiEEbEEEE10hipError_tPvRmT1_T2_T3_mmT4_T5_P12ihipStream_tbEUlRKiE_EESS_SW_SX_mSY_S11_bEUlT_E_NS1_11comp_targetILNS1_3genE3ELNS1_11target_archE908ELNS1_3gpuE7ELNS1_3repE0EEENS1_30default_config_static_selectorELNS0_4arch9wavefront6targetE0EEEvSV_
    .private_segment_fixed_size: 0
    .sgpr_count:     0
    .sgpr_spill_count: 0
    .symbol:         _ZN7rocprim17ROCPRIM_400000_NS6detail17trampoline_kernelINS0_14default_configENS1_27upper_bound_config_selectorIilEEZNS1_14transform_implILb0ES3_S5_N6thrust23THRUST_200600_302600_NS6detail15normal_iteratorINS8_7pointerIiNS8_11hip_rocprim3tagENS8_11use_defaultESE_EEEENSA_INSB_IlSD_SE_SE_EEEEZNS1_13binary_searchIS3_S5_NSA_INS8_10device_ptrIiEEEESG_SI_NS1_21upper_bound_search_opENS9_16wrapped_functionINS8_7greaterIiEEbEEEE10hipError_tPvRmT1_T2_T3_mmT4_T5_P12ihipStream_tbEUlRKiE_EESS_SW_SX_mSY_S11_bEUlT_E_NS1_11comp_targetILNS1_3genE3ELNS1_11target_archE908ELNS1_3gpuE7ELNS1_3repE0EEENS1_30default_config_static_selectorELNS0_4arch9wavefront6targetE0EEEvSV_.kd
    .uniform_work_group_size: 1
    .uses_dynamic_stack: false
    .vgpr_count:     0
    .vgpr_spill_count: 0
    .wavefront_size: 32
  - .args:
      - .offset:         0
        .size:           56
        .value_kind:     by_value
    .group_segment_fixed_size: 0
    .kernarg_segment_align: 8
    .kernarg_segment_size: 56
    .language:       OpenCL C
    .language_version:
      - 2
      - 0
    .max_flat_workgroup_size: 256
    .name:           _ZN7rocprim17ROCPRIM_400000_NS6detail17trampoline_kernelINS0_14default_configENS1_27upper_bound_config_selectorIilEEZNS1_14transform_implILb0ES3_S5_N6thrust23THRUST_200600_302600_NS6detail15normal_iteratorINS8_7pointerIiNS8_11hip_rocprim3tagENS8_11use_defaultESE_EEEENSA_INSB_IlSD_SE_SE_EEEEZNS1_13binary_searchIS3_S5_NSA_INS8_10device_ptrIiEEEESG_SI_NS1_21upper_bound_search_opENS9_16wrapped_functionINS8_7greaterIiEEbEEEE10hipError_tPvRmT1_T2_T3_mmT4_T5_P12ihipStream_tbEUlRKiE_EESS_SW_SX_mSY_S11_bEUlT_E_NS1_11comp_targetILNS1_3genE2ELNS1_11target_archE906ELNS1_3gpuE6ELNS1_3repE0EEENS1_30default_config_static_selectorELNS0_4arch9wavefront6targetE0EEEvSV_
    .private_segment_fixed_size: 0
    .sgpr_count:     0
    .sgpr_spill_count: 0
    .symbol:         _ZN7rocprim17ROCPRIM_400000_NS6detail17trampoline_kernelINS0_14default_configENS1_27upper_bound_config_selectorIilEEZNS1_14transform_implILb0ES3_S5_N6thrust23THRUST_200600_302600_NS6detail15normal_iteratorINS8_7pointerIiNS8_11hip_rocprim3tagENS8_11use_defaultESE_EEEENSA_INSB_IlSD_SE_SE_EEEEZNS1_13binary_searchIS3_S5_NSA_INS8_10device_ptrIiEEEESG_SI_NS1_21upper_bound_search_opENS9_16wrapped_functionINS8_7greaterIiEEbEEEE10hipError_tPvRmT1_T2_T3_mmT4_T5_P12ihipStream_tbEUlRKiE_EESS_SW_SX_mSY_S11_bEUlT_E_NS1_11comp_targetILNS1_3genE2ELNS1_11target_archE906ELNS1_3gpuE6ELNS1_3repE0EEENS1_30default_config_static_selectorELNS0_4arch9wavefront6targetE0EEEvSV_.kd
    .uniform_work_group_size: 1
    .uses_dynamic_stack: false
    .vgpr_count:     0
    .vgpr_spill_count: 0
    .wavefront_size: 32
  - .args:
      - .offset:         0
        .size:           56
        .value_kind:     by_value
    .group_segment_fixed_size: 0
    .kernarg_segment_align: 8
    .kernarg_segment_size: 56
    .language:       OpenCL C
    .language_version:
      - 2
      - 0
    .max_flat_workgroup_size: 128
    .name:           _ZN7rocprim17ROCPRIM_400000_NS6detail17trampoline_kernelINS0_14default_configENS1_27upper_bound_config_selectorIilEEZNS1_14transform_implILb0ES3_S5_N6thrust23THRUST_200600_302600_NS6detail15normal_iteratorINS8_7pointerIiNS8_11hip_rocprim3tagENS8_11use_defaultESE_EEEENSA_INSB_IlSD_SE_SE_EEEEZNS1_13binary_searchIS3_S5_NSA_INS8_10device_ptrIiEEEESG_SI_NS1_21upper_bound_search_opENS9_16wrapped_functionINS8_7greaterIiEEbEEEE10hipError_tPvRmT1_T2_T3_mmT4_T5_P12ihipStream_tbEUlRKiE_EESS_SW_SX_mSY_S11_bEUlT_E_NS1_11comp_targetILNS1_3genE10ELNS1_11target_archE1201ELNS1_3gpuE5ELNS1_3repE0EEENS1_30default_config_static_selectorELNS0_4arch9wavefront6targetE0EEEvSV_
    .private_segment_fixed_size: 0
    .sgpr_count:     0
    .sgpr_spill_count: 0
    .symbol:         _ZN7rocprim17ROCPRIM_400000_NS6detail17trampoline_kernelINS0_14default_configENS1_27upper_bound_config_selectorIilEEZNS1_14transform_implILb0ES3_S5_N6thrust23THRUST_200600_302600_NS6detail15normal_iteratorINS8_7pointerIiNS8_11hip_rocprim3tagENS8_11use_defaultESE_EEEENSA_INSB_IlSD_SE_SE_EEEEZNS1_13binary_searchIS3_S5_NSA_INS8_10device_ptrIiEEEESG_SI_NS1_21upper_bound_search_opENS9_16wrapped_functionINS8_7greaterIiEEbEEEE10hipError_tPvRmT1_T2_T3_mmT4_T5_P12ihipStream_tbEUlRKiE_EESS_SW_SX_mSY_S11_bEUlT_E_NS1_11comp_targetILNS1_3genE10ELNS1_11target_archE1201ELNS1_3gpuE5ELNS1_3repE0EEENS1_30default_config_static_selectorELNS0_4arch9wavefront6targetE0EEEvSV_.kd
    .uniform_work_group_size: 1
    .uses_dynamic_stack: false
    .vgpr_count:     0
    .vgpr_spill_count: 0
    .wavefront_size: 32
  - .args:
      - .offset:         0
        .size:           56
        .value_kind:     by_value
    .group_segment_fixed_size: 0
    .kernarg_segment_align: 8
    .kernarg_segment_size: 56
    .language:       OpenCL C
    .language_version:
      - 2
      - 0
    .max_flat_workgroup_size: 128
    .name:           _ZN7rocprim17ROCPRIM_400000_NS6detail17trampoline_kernelINS0_14default_configENS1_27upper_bound_config_selectorIilEEZNS1_14transform_implILb0ES3_S5_N6thrust23THRUST_200600_302600_NS6detail15normal_iteratorINS8_7pointerIiNS8_11hip_rocprim3tagENS8_11use_defaultESE_EEEENSA_INSB_IlSD_SE_SE_EEEEZNS1_13binary_searchIS3_S5_NSA_INS8_10device_ptrIiEEEESG_SI_NS1_21upper_bound_search_opENS9_16wrapped_functionINS8_7greaterIiEEbEEEE10hipError_tPvRmT1_T2_T3_mmT4_T5_P12ihipStream_tbEUlRKiE_EESS_SW_SX_mSY_S11_bEUlT_E_NS1_11comp_targetILNS1_3genE10ELNS1_11target_archE1200ELNS1_3gpuE4ELNS1_3repE0EEENS1_30default_config_static_selectorELNS0_4arch9wavefront6targetE0EEEvSV_
    .private_segment_fixed_size: 0
    .sgpr_count:     0
    .sgpr_spill_count: 0
    .symbol:         _ZN7rocprim17ROCPRIM_400000_NS6detail17trampoline_kernelINS0_14default_configENS1_27upper_bound_config_selectorIilEEZNS1_14transform_implILb0ES3_S5_N6thrust23THRUST_200600_302600_NS6detail15normal_iteratorINS8_7pointerIiNS8_11hip_rocprim3tagENS8_11use_defaultESE_EEEENSA_INSB_IlSD_SE_SE_EEEEZNS1_13binary_searchIS3_S5_NSA_INS8_10device_ptrIiEEEESG_SI_NS1_21upper_bound_search_opENS9_16wrapped_functionINS8_7greaterIiEEbEEEE10hipError_tPvRmT1_T2_T3_mmT4_T5_P12ihipStream_tbEUlRKiE_EESS_SW_SX_mSY_S11_bEUlT_E_NS1_11comp_targetILNS1_3genE10ELNS1_11target_archE1200ELNS1_3gpuE4ELNS1_3repE0EEENS1_30default_config_static_selectorELNS0_4arch9wavefront6targetE0EEEvSV_.kd
    .uniform_work_group_size: 1
    .uses_dynamic_stack: false
    .vgpr_count:     0
    .vgpr_spill_count: 0
    .wavefront_size: 32
  - .args:
      - .offset:         0
        .size:           56
        .value_kind:     by_value
    .group_segment_fixed_size: 0
    .kernarg_segment_align: 8
    .kernarg_segment_size: 56
    .language:       OpenCL C
    .language_version:
      - 2
      - 0
    .max_flat_workgroup_size: 256
    .name:           _ZN7rocprim17ROCPRIM_400000_NS6detail17trampoline_kernelINS0_14default_configENS1_27upper_bound_config_selectorIilEEZNS1_14transform_implILb0ES3_S5_N6thrust23THRUST_200600_302600_NS6detail15normal_iteratorINS8_7pointerIiNS8_11hip_rocprim3tagENS8_11use_defaultESE_EEEENSA_INSB_IlSD_SE_SE_EEEEZNS1_13binary_searchIS3_S5_NSA_INS8_10device_ptrIiEEEESG_SI_NS1_21upper_bound_search_opENS9_16wrapped_functionINS8_7greaterIiEEbEEEE10hipError_tPvRmT1_T2_T3_mmT4_T5_P12ihipStream_tbEUlRKiE_EESS_SW_SX_mSY_S11_bEUlT_E_NS1_11comp_targetILNS1_3genE9ELNS1_11target_archE1100ELNS1_3gpuE3ELNS1_3repE0EEENS1_30default_config_static_selectorELNS0_4arch9wavefront6targetE0EEEvSV_
    .private_segment_fixed_size: 0
    .sgpr_count:     0
    .sgpr_spill_count: 0
    .symbol:         _ZN7rocprim17ROCPRIM_400000_NS6detail17trampoline_kernelINS0_14default_configENS1_27upper_bound_config_selectorIilEEZNS1_14transform_implILb0ES3_S5_N6thrust23THRUST_200600_302600_NS6detail15normal_iteratorINS8_7pointerIiNS8_11hip_rocprim3tagENS8_11use_defaultESE_EEEENSA_INSB_IlSD_SE_SE_EEEEZNS1_13binary_searchIS3_S5_NSA_INS8_10device_ptrIiEEEESG_SI_NS1_21upper_bound_search_opENS9_16wrapped_functionINS8_7greaterIiEEbEEEE10hipError_tPvRmT1_T2_T3_mmT4_T5_P12ihipStream_tbEUlRKiE_EESS_SW_SX_mSY_S11_bEUlT_E_NS1_11comp_targetILNS1_3genE9ELNS1_11target_archE1100ELNS1_3gpuE3ELNS1_3repE0EEENS1_30default_config_static_selectorELNS0_4arch9wavefront6targetE0EEEvSV_.kd
    .uniform_work_group_size: 1
    .uses_dynamic_stack: false
    .vgpr_count:     0
    .vgpr_spill_count: 0
    .wavefront_size: 32
  - .args:
      - .offset:         0
        .size:           56
        .value_kind:     by_value
    .group_segment_fixed_size: 0
    .kernarg_segment_align: 8
    .kernarg_segment_size: 56
    .language:       OpenCL C
    .language_version:
      - 2
      - 0
    .max_flat_workgroup_size: 256
    .name:           _ZN7rocprim17ROCPRIM_400000_NS6detail17trampoline_kernelINS0_14default_configENS1_27upper_bound_config_selectorIilEEZNS1_14transform_implILb0ES3_S5_N6thrust23THRUST_200600_302600_NS6detail15normal_iteratorINS8_7pointerIiNS8_11hip_rocprim3tagENS8_11use_defaultESE_EEEENSA_INSB_IlSD_SE_SE_EEEEZNS1_13binary_searchIS3_S5_NSA_INS8_10device_ptrIiEEEESG_SI_NS1_21upper_bound_search_opENS9_16wrapped_functionINS8_7greaterIiEEbEEEE10hipError_tPvRmT1_T2_T3_mmT4_T5_P12ihipStream_tbEUlRKiE_EESS_SW_SX_mSY_S11_bEUlT_E_NS1_11comp_targetILNS1_3genE8ELNS1_11target_archE1030ELNS1_3gpuE2ELNS1_3repE0EEENS1_30default_config_static_selectorELNS0_4arch9wavefront6targetE0EEEvSV_
    .private_segment_fixed_size: 0
    .sgpr_count:     0
    .sgpr_spill_count: 0
    .symbol:         _ZN7rocprim17ROCPRIM_400000_NS6detail17trampoline_kernelINS0_14default_configENS1_27upper_bound_config_selectorIilEEZNS1_14transform_implILb0ES3_S5_N6thrust23THRUST_200600_302600_NS6detail15normal_iteratorINS8_7pointerIiNS8_11hip_rocprim3tagENS8_11use_defaultESE_EEEENSA_INSB_IlSD_SE_SE_EEEEZNS1_13binary_searchIS3_S5_NSA_INS8_10device_ptrIiEEEESG_SI_NS1_21upper_bound_search_opENS9_16wrapped_functionINS8_7greaterIiEEbEEEE10hipError_tPvRmT1_T2_T3_mmT4_T5_P12ihipStream_tbEUlRKiE_EESS_SW_SX_mSY_S11_bEUlT_E_NS1_11comp_targetILNS1_3genE8ELNS1_11target_archE1030ELNS1_3gpuE2ELNS1_3repE0EEENS1_30default_config_static_selectorELNS0_4arch9wavefront6targetE0EEEvSV_.kd
    .uniform_work_group_size: 1
    .uses_dynamic_stack: false
    .vgpr_count:     0
    .vgpr_spill_count: 0
    .wavefront_size: 32
  - .args:
      - .offset:         0
        .size:           56
        .value_kind:     by_value
      - .offset:         56
        .size:           4
        .value_kind:     hidden_block_count_x
      - .offset:         60
        .size:           4
        .value_kind:     hidden_block_count_y
      - .offset:         64
        .size:           4
        .value_kind:     hidden_block_count_z
      - .offset:         68
        .size:           2
        .value_kind:     hidden_group_size_x
      - .offset:         70
        .size:           2
        .value_kind:     hidden_group_size_y
      - .offset:         72
        .size:           2
        .value_kind:     hidden_group_size_z
      - .offset:         74
        .size:           2
        .value_kind:     hidden_remainder_x
      - .offset:         76
        .size:           2
        .value_kind:     hidden_remainder_y
      - .offset:         78
        .size:           2
        .value_kind:     hidden_remainder_z
      - .offset:         96
        .size:           8
        .value_kind:     hidden_global_offset_x
      - .offset:         104
        .size:           8
        .value_kind:     hidden_global_offset_y
      - .offset:         112
        .size:           8
        .value_kind:     hidden_global_offset_z
      - .offset:         120
        .size:           2
        .value_kind:     hidden_grid_dims
    .group_segment_fixed_size: 0
    .kernarg_segment_align: 8
    .kernarg_segment_size: 312
    .language:       OpenCL C
    .language_version:
      - 2
      - 0
    .max_flat_workgroup_size: 256
    .name:           _ZN7rocprim17ROCPRIM_400000_NS6detail17trampoline_kernelINS0_14default_configENS1_27upper_bound_config_selectorIflEEZNS1_14transform_implILb0ES3_S5_N6thrust23THRUST_200600_302600_NS6detail15normal_iteratorINS8_7pointerIfNS8_11hip_rocprim3tagENS8_11use_defaultESE_EEEENSA_INSB_IlSD_SE_SE_EEEEZNS1_13binary_searchIS3_S5_NSA_INS8_10device_ptrIfEEEESG_SI_NS1_21upper_bound_search_opENS9_16wrapped_functionINS8_7greaterIfEEbEEEE10hipError_tPvRmT1_T2_T3_mmT4_T5_P12ihipStream_tbEUlRKfE_EESS_SW_SX_mSY_S11_bEUlT_E_NS1_11comp_targetILNS1_3genE0ELNS1_11target_archE4294967295ELNS1_3gpuE0ELNS1_3repE0EEENS1_30default_config_static_selectorELNS0_4arch9wavefront6targetE0EEEvSV_
    .private_segment_fixed_size: 0
    .sgpr_count:     20
    .sgpr_spill_count: 0
    .symbol:         _ZN7rocprim17ROCPRIM_400000_NS6detail17trampoline_kernelINS0_14default_configENS1_27upper_bound_config_selectorIflEEZNS1_14transform_implILb0ES3_S5_N6thrust23THRUST_200600_302600_NS6detail15normal_iteratorINS8_7pointerIfNS8_11hip_rocprim3tagENS8_11use_defaultESE_EEEENSA_INSB_IlSD_SE_SE_EEEEZNS1_13binary_searchIS3_S5_NSA_INS8_10device_ptrIfEEEESG_SI_NS1_21upper_bound_search_opENS9_16wrapped_functionINS8_7greaterIfEEbEEEE10hipError_tPvRmT1_T2_T3_mmT4_T5_P12ihipStream_tbEUlRKfE_EESS_SW_SX_mSY_S11_bEUlT_E_NS1_11comp_targetILNS1_3genE0ELNS1_11target_archE4294967295ELNS1_3gpuE0ELNS1_3repE0EEENS1_30default_config_static_selectorELNS0_4arch9wavefront6targetE0EEEvSV_.kd
    .uniform_work_group_size: 1
    .uses_dynamic_stack: false
    .vgpr_count:     11
    .vgpr_spill_count: 0
    .wavefront_size: 32
  - .args:
      - .offset:         0
        .size:           56
        .value_kind:     by_value
    .group_segment_fixed_size: 0
    .kernarg_segment_align: 8
    .kernarg_segment_size: 56
    .language:       OpenCL C
    .language_version:
      - 2
      - 0
    .max_flat_workgroup_size: 256
    .name:           _ZN7rocprim17ROCPRIM_400000_NS6detail17trampoline_kernelINS0_14default_configENS1_27upper_bound_config_selectorIflEEZNS1_14transform_implILb0ES3_S5_N6thrust23THRUST_200600_302600_NS6detail15normal_iteratorINS8_7pointerIfNS8_11hip_rocprim3tagENS8_11use_defaultESE_EEEENSA_INSB_IlSD_SE_SE_EEEEZNS1_13binary_searchIS3_S5_NSA_INS8_10device_ptrIfEEEESG_SI_NS1_21upper_bound_search_opENS9_16wrapped_functionINS8_7greaterIfEEbEEEE10hipError_tPvRmT1_T2_T3_mmT4_T5_P12ihipStream_tbEUlRKfE_EESS_SW_SX_mSY_S11_bEUlT_E_NS1_11comp_targetILNS1_3genE5ELNS1_11target_archE942ELNS1_3gpuE9ELNS1_3repE0EEENS1_30default_config_static_selectorELNS0_4arch9wavefront6targetE0EEEvSV_
    .private_segment_fixed_size: 0
    .sgpr_count:     0
    .sgpr_spill_count: 0
    .symbol:         _ZN7rocprim17ROCPRIM_400000_NS6detail17trampoline_kernelINS0_14default_configENS1_27upper_bound_config_selectorIflEEZNS1_14transform_implILb0ES3_S5_N6thrust23THRUST_200600_302600_NS6detail15normal_iteratorINS8_7pointerIfNS8_11hip_rocprim3tagENS8_11use_defaultESE_EEEENSA_INSB_IlSD_SE_SE_EEEEZNS1_13binary_searchIS3_S5_NSA_INS8_10device_ptrIfEEEESG_SI_NS1_21upper_bound_search_opENS9_16wrapped_functionINS8_7greaterIfEEbEEEE10hipError_tPvRmT1_T2_T3_mmT4_T5_P12ihipStream_tbEUlRKfE_EESS_SW_SX_mSY_S11_bEUlT_E_NS1_11comp_targetILNS1_3genE5ELNS1_11target_archE942ELNS1_3gpuE9ELNS1_3repE0EEENS1_30default_config_static_selectorELNS0_4arch9wavefront6targetE0EEEvSV_.kd
    .uniform_work_group_size: 1
    .uses_dynamic_stack: false
    .vgpr_count:     0
    .vgpr_spill_count: 0
    .wavefront_size: 32
  - .args:
      - .offset:         0
        .size:           56
        .value_kind:     by_value
    .group_segment_fixed_size: 0
    .kernarg_segment_align: 8
    .kernarg_segment_size: 56
    .language:       OpenCL C
    .language_version:
      - 2
      - 0
    .max_flat_workgroup_size: 256
    .name:           _ZN7rocprim17ROCPRIM_400000_NS6detail17trampoline_kernelINS0_14default_configENS1_27upper_bound_config_selectorIflEEZNS1_14transform_implILb0ES3_S5_N6thrust23THRUST_200600_302600_NS6detail15normal_iteratorINS8_7pointerIfNS8_11hip_rocprim3tagENS8_11use_defaultESE_EEEENSA_INSB_IlSD_SE_SE_EEEEZNS1_13binary_searchIS3_S5_NSA_INS8_10device_ptrIfEEEESG_SI_NS1_21upper_bound_search_opENS9_16wrapped_functionINS8_7greaterIfEEbEEEE10hipError_tPvRmT1_T2_T3_mmT4_T5_P12ihipStream_tbEUlRKfE_EESS_SW_SX_mSY_S11_bEUlT_E_NS1_11comp_targetILNS1_3genE4ELNS1_11target_archE910ELNS1_3gpuE8ELNS1_3repE0EEENS1_30default_config_static_selectorELNS0_4arch9wavefront6targetE0EEEvSV_
    .private_segment_fixed_size: 0
    .sgpr_count:     0
    .sgpr_spill_count: 0
    .symbol:         _ZN7rocprim17ROCPRIM_400000_NS6detail17trampoline_kernelINS0_14default_configENS1_27upper_bound_config_selectorIflEEZNS1_14transform_implILb0ES3_S5_N6thrust23THRUST_200600_302600_NS6detail15normal_iteratorINS8_7pointerIfNS8_11hip_rocprim3tagENS8_11use_defaultESE_EEEENSA_INSB_IlSD_SE_SE_EEEEZNS1_13binary_searchIS3_S5_NSA_INS8_10device_ptrIfEEEESG_SI_NS1_21upper_bound_search_opENS9_16wrapped_functionINS8_7greaterIfEEbEEEE10hipError_tPvRmT1_T2_T3_mmT4_T5_P12ihipStream_tbEUlRKfE_EESS_SW_SX_mSY_S11_bEUlT_E_NS1_11comp_targetILNS1_3genE4ELNS1_11target_archE910ELNS1_3gpuE8ELNS1_3repE0EEENS1_30default_config_static_selectorELNS0_4arch9wavefront6targetE0EEEvSV_.kd
    .uniform_work_group_size: 1
    .uses_dynamic_stack: false
    .vgpr_count:     0
    .vgpr_spill_count: 0
    .wavefront_size: 32
  - .args:
      - .offset:         0
        .size:           56
        .value_kind:     by_value
    .group_segment_fixed_size: 0
    .kernarg_segment_align: 8
    .kernarg_segment_size: 56
    .language:       OpenCL C
    .language_version:
      - 2
      - 0
    .max_flat_workgroup_size: 256
    .name:           _ZN7rocprim17ROCPRIM_400000_NS6detail17trampoline_kernelINS0_14default_configENS1_27upper_bound_config_selectorIflEEZNS1_14transform_implILb0ES3_S5_N6thrust23THRUST_200600_302600_NS6detail15normal_iteratorINS8_7pointerIfNS8_11hip_rocprim3tagENS8_11use_defaultESE_EEEENSA_INSB_IlSD_SE_SE_EEEEZNS1_13binary_searchIS3_S5_NSA_INS8_10device_ptrIfEEEESG_SI_NS1_21upper_bound_search_opENS9_16wrapped_functionINS8_7greaterIfEEbEEEE10hipError_tPvRmT1_T2_T3_mmT4_T5_P12ihipStream_tbEUlRKfE_EESS_SW_SX_mSY_S11_bEUlT_E_NS1_11comp_targetILNS1_3genE3ELNS1_11target_archE908ELNS1_3gpuE7ELNS1_3repE0EEENS1_30default_config_static_selectorELNS0_4arch9wavefront6targetE0EEEvSV_
    .private_segment_fixed_size: 0
    .sgpr_count:     0
    .sgpr_spill_count: 0
    .symbol:         _ZN7rocprim17ROCPRIM_400000_NS6detail17trampoline_kernelINS0_14default_configENS1_27upper_bound_config_selectorIflEEZNS1_14transform_implILb0ES3_S5_N6thrust23THRUST_200600_302600_NS6detail15normal_iteratorINS8_7pointerIfNS8_11hip_rocprim3tagENS8_11use_defaultESE_EEEENSA_INSB_IlSD_SE_SE_EEEEZNS1_13binary_searchIS3_S5_NSA_INS8_10device_ptrIfEEEESG_SI_NS1_21upper_bound_search_opENS9_16wrapped_functionINS8_7greaterIfEEbEEEE10hipError_tPvRmT1_T2_T3_mmT4_T5_P12ihipStream_tbEUlRKfE_EESS_SW_SX_mSY_S11_bEUlT_E_NS1_11comp_targetILNS1_3genE3ELNS1_11target_archE908ELNS1_3gpuE7ELNS1_3repE0EEENS1_30default_config_static_selectorELNS0_4arch9wavefront6targetE0EEEvSV_.kd
    .uniform_work_group_size: 1
    .uses_dynamic_stack: false
    .vgpr_count:     0
    .vgpr_spill_count: 0
    .wavefront_size: 32
  - .args:
      - .offset:         0
        .size:           56
        .value_kind:     by_value
    .group_segment_fixed_size: 0
    .kernarg_segment_align: 8
    .kernarg_segment_size: 56
    .language:       OpenCL C
    .language_version:
      - 2
      - 0
    .max_flat_workgroup_size: 256
    .name:           _ZN7rocprim17ROCPRIM_400000_NS6detail17trampoline_kernelINS0_14default_configENS1_27upper_bound_config_selectorIflEEZNS1_14transform_implILb0ES3_S5_N6thrust23THRUST_200600_302600_NS6detail15normal_iteratorINS8_7pointerIfNS8_11hip_rocprim3tagENS8_11use_defaultESE_EEEENSA_INSB_IlSD_SE_SE_EEEEZNS1_13binary_searchIS3_S5_NSA_INS8_10device_ptrIfEEEESG_SI_NS1_21upper_bound_search_opENS9_16wrapped_functionINS8_7greaterIfEEbEEEE10hipError_tPvRmT1_T2_T3_mmT4_T5_P12ihipStream_tbEUlRKfE_EESS_SW_SX_mSY_S11_bEUlT_E_NS1_11comp_targetILNS1_3genE2ELNS1_11target_archE906ELNS1_3gpuE6ELNS1_3repE0EEENS1_30default_config_static_selectorELNS0_4arch9wavefront6targetE0EEEvSV_
    .private_segment_fixed_size: 0
    .sgpr_count:     0
    .sgpr_spill_count: 0
    .symbol:         _ZN7rocprim17ROCPRIM_400000_NS6detail17trampoline_kernelINS0_14default_configENS1_27upper_bound_config_selectorIflEEZNS1_14transform_implILb0ES3_S5_N6thrust23THRUST_200600_302600_NS6detail15normal_iteratorINS8_7pointerIfNS8_11hip_rocprim3tagENS8_11use_defaultESE_EEEENSA_INSB_IlSD_SE_SE_EEEEZNS1_13binary_searchIS3_S5_NSA_INS8_10device_ptrIfEEEESG_SI_NS1_21upper_bound_search_opENS9_16wrapped_functionINS8_7greaterIfEEbEEEE10hipError_tPvRmT1_T2_T3_mmT4_T5_P12ihipStream_tbEUlRKfE_EESS_SW_SX_mSY_S11_bEUlT_E_NS1_11comp_targetILNS1_3genE2ELNS1_11target_archE906ELNS1_3gpuE6ELNS1_3repE0EEENS1_30default_config_static_selectorELNS0_4arch9wavefront6targetE0EEEvSV_.kd
    .uniform_work_group_size: 1
    .uses_dynamic_stack: false
    .vgpr_count:     0
    .vgpr_spill_count: 0
    .wavefront_size: 32
  - .args:
      - .offset:         0
        .size:           56
        .value_kind:     by_value
    .group_segment_fixed_size: 0
    .kernarg_segment_align: 8
    .kernarg_segment_size: 56
    .language:       OpenCL C
    .language_version:
      - 2
      - 0
    .max_flat_workgroup_size: 128
    .name:           _ZN7rocprim17ROCPRIM_400000_NS6detail17trampoline_kernelINS0_14default_configENS1_27upper_bound_config_selectorIflEEZNS1_14transform_implILb0ES3_S5_N6thrust23THRUST_200600_302600_NS6detail15normal_iteratorINS8_7pointerIfNS8_11hip_rocprim3tagENS8_11use_defaultESE_EEEENSA_INSB_IlSD_SE_SE_EEEEZNS1_13binary_searchIS3_S5_NSA_INS8_10device_ptrIfEEEESG_SI_NS1_21upper_bound_search_opENS9_16wrapped_functionINS8_7greaterIfEEbEEEE10hipError_tPvRmT1_T2_T3_mmT4_T5_P12ihipStream_tbEUlRKfE_EESS_SW_SX_mSY_S11_bEUlT_E_NS1_11comp_targetILNS1_3genE10ELNS1_11target_archE1201ELNS1_3gpuE5ELNS1_3repE0EEENS1_30default_config_static_selectorELNS0_4arch9wavefront6targetE0EEEvSV_
    .private_segment_fixed_size: 0
    .sgpr_count:     0
    .sgpr_spill_count: 0
    .symbol:         _ZN7rocprim17ROCPRIM_400000_NS6detail17trampoline_kernelINS0_14default_configENS1_27upper_bound_config_selectorIflEEZNS1_14transform_implILb0ES3_S5_N6thrust23THRUST_200600_302600_NS6detail15normal_iteratorINS8_7pointerIfNS8_11hip_rocprim3tagENS8_11use_defaultESE_EEEENSA_INSB_IlSD_SE_SE_EEEEZNS1_13binary_searchIS3_S5_NSA_INS8_10device_ptrIfEEEESG_SI_NS1_21upper_bound_search_opENS9_16wrapped_functionINS8_7greaterIfEEbEEEE10hipError_tPvRmT1_T2_T3_mmT4_T5_P12ihipStream_tbEUlRKfE_EESS_SW_SX_mSY_S11_bEUlT_E_NS1_11comp_targetILNS1_3genE10ELNS1_11target_archE1201ELNS1_3gpuE5ELNS1_3repE0EEENS1_30default_config_static_selectorELNS0_4arch9wavefront6targetE0EEEvSV_.kd
    .uniform_work_group_size: 1
    .uses_dynamic_stack: false
    .vgpr_count:     0
    .vgpr_spill_count: 0
    .wavefront_size: 32
  - .args:
      - .offset:         0
        .size:           56
        .value_kind:     by_value
    .group_segment_fixed_size: 0
    .kernarg_segment_align: 8
    .kernarg_segment_size: 56
    .language:       OpenCL C
    .language_version:
      - 2
      - 0
    .max_flat_workgroup_size: 128
    .name:           _ZN7rocprim17ROCPRIM_400000_NS6detail17trampoline_kernelINS0_14default_configENS1_27upper_bound_config_selectorIflEEZNS1_14transform_implILb0ES3_S5_N6thrust23THRUST_200600_302600_NS6detail15normal_iteratorINS8_7pointerIfNS8_11hip_rocprim3tagENS8_11use_defaultESE_EEEENSA_INSB_IlSD_SE_SE_EEEEZNS1_13binary_searchIS3_S5_NSA_INS8_10device_ptrIfEEEESG_SI_NS1_21upper_bound_search_opENS9_16wrapped_functionINS8_7greaterIfEEbEEEE10hipError_tPvRmT1_T2_T3_mmT4_T5_P12ihipStream_tbEUlRKfE_EESS_SW_SX_mSY_S11_bEUlT_E_NS1_11comp_targetILNS1_3genE10ELNS1_11target_archE1200ELNS1_3gpuE4ELNS1_3repE0EEENS1_30default_config_static_selectorELNS0_4arch9wavefront6targetE0EEEvSV_
    .private_segment_fixed_size: 0
    .sgpr_count:     0
    .sgpr_spill_count: 0
    .symbol:         _ZN7rocprim17ROCPRIM_400000_NS6detail17trampoline_kernelINS0_14default_configENS1_27upper_bound_config_selectorIflEEZNS1_14transform_implILb0ES3_S5_N6thrust23THRUST_200600_302600_NS6detail15normal_iteratorINS8_7pointerIfNS8_11hip_rocprim3tagENS8_11use_defaultESE_EEEENSA_INSB_IlSD_SE_SE_EEEEZNS1_13binary_searchIS3_S5_NSA_INS8_10device_ptrIfEEEESG_SI_NS1_21upper_bound_search_opENS9_16wrapped_functionINS8_7greaterIfEEbEEEE10hipError_tPvRmT1_T2_T3_mmT4_T5_P12ihipStream_tbEUlRKfE_EESS_SW_SX_mSY_S11_bEUlT_E_NS1_11comp_targetILNS1_3genE10ELNS1_11target_archE1200ELNS1_3gpuE4ELNS1_3repE0EEENS1_30default_config_static_selectorELNS0_4arch9wavefront6targetE0EEEvSV_.kd
    .uniform_work_group_size: 1
    .uses_dynamic_stack: false
    .vgpr_count:     0
    .vgpr_spill_count: 0
    .wavefront_size: 32
  - .args:
      - .offset:         0
        .size:           56
        .value_kind:     by_value
    .group_segment_fixed_size: 0
    .kernarg_segment_align: 8
    .kernarg_segment_size: 56
    .language:       OpenCL C
    .language_version:
      - 2
      - 0
    .max_flat_workgroup_size: 256
    .name:           _ZN7rocprim17ROCPRIM_400000_NS6detail17trampoline_kernelINS0_14default_configENS1_27upper_bound_config_selectorIflEEZNS1_14transform_implILb0ES3_S5_N6thrust23THRUST_200600_302600_NS6detail15normal_iteratorINS8_7pointerIfNS8_11hip_rocprim3tagENS8_11use_defaultESE_EEEENSA_INSB_IlSD_SE_SE_EEEEZNS1_13binary_searchIS3_S5_NSA_INS8_10device_ptrIfEEEESG_SI_NS1_21upper_bound_search_opENS9_16wrapped_functionINS8_7greaterIfEEbEEEE10hipError_tPvRmT1_T2_T3_mmT4_T5_P12ihipStream_tbEUlRKfE_EESS_SW_SX_mSY_S11_bEUlT_E_NS1_11comp_targetILNS1_3genE9ELNS1_11target_archE1100ELNS1_3gpuE3ELNS1_3repE0EEENS1_30default_config_static_selectorELNS0_4arch9wavefront6targetE0EEEvSV_
    .private_segment_fixed_size: 0
    .sgpr_count:     0
    .sgpr_spill_count: 0
    .symbol:         _ZN7rocprim17ROCPRIM_400000_NS6detail17trampoline_kernelINS0_14default_configENS1_27upper_bound_config_selectorIflEEZNS1_14transform_implILb0ES3_S5_N6thrust23THRUST_200600_302600_NS6detail15normal_iteratorINS8_7pointerIfNS8_11hip_rocprim3tagENS8_11use_defaultESE_EEEENSA_INSB_IlSD_SE_SE_EEEEZNS1_13binary_searchIS3_S5_NSA_INS8_10device_ptrIfEEEESG_SI_NS1_21upper_bound_search_opENS9_16wrapped_functionINS8_7greaterIfEEbEEEE10hipError_tPvRmT1_T2_T3_mmT4_T5_P12ihipStream_tbEUlRKfE_EESS_SW_SX_mSY_S11_bEUlT_E_NS1_11comp_targetILNS1_3genE9ELNS1_11target_archE1100ELNS1_3gpuE3ELNS1_3repE0EEENS1_30default_config_static_selectorELNS0_4arch9wavefront6targetE0EEEvSV_.kd
    .uniform_work_group_size: 1
    .uses_dynamic_stack: false
    .vgpr_count:     0
    .vgpr_spill_count: 0
    .wavefront_size: 32
  - .args:
      - .offset:         0
        .size:           56
        .value_kind:     by_value
    .group_segment_fixed_size: 0
    .kernarg_segment_align: 8
    .kernarg_segment_size: 56
    .language:       OpenCL C
    .language_version:
      - 2
      - 0
    .max_flat_workgroup_size: 256
    .name:           _ZN7rocprim17ROCPRIM_400000_NS6detail17trampoline_kernelINS0_14default_configENS1_27upper_bound_config_selectorIflEEZNS1_14transform_implILb0ES3_S5_N6thrust23THRUST_200600_302600_NS6detail15normal_iteratorINS8_7pointerIfNS8_11hip_rocprim3tagENS8_11use_defaultESE_EEEENSA_INSB_IlSD_SE_SE_EEEEZNS1_13binary_searchIS3_S5_NSA_INS8_10device_ptrIfEEEESG_SI_NS1_21upper_bound_search_opENS9_16wrapped_functionINS8_7greaterIfEEbEEEE10hipError_tPvRmT1_T2_T3_mmT4_T5_P12ihipStream_tbEUlRKfE_EESS_SW_SX_mSY_S11_bEUlT_E_NS1_11comp_targetILNS1_3genE8ELNS1_11target_archE1030ELNS1_3gpuE2ELNS1_3repE0EEENS1_30default_config_static_selectorELNS0_4arch9wavefront6targetE0EEEvSV_
    .private_segment_fixed_size: 0
    .sgpr_count:     0
    .sgpr_spill_count: 0
    .symbol:         _ZN7rocprim17ROCPRIM_400000_NS6detail17trampoline_kernelINS0_14default_configENS1_27upper_bound_config_selectorIflEEZNS1_14transform_implILb0ES3_S5_N6thrust23THRUST_200600_302600_NS6detail15normal_iteratorINS8_7pointerIfNS8_11hip_rocprim3tagENS8_11use_defaultESE_EEEENSA_INSB_IlSD_SE_SE_EEEEZNS1_13binary_searchIS3_S5_NSA_INS8_10device_ptrIfEEEESG_SI_NS1_21upper_bound_search_opENS9_16wrapped_functionINS8_7greaterIfEEbEEEE10hipError_tPvRmT1_T2_T3_mmT4_T5_P12ihipStream_tbEUlRKfE_EESS_SW_SX_mSY_S11_bEUlT_E_NS1_11comp_targetILNS1_3genE8ELNS1_11target_archE1030ELNS1_3gpuE2ELNS1_3repE0EEENS1_30default_config_static_selectorELNS0_4arch9wavefront6targetE0EEEvSV_.kd
    .uniform_work_group_size: 1
    .uses_dynamic_stack: false
    .vgpr_count:     0
    .vgpr_spill_count: 0
    .wavefront_size: 32
  - .args:
      - .offset:         0
        .size:           56
        .value_kind:     by_value
      - .offset:         56
        .size:           4
        .value_kind:     hidden_block_count_x
      - .offset:         60
        .size:           4
        .value_kind:     hidden_block_count_y
      - .offset:         64
        .size:           4
        .value_kind:     hidden_block_count_z
      - .offset:         68
        .size:           2
        .value_kind:     hidden_group_size_x
      - .offset:         70
        .size:           2
        .value_kind:     hidden_group_size_y
      - .offset:         72
        .size:           2
        .value_kind:     hidden_group_size_z
      - .offset:         74
        .size:           2
        .value_kind:     hidden_remainder_x
      - .offset:         76
        .size:           2
        .value_kind:     hidden_remainder_y
      - .offset:         78
        .size:           2
        .value_kind:     hidden_remainder_z
      - .offset:         96
        .size:           8
        .value_kind:     hidden_global_offset_x
      - .offset:         104
        .size:           8
        .value_kind:     hidden_global_offset_y
      - .offset:         112
        .size:           8
        .value_kind:     hidden_global_offset_z
      - .offset:         120
        .size:           2
        .value_kind:     hidden_grid_dims
    .group_segment_fixed_size: 0
    .kernarg_segment_align: 8
    .kernarg_segment_size: 312
    .language:       OpenCL C
    .language_version:
      - 2
      - 0
    .max_flat_workgroup_size: 256
    .name:           _ZN7rocprim17ROCPRIM_400000_NS6detail17trampoline_kernelINS0_14default_configENS1_27upper_bound_config_selectorI14custom_numericlEEZNS1_14transform_implILb0ES3_S6_N6thrust23THRUST_200600_302600_NS6detail15normal_iteratorINS9_7pointerIS5_NS9_11hip_rocprim3tagENS9_11use_defaultESF_EEEENSB_INSC_IlSE_SF_SF_EEEEZNS1_13binary_searchIS3_S6_NSB_INS9_10device_ptrIS5_EEEESH_SJ_NS1_21upper_bound_search_opENSA_16wrapped_functionINS9_7greaterIS5_EEbEEEE10hipError_tPvRmT1_T2_T3_mmT4_T5_P12ihipStream_tbEUlRKS5_E_EEST_SX_SY_mSZ_S12_bEUlT_E_NS1_11comp_targetILNS1_3genE0ELNS1_11target_archE4294967295ELNS1_3gpuE0ELNS1_3repE0EEENS1_30default_config_static_selectorELNS0_4arch9wavefront6targetE0EEEvSW_
    .private_segment_fixed_size: 0
    .sgpr_count:     20
    .sgpr_spill_count: 0
    .symbol:         _ZN7rocprim17ROCPRIM_400000_NS6detail17trampoline_kernelINS0_14default_configENS1_27upper_bound_config_selectorI14custom_numericlEEZNS1_14transform_implILb0ES3_S6_N6thrust23THRUST_200600_302600_NS6detail15normal_iteratorINS9_7pointerIS5_NS9_11hip_rocprim3tagENS9_11use_defaultESF_EEEENSB_INSC_IlSE_SF_SF_EEEEZNS1_13binary_searchIS3_S6_NSB_INS9_10device_ptrIS5_EEEESH_SJ_NS1_21upper_bound_search_opENSA_16wrapped_functionINS9_7greaterIS5_EEbEEEE10hipError_tPvRmT1_T2_T3_mmT4_T5_P12ihipStream_tbEUlRKS5_E_EEST_SX_SY_mSZ_S12_bEUlT_E_NS1_11comp_targetILNS1_3genE0ELNS1_11target_archE4294967295ELNS1_3gpuE0ELNS1_3repE0EEENS1_30default_config_static_selectorELNS0_4arch9wavefront6targetE0EEEvSW_.kd
    .uniform_work_group_size: 1
    .uses_dynamic_stack: false
    .vgpr_count:     11
    .vgpr_spill_count: 0
    .wavefront_size: 32
  - .args:
      - .offset:         0
        .size:           56
        .value_kind:     by_value
    .group_segment_fixed_size: 0
    .kernarg_segment_align: 8
    .kernarg_segment_size: 56
    .language:       OpenCL C
    .language_version:
      - 2
      - 0
    .max_flat_workgroup_size: 256
    .name:           _ZN7rocprim17ROCPRIM_400000_NS6detail17trampoline_kernelINS0_14default_configENS1_27upper_bound_config_selectorI14custom_numericlEEZNS1_14transform_implILb0ES3_S6_N6thrust23THRUST_200600_302600_NS6detail15normal_iteratorINS9_7pointerIS5_NS9_11hip_rocprim3tagENS9_11use_defaultESF_EEEENSB_INSC_IlSE_SF_SF_EEEEZNS1_13binary_searchIS3_S6_NSB_INS9_10device_ptrIS5_EEEESH_SJ_NS1_21upper_bound_search_opENSA_16wrapped_functionINS9_7greaterIS5_EEbEEEE10hipError_tPvRmT1_T2_T3_mmT4_T5_P12ihipStream_tbEUlRKS5_E_EEST_SX_SY_mSZ_S12_bEUlT_E_NS1_11comp_targetILNS1_3genE5ELNS1_11target_archE942ELNS1_3gpuE9ELNS1_3repE0EEENS1_30default_config_static_selectorELNS0_4arch9wavefront6targetE0EEEvSW_
    .private_segment_fixed_size: 0
    .sgpr_count:     0
    .sgpr_spill_count: 0
    .symbol:         _ZN7rocprim17ROCPRIM_400000_NS6detail17trampoline_kernelINS0_14default_configENS1_27upper_bound_config_selectorI14custom_numericlEEZNS1_14transform_implILb0ES3_S6_N6thrust23THRUST_200600_302600_NS6detail15normal_iteratorINS9_7pointerIS5_NS9_11hip_rocprim3tagENS9_11use_defaultESF_EEEENSB_INSC_IlSE_SF_SF_EEEEZNS1_13binary_searchIS3_S6_NSB_INS9_10device_ptrIS5_EEEESH_SJ_NS1_21upper_bound_search_opENSA_16wrapped_functionINS9_7greaterIS5_EEbEEEE10hipError_tPvRmT1_T2_T3_mmT4_T5_P12ihipStream_tbEUlRKS5_E_EEST_SX_SY_mSZ_S12_bEUlT_E_NS1_11comp_targetILNS1_3genE5ELNS1_11target_archE942ELNS1_3gpuE9ELNS1_3repE0EEENS1_30default_config_static_selectorELNS0_4arch9wavefront6targetE0EEEvSW_.kd
    .uniform_work_group_size: 1
    .uses_dynamic_stack: false
    .vgpr_count:     0
    .vgpr_spill_count: 0
    .wavefront_size: 32
  - .args:
      - .offset:         0
        .size:           56
        .value_kind:     by_value
    .group_segment_fixed_size: 0
    .kernarg_segment_align: 8
    .kernarg_segment_size: 56
    .language:       OpenCL C
    .language_version:
      - 2
      - 0
    .max_flat_workgroup_size: 256
    .name:           _ZN7rocprim17ROCPRIM_400000_NS6detail17trampoline_kernelINS0_14default_configENS1_27upper_bound_config_selectorI14custom_numericlEEZNS1_14transform_implILb0ES3_S6_N6thrust23THRUST_200600_302600_NS6detail15normal_iteratorINS9_7pointerIS5_NS9_11hip_rocprim3tagENS9_11use_defaultESF_EEEENSB_INSC_IlSE_SF_SF_EEEEZNS1_13binary_searchIS3_S6_NSB_INS9_10device_ptrIS5_EEEESH_SJ_NS1_21upper_bound_search_opENSA_16wrapped_functionINS9_7greaterIS5_EEbEEEE10hipError_tPvRmT1_T2_T3_mmT4_T5_P12ihipStream_tbEUlRKS5_E_EEST_SX_SY_mSZ_S12_bEUlT_E_NS1_11comp_targetILNS1_3genE4ELNS1_11target_archE910ELNS1_3gpuE8ELNS1_3repE0EEENS1_30default_config_static_selectorELNS0_4arch9wavefront6targetE0EEEvSW_
    .private_segment_fixed_size: 0
    .sgpr_count:     0
    .sgpr_spill_count: 0
    .symbol:         _ZN7rocprim17ROCPRIM_400000_NS6detail17trampoline_kernelINS0_14default_configENS1_27upper_bound_config_selectorI14custom_numericlEEZNS1_14transform_implILb0ES3_S6_N6thrust23THRUST_200600_302600_NS6detail15normal_iteratorINS9_7pointerIS5_NS9_11hip_rocprim3tagENS9_11use_defaultESF_EEEENSB_INSC_IlSE_SF_SF_EEEEZNS1_13binary_searchIS3_S6_NSB_INS9_10device_ptrIS5_EEEESH_SJ_NS1_21upper_bound_search_opENSA_16wrapped_functionINS9_7greaterIS5_EEbEEEE10hipError_tPvRmT1_T2_T3_mmT4_T5_P12ihipStream_tbEUlRKS5_E_EEST_SX_SY_mSZ_S12_bEUlT_E_NS1_11comp_targetILNS1_3genE4ELNS1_11target_archE910ELNS1_3gpuE8ELNS1_3repE0EEENS1_30default_config_static_selectorELNS0_4arch9wavefront6targetE0EEEvSW_.kd
    .uniform_work_group_size: 1
    .uses_dynamic_stack: false
    .vgpr_count:     0
    .vgpr_spill_count: 0
    .wavefront_size: 32
  - .args:
      - .offset:         0
        .size:           56
        .value_kind:     by_value
    .group_segment_fixed_size: 0
    .kernarg_segment_align: 8
    .kernarg_segment_size: 56
    .language:       OpenCL C
    .language_version:
      - 2
      - 0
    .max_flat_workgroup_size: 256
    .name:           _ZN7rocprim17ROCPRIM_400000_NS6detail17trampoline_kernelINS0_14default_configENS1_27upper_bound_config_selectorI14custom_numericlEEZNS1_14transform_implILb0ES3_S6_N6thrust23THRUST_200600_302600_NS6detail15normal_iteratorINS9_7pointerIS5_NS9_11hip_rocprim3tagENS9_11use_defaultESF_EEEENSB_INSC_IlSE_SF_SF_EEEEZNS1_13binary_searchIS3_S6_NSB_INS9_10device_ptrIS5_EEEESH_SJ_NS1_21upper_bound_search_opENSA_16wrapped_functionINS9_7greaterIS5_EEbEEEE10hipError_tPvRmT1_T2_T3_mmT4_T5_P12ihipStream_tbEUlRKS5_E_EEST_SX_SY_mSZ_S12_bEUlT_E_NS1_11comp_targetILNS1_3genE3ELNS1_11target_archE908ELNS1_3gpuE7ELNS1_3repE0EEENS1_30default_config_static_selectorELNS0_4arch9wavefront6targetE0EEEvSW_
    .private_segment_fixed_size: 0
    .sgpr_count:     0
    .sgpr_spill_count: 0
    .symbol:         _ZN7rocprim17ROCPRIM_400000_NS6detail17trampoline_kernelINS0_14default_configENS1_27upper_bound_config_selectorI14custom_numericlEEZNS1_14transform_implILb0ES3_S6_N6thrust23THRUST_200600_302600_NS6detail15normal_iteratorINS9_7pointerIS5_NS9_11hip_rocprim3tagENS9_11use_defaultESF_EEEENSB_INSC_IlSE_SF_SF_EEEEZNS1_13binary_searchIS3_S6_NSB_INS9_10device_ptrIS5_EEEESH_SJ_NS1_21upper_bound_search_opENSA_16wrapped_functionINS9_7greaterIS5_EEbEEEE10hipError_tPvRmT1_T2_T3_mmT4_T5_P12ihipStream_tbEUlRKS5_E_EEST_SX_SY_mSZ_S12_bEUlT_E_NS1_11comp_targetILNS1_3genE3ELNS1_11target_archE908ELNS1_3gpuE7ELNS1_3repE0EEENS1_30default_config_static_selectorELNS0_4arch9wavefront6targetE0EEEvSW_.kd
    .uniform_work_group_size: 1
    .uses_dynamic_stack: false
    .vgpr_count:     0
    .vgpr_spill_count: 0
    .wavefront_size: 32
  - .args:
      - .offset:         0
        .size:           56
        .value_kind:     by_value
    .group_segment_fixed_size: 0
    .kernarg_segment_align: 8
    .kernarg_segment_size: 56
    .language:       OpenCL C
    .language_version:
      - 2
      - 0
    .max_flat_workgroup_size: 256
    .name:           _ZN7rocprim17ROCPRIM_400000_NS6detail17trampoline_kernelINS0_14default_configENS1_27upper_bound_config_selectorI14custom_numericlEEZNS1_14transform_implILb0ES3_S6_N6thrust23THRUST_200600_302600_NS6detail15normal_iteratorINS9_7pointerIS5_NS9_11hip_rocprim3tagENS9_11use_defaultESF_EEEENSB_INSC_IlSE_SF_SF_EEEEZNS1_13binary_searchIS3_S6_NSB_INS9_10device_ptrIS5_EEEESH_SJ_NS1_21upper_bound_search_opENSA_16wrapped_functionINS9_7greaterIS5_EEbEEEE10hipError_tPvRmT1_T2_T3_mmT4_T5_P12ihipStream_tbEUlRKS5_E_EEST_SX_SY_mSZ_S12_bEUlT_E_NS1_11comp_targetILNS1_3genE2ELNS1_11target_archE906ELNS1_3gpuE6ELNS1_3repE0EEENS1_30default_config_static_selectorELNS0_4arch9wavefront6targetE0EEEvSW_
    .private_segment_fixed_size: 0
    .sgpr_count:     0
    .sgpr_spill_count: 0
    .symbol:         _ZN7rocprim17ROCPRIM_400000_NS6detail17trampoline_kernelINS0_14default_configENS1_27upper_bound_config_selectorI14custom_numericlEEZNS1_14transform_implILb0ES3_S6_N6thrust23THRUST_200600_302600_NS6detail15normal_iteratorINS9_7pointerIS5_NS9_11hip_rocprim3tagENS9_11use_defaultESF_EEEENSB_INSC_IlSE_SF_SF_EEEEZNS1_13binary_searchIS3_S6_NSB_INS9_10device_ptrIS5_EEEESH_SJ_NS1_21upper_bound_search_opENSA_16wrapped_functionINS9_7greaterIS5_EEbEEEE10hipError_tPvRmT1_T2_T3_mmT4_T5_P12ihipStream_tbEUlRKS5_E_EEST_SX_SY_mSZ_S12_bEUlT_E_NS1_11comp_targetILNS1_3genE2ELNS1_11target_archE906ELNS1_3gpuE6ELNS1_3repE0EEENS1_30default_config_static_selectorELNS0_4arch9wavefront6targetE0EEEvSW_.kd
    .uniform_work_group_size: 1
    .uses_dynamic_stack: false
    .vgpr_count:     0
    .vgpr_spill_count: 0
    .wavefront_size: 32
  - .args:
      - .offset:         0
        .size:           56
        .value_kind:     by_value
    .group_segment_fixed_size: 0
    .kernarg_segment_align: 8
    .kernarg_segment_size: 56
    .language:       OpenCL C
    .language_version:
      - 2
      - 0
    .max_flat_workgroup_size: 256
    .name:           _ZN7rocprim17ROCPRIM_400000_NS6detail17trampoline_kernelINS0_14default_configENS1_27upper_bound_config_selectorI14custom_numericlEEZNS1_14transform_implILb0ES3_S6_N6thrust23THRUST_200600_302600_NS6detail15normal_iteratorINS9_7pointerIS5_NS9_11hip_rocprim3tagENS9_11use_defaultESF_EEEENSB_INSC_IlSE_SF_SF_EEEEZNS1_13binary_searchIS3_S6_NSB_INS9_10device_ptrIS5_EEEESH_SJ_NS1_21upper_bound_search_opENSA_16wrapped_functionINS9_7greaterIS5_EEbEEEE10hipError_tPvRmT1_T2_T3_mmT4_T5_P12ihipStream_tbEUlRKS5_E_EEST_SX_SY_mSZ_S12_bEUlT_E_NS1_11comp_targetILNS1_3genE10ELNS1_11target_archE1201ELNS1_3gpuE5ELNS1_3repE0EEENS1_30default_config_static_selectorELNS0_4arch9wavefront6targetE0EEEvSW_
    .private_segment_fixed_size: 0
    .sgpr_count:     0
    .sgpr_spill_count: 0
    .symbol:         _ZN7rocprim17ROCPRIM_400000_NS6detail17trampoline_kernelINS0_14default_configENS1_27upper_bound_config_selectorI14custom_numericlEEZNS1_14transform_implILb0ES3_S6_N6thrust23THRUST_200600_302600_NS6detail15normal_iteratorINS9_7pointerIS5_NS9_11hip_rocprim3tagENS9_11use_defaultESF_EEEENSB_INSC_IlSE_SF_SF_EEEEZNS1_13binary_searchIS3_S6_NSB_INS9_10device_ptrIS5_EEEESH_SJ_NS1_21upper_bound_search_opENSA_16wrapped_functionINS9_7greaterIS5_EEbEEEE10hipError_tPvRmT1_T2_T3_mmT4_T5_P12ihipStream_tbEUlRKS5_E_EEST_SX_SY_mSZ_S12_bEUlT_E_NS1_11comp_targetILNS1_3genE10ELNS1_11target_archE1201ELNS1_3gpuE5ELNS1_3repE0EEENS1_30default_config_static_selectorELNS0_4arch9wavefront6targetE0EEEvSW_.kd
    .uniform_work_group_size: 1
    .uses_dynamic_stack: false
    .vgpr_count:     0
    .vgpr_spill_count: 0
    .wavefront_size: 32
  - .args:
      - .offset:         0
        .size:           56
        .value_kind:     by_value
    .group_segment_fixed_size: 0
    .kernarg_segment_align: 8
    .kernarg_segment_size: 56
    .language:       OpenCL C
    .language_version:
      - 2
      - 0
    .max_flat_workgroup_size: 256
    .name:           _ZN7rocprim17ROCPRIM_400000_NS6detail17trampoline_kernelINS0_14default_configENS1_27upper_bound_config_selectorI14custom_numericlEEZNS1_14transform_implILb0ES3_S6_N6thrust23THRUST_200600_302600_NS6detail15normal_iteratorINS9_7pointerIS5_NS9_11hip_rocprim3tagENS9_11use_defaultESF_EEEENSB_INSC_IlSE_SF_SF_EEEEZNS1_13binary_searchIS3_S6_NSB_INS9_10device_ptrIS5_EEEESH_SJ_NS1_21upper_bound_search_opENSA_16wrapped_functionINS9_7greaterIS5_EEbEEEE10hipError_tPvRmT1_T2_T3_mmT4_T5_P12ihipStream_tbEUlRKS5_E_EEST_SX_SY_mSZ_S12_bEUlT_E_NS1_11comp_targetILNS1_3genE10ELNS1_11target_archE1200ELNS1_3gpuE4ELNS1_3repE0EEENS1_30default_config_static_selectorELNS0_4arch9wavefront6targetE0EEEvSW_
    .private_segment_fixed_size: 0
    .sgpr_count:     0
    .sgpr_spill_count: 0
    .symbol:         _ZN7rocprim17ROCPRIM_400000_NS6detail17trampoline_kernelINS0_14default_configENS1_27upper_bound_config_selectorI14custom_numericlEEZNS1_14transform_implILb0ES3_S6_N6thrust23THRUST_200600_302600_NS6detail15normal_iteratorINS9_7pointerIS5_NS9_11hip_rocprim3tagENS9_11use_defaultESF_EEEENSB_INSC_IlSE_SF_SF_EEEEZNS1_13binary_searchIS3_S6_NSB_INS9_10device_ptrIS5_EEEESH_SJ_NS1_21upper_bound_search_opENSA_16wrapped_functionINS9_7greaterIS5_EEbEEEE10hipError_tPvRmT1_T2_T3_mmT4_T5_P12ihipStream_tbEUlRKS5_E_EEST_SX_SY_mSZ_S12_bEUlT_E_NS1_11comp_targetILNS1_3genE10ELNS1_11target_archE1200ELNS1_3gpuE4ELNS1_3repE0EEENS1_30default_config_static_selectorELNS0_4arch9wavefront6targetE0EEEvSW_.kd
    .uniform_work_group_size: 1
    .uses_dynamic_stack: false
    .vgpr_count:     0
    .vgpr_spill_count: 0
    .wavefront_size: 32
  - .args:
      - .offset:         0
        .size:           56
        .value_kind:     by_value
    .group_segment_fixed_size: 0
    .kernarg_segment_align: 8
    .kernarg_segment_size: 56
    .language:       OpenCL C
    .language_version:
      - 2
      - 0
    .max_flat_workgroup_size: 256
    .name:           _ZN7rocprim17ROCPRIM_400000_NS6detail17trampoline_kernelINS0_14default_configENS1_27upper_bound_config_selectorI14custom_numericlEEZNS1_14transform_implILb0ES3_S6_N6thrust23THRUST_200600_302600_NS6detail15normal_iteratorINS9_7pointerIS5_NS9_11hip_rocprim3tagENS9_11use_defaultESF_EEEENSB_INSC_IlSE_SF_SF_EEEEZNS1_13binary_searchIS3_S6_NSB_INS9_10device_ptrIS5_EEEESH_SJ_NS1_21upper_bound_search_opENSA_16wrapped_functionINS9_7greaterIS5_EEbEEEE10hipError_tPvRmT1_T2_T3_mmT4_T5_P12ihipStream_tbEUlRKS5_E_EEST_SX_SY_mSZ_S12_bEUlT_E_NS1_11comp_targetILNS1_3genE9ELNS1_11target_archE1100ELNS1_3gpuE3ELNS1_3repE0EEENS1_30default_config_static_selectorELNS0_4arch9wavefront6targetE0EEEvSW_
    .private_segment_fixed_size: 0
    .sgpr_count:     0
    .sgpr_spill_count: 0
    .symbol:         _ZN7rocprim17ROCPRIM_400000_NS6detail17trampoline_kernelINS0_14default_configENS1_27upper_bound_config_selectorI14custom_numericlEEZNS1_14transform_implILb0ES3_S6_N6thrust23THRUST_200600_302600_NS6detail15normal_iteratorINS9_7pointerIS5_NS9_11hip_rocprim3tagENS9_11use_defaultESF_EEEENSB_INSC_IlSE_SF_SF_EEEEZNS1_13binary_searchIS3_S6_NSB_INS9_10device_ptrIS5_EEEESH_SJ_NS1_21upper_bound_search_opENSA_16wrapped_functionINS9_7greaterIS5_EEbEEEE10hipError_tPvRmT1_T2_T3_mmT4_T5_P12ihipStream_tbEUlRKS5_E_EEST_SX_SY_mSZ_S12_bEUlT_E_NS1_11comp_targetILNS1_3genE9ELNS1_11target_archE1100ELNS1_3gpuE3ELNS1_3repE0EEENS1_30default_config_static_selectorELNS0_4arch9wavefront6targetE0EEEvSW_.kd
    .uniform_work_group_size: 1
    .uses_dynamic_stack: false
    .vgpr_count:     0
    .vgpr_spill_count: 0
    .wavefront_size: 32
  - .args:
      - .offset:         0
        .size:           56
        .value_kind:     by_value
    .group_segment_fixed_size: 0
    .kernarg_segment_align: 8
    .kernarg_segment_size: 56
    .language:       OpenCL C
    .language_version:
      - 2
      - 0
    .max_flat_workgroup_size: 256
    .name:           _ZN7rocprim17ROCPRIM_400000_NS6detail17trampoline_kernelINS0_14default_configENS1_27upper_bound_config_selectorI14custom_numericlEEZNS1_14transform_implILb0ES3_S6_N6thrust23THRUST_200600_302600_NS6detail15normal_iteratorINS9_7pointerIS5_NS9_11hip_rocprim3tagENS9_11use_defaultESF_EEEENSB_INSC_IlSE_SF_SF_EEEEZNS1_13binary_searchIS3_S6_NSB_INS9_10device_ptrIS5_EEEESH_SJ_NS1_21upper_bound_search_opENSA_16wrapped_functionINS9_7greaterIS5_EEbEEEE10hipError_tPvRmT1_T2_T3_mmT4_T5_P12ihipStream_tbEUlRKS5_E_EEST_SX_SY_mSZ_S12_bEUlT_E_NS1_11comp_targetILNS1_3genE8ELNS1_11target_archE1030ELNS1_3gpuE2ELNS1_3repE0EEENS1_30default_config_static_selectorELNS0_4arch9wavefront6targetE0EEEvSW_
    .private_segment_fixed_size: 0
    .sgpr_count:     0
    .sgpr_spill_count: 0
    .symbol:         _ZN7rocprim17ROCPRIM_400000_NS6detail17trampoline_kernelINS0_14default_configENS1_27upper_bound_config_selectorI14custom_numericlEEZNS1_14transform_implILb0ES3_S6_N6thrust23THRUST_200600_302600_NS6detail15normal_iteratorINS9_7pointerIS5_NS9_11hip_rocprim3tagENS9_11use_defaultESF_EEEENSB_INSC_IlSE_SF_SF_EEEEZNS1_13binary_searchIS3_S6_NSB_INS9_10device_ptrIS5_EEEESH_SJ_NS1_21upper_bound_search_opENSA_16wrapped_functionINS9_7greaterIS5_EEbEEEE10hipError_tPvRmT1_T2_T3_mmT4_T5_P12ihipStream_tbEUlRKS5_E_EEST_SX_SY_mSZ_S12_bEUlT_E_NS1_11comp_targetILNS1_3genE8ELNS1_11target_archE1030ELNS1_3gpuE2ELNS1_3repE0EEENS1_30default_config_static_selectorELNS0_4arch9wavefront6targetE0EEEvSW_.kd
    .uniform_work_group_size: 1
    .uses_dynamic_stack: false
    .vgpr_count:     0
    .vgpr_spill_count: 0
    .wavefront_size: 32
  - .args:
      - .offset:         0
        .size:           56
        .value_kind:     by_value
      - .offset:         56
        .size:           4
        .value_kind:     hidden_block_count_x
      - .offset:         60
        .size:           4
        .value_kind:     hidden_block_count_y
      - .offset:         64
        .size:           4
        .value_kind:     hidden_block_count_z
      - .offset:         68
        .size:           2
        .value_kind:     hidden_group_size_x
      - .offset:         70
        .size:           2
        .value_kind:     hidden_group_size_y
      - .offset:         72
        .size:           2
        .value_kind:     hidden_group_size_z
      - .offset:         74
        .size:           2
        .value_kind:     hidden_remainder_x
      - .offset:         76
        .size:           2
        .value_kind:     hidden_remainder_y
      - .offset:         78
        .size:           2
        .value_kind:     hidden_remainder_z
      - .offset:         96
        .size:           8
        .value_kind:     hidden_global_offset_x
      - .offset:         104
        .size:           8
        .value_kind:     hidden_global_offset_y
      - .offset:         112
        .size:           8
        .value_kind:     hidden_global_offset_z
      - .offset:         120
        .size:           2
        .value_kind:     hidden_grid_dims
    .group_segment_fixed_size: 0
    .kernarg_segment_align: 8
    .kernarg_segment_size: 312
    .language:       OpenCL C
    .language_version:
      - 2
      - 0
    .max_flat_workgroup_size: 256
    .name:           _ZN7rocprim17ROCPRIM_400000_NS6detail17trampoline_kernelINS0_14default_configENS1_27upper_bound_config_selectorIilEEZNS1_14transform_implILb0ES3_S5_N6thrust23THRUST_200600_302600_NS6detail15normal_iteratorINS8_7pointerIiNS8_11hip_rocprim3tagENS8_11use_defaultESE_EEEENSA_INSB_IlSD_SE_SE_EEEEZNS1_13binary_searchIS3_S5_NSA_INSB_IiSD_NS8_16tagged_referenceIiSD_EESE_EEEESG_SI_NS1_21upper_bound_search_opENS9_16wrapped_functionINS8_7greaterIiEEbEEEE10hipError_tPvRmT1_T2_T3_mmT4_T5_P12ihipStream_tbEUlRKiE_EEST_SX_SY_mSZ_S12_bEUlT_E_NS1_11comp_targetILNS1_3genE0ELNS1_11target_archE4294967295ELNS1_3gpuE0ELNS1_3repE0EEENS1_30default_config_static_selectorELNS0_4arch9wavefront6targetE0EEEvSW_
    .private_segment_fixed_size: 0
    .sgpr_count:     20
    .sgpr_spill_count: 0
    .symbol:         _ZN7rocprim17ROCPRIM_400000_NS6detail17trampoline_kernelINS0_14default_configENS1_27upper_bound_config_selectorIilEEZNS1_14transform_implILb0ES3_S5_N6thrust23THRUST_200600_302600_NS6detail15normal_iteratorINS8_7pointerIiNS8_11hip_rocprim3tagENS8_11use_defaultESE_EEEENSA_INSB_IlSD_SE_SE_EEEEZNS1_13binary_searchIS3_S5_NSA_INSB_IiSD_NS8_16tagged_referenceIiSD_EESE_EEEESG_SI_NS1_21upper_bound_search_opENS9_16wrapped_functionINS8_7greaterIiEEbEEEE10hipError_tPvRmT1_T2_T3_mmT4_T5_P12ihipStream_tbEUlRKiE_EEST_SX_SY_mSZ_S12_bEUlT_E_NS1_11comp_targetILNS1_3genE0ELNS1_11target_archE4294967295ELNS1_3gpuE0ELNS1_3repE0EEENS1_30default_config_static_selectorELNS0_4arch9wavefront6targetE0EEEvSW_.kd
    .uniform_work_group_size: 1
    .uses_dynamic_stack: false
    .vgpr_count:     11
    .vgpr_spill_count: 0
    .wavefront_size: 32
  - .args:
      - .offset:         0
        .size:           56
        .value_kind:     by_value
    .group_segment_fixed_size: 0
    .kernarg_segment_align: 8
    .kernarg_segment_size: 56
    .language:       OpenCL C
    .language_version:
      - 2
      - 0
    .max_flat_workgroup_size: 256
    .name:           _ZN7rocprim17ROCPRIM_400000_NS6detail17trampoline_kernelINS0_14default_configENS1_27upper_bound_config_selectorIilEEZNS1_14transform_implILb0ES3_S5_N6thrust23THRUST_200600_302600_NS6detail15normal_iteratorINS8_7pointerIiNS8_11hip_rocprim3tagENS8_11use_defaultESE_EEEENSA_INSB_IlSD_SE_SE_EEEEZNS1_13binary_searchIS3_S5_NSA_INSB_IiSD_NS8_16tagged_referenceIiSD_EESE_EEEESG_SI_NS1_21upper_bound_search_opENS9_16wrapped_functionINS8_7greaterIiEEbEEEE10hipError_tPvRmT1_T2_T3_mmT4_T5_P12ihipStream_tbEUlRKiE_EEST_SX_SY_mSZ_S12_bEUlT_E_NS1_11comp_targetILNS1_3genE5ELNS1_11target_archE942ELNS1_3gpuE9ELNS1_3repE0EEENS1_30default_config_static_selectorELNS0_4arch9wavefront6targetE0EEEvSW_
    .private_segment_fixed_size: 0
    .sgpr_count:     0
    .sgpr_spill_count: 0
    .symbol:         _ZN7rocprim17ROCPRIM_400000_NS6detail17trampoline_kernelINS0_14default_configENS1_27upper_bound_config_selectorIilEEZNS1_14transform_implILb0ES3_S5_N6thrust23THRUST_200600_302600_NS6detail15normal_iteratorINS8_7pointerIiNS8_11hip_rocprim3tagENS8_11use_defaultESE_EEEENSA_INSB_IlSD_SE_SE_EEEEZNS1_13binary_searchIS3_S5_NSA_INSB_IiSD_NS8_16tagged_referenceIiSD_EESE_EEEESG_SI_NS1_21upper_bound_search_opENS9_16wrapped_functionINS8_7greaterIiEEbEEEE10hipError_tPvRmT1_T2_T3_mmT4_T5_P12ihipStream_tbEUlRKiE_EEST_SX_SY_mSZ_S12_bEUlT_E_NS1_11comp_targetILNS1_3genE5ELNS1_11target_archE942ELNS1_3gpuE9ELNS1_3repE0EEENS1_30default_config_static_selectorELNS0_4arch9wavefront6targetE0EEEvSW_.kd
    .uniform_work_group_size: 1
    .uses_dynamic_stack: false
    .vgpr_count:     0
    .vgpr_spill_count: 0
    .wavefront_size: 32
  - .args:
      - .offset:         0
        .size:           56
        .value_kind:     by_value
    .group_segment_fixed_size: 0
    .kernarg_segment_align: 8
    .kernarg_segment_size: 56
    .language:       OpenCL C
    .language_version:
      - 2
      - 0
    .max_flat_workgroup_size: 256
    .name:           _ZN7rocprim17ROCPRIM_400000_NS6detail17trampoline_kernelINS0_14default_configENS1_27upper_bound_config_selectorIilEEZNS1_14transform_implILb0ES3_S5_N6thrust23THRUST_200600_302600_NS6detail15normal_iteratorINS8_7pointerIiNS8_11hip_rocprim3tagENS8_11use_defaultESE_EEEENSA_INSB_IlSD_SE_SE_EEEEZNS1_13binary_searchIS3_S5_NSA_INSB_IiSD_NS8_16tagged_referenceIiSD_EESE_EEEESG_SI_NS1_21upper_bound_search_opENS9_16wrapped_functionINS8_7greaterIiEEbEEEE10hipError_tPvRmT1_T2_T3_mmT4_T5_P12ihipStream_tbEUlRKiE_EEST_SX_SY_mSZ_S12_bEUlT_E_NS1_11comp_targetILNS1_3genE4ELNS1_11target_archE910ELNS1_3gpuE8ELNS1_3repE0EEENS1_30default_config_static_selectorELNS0_4arch9wavefront6targetE0EEEvSW_
    .private_segment_fixed_size: 0
    .sgpr_count:     0
    .sgpr_spill_count: 0
    .symbol:         _ZN7rocprim17ROCPRIM_400000_NS6detail17trampoline_kernelINS0_14default_configENS1_27upper_bound_config_selectorIilEEZNS1_14transform_implILb0ES3_S5_N6thrust23THRUST_200600_302600_NS6detail15normal_iteratorINS8_7pointerIiNS8_11hip_rocprim3tagENS8_11use_defaultESE_EEEENSA_INSB_IlSD_SE_SE_EEEEZNS1_13binary_searchIS3_S5_NSA_INSB_IiSD_NS8_16tagged_referenceIiSD_EESE_EEEESG_SI_NS1_21upper_bound_search_opENS9_16wrapped_functionINS8_7greaterIiEEbEEEE10hipError_tPvRmT1_T2_T3_mmT4_T5_P12ihipStream_tbEUlRKiE_EEST_SX_SY_mSZ_S12_bEUlT_E_NS1_11comp_targetILNS1_3genE4ELNS1_11target_archE910ELNS1_3gpuE8ELNS1_3repE0EEENS1_30default_config_static_selectorELNS0_4arch9wavefront6targetE0EEEvSW_.kd
    .uniform_work_group_size: 1
    .uses_dynamic_stack: false
    .vgpr_count:     0
    .vgpr_spill_count: 0
    .wavefront_size: 32
  - .args:
      - .offset:         0
        .size:           56
        .value_kind:     by_value
    .group_segment_fixed_size: 0
    .kernarg_segment_align: 8
    .kernarg_segment_size: 56
    .language:       OpenCL C
    .language_version:
      - 2
      - 0
    .max_flat_workgroup_size: 256
    .name:           _ZN7rocprim17ROCPRIM_400000_NS6detail17trampoline_kernelINS0_14default_configENS1_27upper_bound_config_selectorIilEEZNS1_14transform_implILb0ES3_S5_N6thrust23THRUST_200600_302600_NS6detail15normal_iteratorINS8_7pointerIiNS8_11hip_rocprim3tagENS8_11use_defaultESE_EEEENSA_INSB_IlSD_SE_SE_EEEEZNS1_13binary_searchIS3_S5_NSA_INSB_IiSD_NS8_16tagged_referenceIiSD_EESE_EEEESG_SI_NS1_21upper_bound_search_opENS9_16wrapped_functionINS8_7greaterIiEEbEEEE10hipError_tPvRmT1_T2_T3_mmT4_T5_P12ihipStream_tbEUlRKiE_EEST_SX_SY_mSZ_S12_bEUlT_E_NS1_11comp_targetILNS1_3genE3ELNS1_11target_archE908ELNS1_3gpuE7ELNS1_3repE0EEENS1_30default_config_static_selectorELNS0_4arch9wavefront6targetE0EEEvSW_
    .private_segment_fixed_size: 0
    .sgpr_count:     0
    .sgpr_spill_count: 0
    .symbol:         _ZN7rocprim17ROCPRIM_400000_NS6detail17trampoline_kernelINS0_14default_configENS1_27upper_bound_config_selectorIilEEZNS1_14transform_implILb0ES3_S5_N6thrust23THRUST_200600_302600_NS6detail15normal_iteratorINS8_7pointerIiNS8_11hip_rocprim3tagENS8_11use_defaultESE_EEEENSA_INSB_IlSD_SE_SE_EEEEZNS1_13binary_searchIS3_S5_NSA_INSB_IiSD_NS8_16tagged_referenceIiSD_EESE_EEEESG_SI_NS1_21upper_bound_search_opENS9_16wrapped_functionINS8_7greaterIiEEbEEEE10hipError_tPvRmT1_T2_T3_mmT4_T5_P12ihipStream_tbEUlRKiE_EEST_SX_SY_mSZ_S12_bEUlT_E_NS1_11comp_targetILNS1_3genE3ELNS1_11target_archE908ELNS1_3gpuE7ELNS1_3repE0EEENS1_30default_config_static_selectorELNS0_4arch9wavefront6targetE0EEEvSW_.kd
    .uniform_work_group_size: 1
    .uses_dynamic_stack: false
    .vgpr_count:     0
    .vgpr_spill_count: 0
    .wavefront_size: 32
  - .args:
      - .offset:         0
        .size:           56
        .value_kind:     by_value
    .group_segment_fixed_size: 0
    .kernarg_segment_align: 8
    .kernarg_segment_size: 56
    .language:       OpenCL C
    .language_version:
      - 2
      - 0
    .max_flat_workgroup_size: 256
    .name:           _ZN7rocprim17ROCPRIM_400000_NS6detail17trampoline_kernelINS0_14default_configENS1_27upper_bound_config_selectorIilEEZNS1_14transform_implILb0ES3_S5_N6thrust23THRUST_200600_302600_NS6detail15normal_iteratorINS8_7pointerIiNS8_11hip_rocprim3tagENS8_11use_defaultESE_EEEENSA_INSB_IlSD_SE_SE_EEEEZNS1_13binary_searchIS3_S5_NSA_INSB_IiSD_NS8_16tagged_referenceIiSD_EESE_EEEESG_SI_NS1_21upper_bound_search_opENS9_16wrapped_functionINS8_7greaterIiEEbEEEE10hipError_tPvRmT1_T2_T3_mmT4_T5_P12ihipStream_tbEUlRKiE_EEST_SX_SY_mSZ_S12_bEUlT_E_NS1_11comp_targetILNS1_3genE2ELNS1_11target_archE906ELNS1_3gpuE6ELNS1_3repE0EEENS1_30default_config_static_selectorELNS0_4arch9wavefront6targetE0EEEvSW_
    .private_segment_fixed_size: 0
    .sgpr_count:     0
    .sgpr_spill_count: 0
    .symbol:         _ZN7rocprim17ROCPRIM_400000_NS6detail17trampoline_kernelINS0_14default_configENS1_27upper_bound_config_selectorIilEEZNS1_14transform_implILb0ES3_S5_N6thrust23THRUST_200600_302600_NS6detail15normal_iteratorINS8_7pointerIiNS8_11hip_rocprim3tagENS8_11use_defaultESE_EEEENSA_INSB_IlSD_SE_SE_EEEEZNS1_13binary_searchIS3_S5_NSA_INSB_IiSD_NS8_16tagged_referenceIiSD_EESE_EEEESG_SI_NS1_21upper_bound_search_opENS9_16wrapped_functionINS8_7greaterIiEEbEEEE10hipError_tPvRmT1_T2_T3_mmT4_T5_P12ihipStream_tbEUlRKiE_EEST_SX_SY_mSZ_S12_bEUlT_E_NS1_11comp_targetILNS1_3genE2ELNS1_11target_archE906ELNS1_3gpuE6ELNS1_3repE0EEENS1_30default_config_static_selectorELNS0_4arch9wavefront6targetE0EEEvSW_.kd
    .uniform_work_group_size: 1
    .uses_dynamic_stack: false
    .vgpr_count:     0
    .vgpr_spill_count: 0
    .wavefront_size: 32
  - .args:
      - .offset:         0
        .size:           56
        .value_kind:     by_value
    .group_segment_fixed_size: 0
    .kernarg_segment_align: 8
    .kernarg_segment_size: 56
    .language:       OpenCL C
    .language_version:
      - 2
      - 0
    .max_flat_workgroup_size: 128
    .name:           _ZN7rocprim17ROCPRIM_400000_NS6detail17trampoline_kernelINS0_14default_configENS1_27upper_bound_config_selectorIilEEZNS1_14transform_implILb0ES3_S5_N6thrust23THRUST_200600_302600_NS6detail15normal_iteratorINS8_7pointerIiNS8_11hip_rocprim3tagENS8_11use_defaultESE_EEEENSA_INSB_IlSD_SE_SE_EEEEZNS1_13binary_searchIS3_S5_NSA_INSB_IiSD_NS8_16tagged_referenceIiSD_EESE_EEEESG_SI_NS1_21upper_bound_search_opENS9_16wrapped_functionINS8_7greaterIiEEbEEEE10hipError_tPvRmT1_T2_T3_mmT4_T5_P12ihipStream_tbEUlRKiE_EEST_SX_SY_mSZ_S12_bEUlT_E_NS1_11comp_targetILNS1_3genE10ELNS1_11target_archE1201ELNS1_3gpuE5ELNS1_3repE0EEENS1_30default_config_static_selectorELNS0_4arch9wavefront6targetE0EEEvSW_
    .private_segment_fixed_size: 0
    .sgpr_count:     0
    .sgpr_spill_count: 0
    .symbol:         _ZN7rocprim17ROCPRIM_400000_NS6detail17trampoline_kernelINS0_14default_configENS1_27upper_bound_config_selectorIilEEZNS1_14transform_implILb0ES3_S5_N6thrust23THRUST_200600_302600_NS6detail15normal_iteratorINS8_7pointerIiNS8_11hip_rocprim3tagENS8_11use_defaultESE_EEEENSA_INSB_IlSD_SE_SE_EEEEZNS1_13binary_searchIS3_S5_NSA_INSB_IiSD_NS8_16tagged_referenceIiSD_EESE_EEEESG_SI_NS1_21upper_bound_search_opENS9_16wrapped_functionINS8_7greaterIiEEbEEEE10hipError_tPvRmT1_T2_T3_mmT4_T5_P12ihipStream_tbEUlRKiE_EEST_SX_SY_mSZ_S12_bEUlT_E_NS1_11comp_targetILNS1_3genE10ELNS1_11target_archE1201ELNS1_3gpuE5ELNS1_3repE0EEENS1_30default_config_static_selectorELNS0_4arch9wavefront6targetE0EEEvSW_.kd
    .uniform_work_group_size: 1
    .uses_dynamic_stack: false
    .vgpr_count:     0
    .vgpr_spill_count: 0
    .wavefront_size: 32
  - .args:
      - .offset:         0
        .size:           56
        .value_kind:     by_value
    .group_segment_fixed_size: 0
    .kernarg_segment_align: 8
    .kernarg_segment_size: 56
    .language:       OpenCL C
    .language_version:
      - 2
      - 0
    .max_flat_workgroup_size: 128
    .name:           _ZN7rocprim17ROCPRIM_400000_NS6detail17trampoline_kernelINS0_14default_configENS1_27upper_bound_config_selectorIilEEZNS1_14transform_implILb0ES3_S5_N6thrust23THRUST_200600_302600_NS6detail15normal_iteratorINS8_7pointerIiNS8_11hip_rocprim3tagENS8_11use_defaultESE_EEEENSA_INSB_IlSD_SE_SE_EEEEZNS1_13binary_searchIS3_S5_NSA_INSB_IiSD_NS8_16tagged_referenceIiSD_EESE_EEEESG_SI_NS1_21upper_bound_search_opENS9_16wrapped_functionINS8_7greaterIiEEbEEEE10hipError_tPvRmT1_T2_T3_mmT4_T5_P12ihipStream_tbEUlRKiE_EEST_SX_SY_mSZ_S12_bEUlT_E_NS1_11comp_targetILNS1_3genE10ELNS1_11target_archE1200ELNS1_3gpuE4ELNS1_3repE0EEENS1_30default_config_static_selectorELNS0_4arch9wavefront6targetE0EEEvSW_
    .private_segment_fixed_size: 0
    .sgpr_count:     0
    .sgpr_spill_count: 0
    .symbol:         _ZN7rocprim17ROCPRIM_400000_NS6detail17trampoline_kernelINS0_14default_configENS1_27upper_bound_config_selectorIilEEZNS1_14transform_implILb0ES3_S5_N6thrust23THRUST_200600_302600_NS6detail15normal_iteratorINS8_7pointerIiNS8_11hip_rocprim3tagENS8_11use_defaultESE_EEEENSA_INSB_IlSD_SE_SE_EEEEZNS1_13binary_searchIS3_S5_NSA_INSB_IiSD_NS8_16tagged_referenceIiSD_EESE_EEEESG_SI_NS1_21upper_bound_search_opENS9_16wrapped_functionINS8_7greaterIiEEbEEEE10hipError_tPvRmT1_T2_T3_mmT4_T5_P12ihipStream_tbEUlRKiE_EEST_SX_SY_mSZ_S12_bEUlT_E_NS1_11comp_targetILNS1_3genE10ELNS1_11target_archE1200ELNS1_3gpuE4ELNS1_3repE0EEENS1_30default_config_static_selectorELNS0_4arch9wavefront6targetE0EEEvSW_.kd
    .uniform_work_group_size: 1
    .uses_dynamic_stack: false
    .vgpr_count:     0
    .vgpr_spill_count: 0
    .wavefront_size: 32
  - .args:
      - .offset:         0
        .size:           56
        .value_kind:     by_value
    .group_segment_fixed_size: 0
    .kernarg_segment_align: 8
    .kernarg_segment_size: 56
    .language:       OpenCL C
    .language_version:
      - 2
      - 0
    .max_flat_workgroup_size: 256
    .name:           _ZN7rocprim17ROCPRIM_400000_NS6detail17trampoline_kernelINS0_14default_configENS1_27upper_bound_config_selectorIilEEZNS1_14transform_implILb0ES3_S5_N6thrust23THRUST_200600_302600_NS6detail15normal_iteratorINS8_7pointerIiNS8_11hip_rocprim3tagENS8_11use_defaultESE_EEEENSA_INSB_IlSD_SE_SE_EEEEZNS1_13binary_searchIS3_S5_NSA_INSB_IiSD_NS8_16tagged_referenceIiSD_EESE_EEEESG_SI_NS1_21upper_bound_search_opENS9_16wrapped_functionINS8_7greaterIiEEbEEEE10hipError_tPvRmT1_T2_T3_mmT4_T5_P12ihipStream_tbEUlRKiE_EEST_SX_SY_mSZ_S12_bEUlT_E_NS1_11comp_targetILNS1_3genE9ELNS1_11target_archE1100ELNS1_3gpuE3ELNS1_3repE0EEENS1_30default_config_static_selectorELNS0_4arch9wavefront6targetE0EEEvSW_
    .private_segment_fixed_size: 0
    .sgpr_count:     0
    .sgpr_spill_count: 0
    .symbol:         _ZN7rocprim17ROCPRIM_400000_NS6detail17trampoline_kernelINS0_14default_configENS1_27upper_bound_config_selectorIilEEZNS1_14transform_implILb0ES3_S5_N6thrust23THRUST_200600_302600_NS6detail15normal_iteratorINS8_7pointerIiNS8_11hip_rocprim3tagENS8_11use_defaultESE_EEEENSA_INSB_IlSD_SE_SE_EEEEZNS1_13binary_searchIS3_S5_NSA_INSB_IiSD_NS8_16tagged_referenceIiSD_EESE_EEEESG_SI_NS1_21upper_bound_search_opENS9_16wrapped_functionINS8_7greaterIiEEbEEEE10hipError_tPvRmT1_T2_T3_mmT4_T5_P12ihipStream_tbEUlRKiE_EEST_SX_SY_mSZ_S12_bEUlT_E_NS1_11comp_targetILNS1_3genE9ELNS1_11target_archE1100ELNS1_3gpuE3ELNS1_3repE0EEENS1_30default_config_static_selectorELNS0_4arch9wavefront6targetE0EEEvSW_.kd
    .uniform_work_group_size: 1
    .uses_dynamic_stack: false
    .vgpr_count:     0
    .vgpr_spill_count: 0
    .wavefront_size: 32
  - .args:
      - .offset:         0
        .size:           56
        .value_kind:     by_value
    .group_segment_fixed_size: 0
    .kernarg_segment_align: 8
    .kernarg_segment_size: 56
    .language:       OpenCL C
    .language_version:
      - 2
      - 0
    .max_flat_workgroup_size: 256
    .name:           _ZN7rocprim17ROCPRIM_400000_NS6detail17trampoline_kernelINS0_14default_configENS1_27upper_bound_config_selectorIilEEZNS1_14transform_implILb0ES3_S5_N6thrust23THRUST_200600_302600_NS6detail15normal_iteratorINS8_7pointerIiNS8_11hip_rocprim3tagENS8_11use_defaultESE_EEEENSA_INSB_IlSD_SE_SE_EEEEZNS1_13binary_searchIS3_S5_NSA_INSB_IiSD_NS8_16tagged_referenceIiSD_EESE_EEEESG_SI_NS1_21upper_bound_search_opENS9_16wrapped_functionINS8_7greaterIiEEbEEEE10hipError_tPvRmT1_T2_T3_mmT4_T5_P12ihipStream_tbEUlRKiE_EEST_SX_SY_mSZ_S12_bEUlT_E_NS1_11comp_targetILNS1_3genE8ELNS1_11target_archE1030ELNS1_3gpuE2ELNS1_3repE0EEENS1_30default_config_static_selectorELNS0_4arch9wavefront6targetE0EEEvSW_
    .private_segment_fixed_size: 0
    .sgpr_count:     0
    .sgpr_spill_count: 0
    .symbol:         _ZN7rocprim17ROCPRIM_400000_NS6detail17trampoline_kernelINS0_14default_configENS1_27upper_bound_config_selectorIilEEZNS1_14transform_implILb0ES3_S5_N6thrust23THRUST_200600_302600_NS6detail15normal_iteratorINS8_7pointerIiNS8_11hip_rocprim3tagENS8_11use_defaultESE_EEEENSA_INSB_IlSD_SE_SE_EEEEZNS1_13binary_searchIS3_S5_NSA_INSB_IiSD_NS8_16tagged_referenceIiSD_EESE_EEEESG_SI_NS1_21upper_bound_search_opENS9_16wrapped_functionINS8_7greaterIiEEbEEEE10hipError_tPvRmT1_T2_T3_mmT4_T5_P12ihipStream_tbEUlRKiE_EEST_SX_SY_mSZ_S12_bEUlT_E_NS1_11comp_targetILNS1_3genE8ELNS1_11target_archE1030ELNS1_3gpuE2ELNS1_3repE0EEENS1_30default_config_static_selectorELNS0_4arch9wavefront6targetE0EEEvSW_.kd
    .uniform_work_group_size: 1
    .uses_dynamic_stack: false
    .vgpr_count:     0
    .vgpr_spill_count: 0
    .wavefront_size: 32
  - .args:
      - .offset:         0
        .size:           56
        .value_kind:     by_value
      - .offset:         56
        .size:           4
        .value_kind:     hidden_block_count_x
      - .offset:         60
        .size:           4
        .value_kind:     hidden_block_count_y
      - .offset:         64
        .size:           4
        .value_kind:     hidden_block_count_z
      - .offset:         68
        .size:           2
        .value_kind:     hidden_group_size_x
      - .offset:         70
        .size:           2
        .value_kind:     hidden_group_size_y
      - .offset:         72
        .size:           2
        .value_kind:     hidden_group_size_z
      - .offset:         74
        .size:           2
        .value_kind:     hidden_remainder_x
      - .offset:         76
        .size:           2
        .value_kind:     hidden_remainder_y
      - .offset:         78
        .size:           2
        .value_kind:     hidden_remainder_z
      - .offset:         96
        .size:           8
        .value_kind:     hidden_global_offset_x
      - .offset:         104
        .size:           8
        .value_kind:     hidden_global_offset_y
      - .offset:         112
        .size:           8
        .value_kind:     hidden_global_offset_z
      - .offset:         120
        .size:           2
        .value_kind:     hidden_grid_dims
    .group_segment_fixed_size: 0
    .kernarg_segment_align: 8
    .kernarg_segment_size: 312
    .language:       OpenCL C
    .language_version:
      - 2
      - 0
    .max_flat_workgroup_size: 256
    .name:           _ZN7rocprim17ROCPRIM_400000_NS6detail17trampoline_kernelINS0_14default_configENS1_27upper_bound_config_selectorIilEEZNS1_14transform_implILb0ES3_S5_N6thrust23THRUST_200600_302600_NS6detail15normal_iteratorINS8_7pointerIiNS8_11hip_rocprim3tagENS8_11use_defaultESE_EEEENSA_INSB_IlSD_SE_SE_EEEEZNS1_13binary_searchIS3_S5_NSA_INSB_IiSD_RiSE_EEEESG_SI_NS1_21upper_bound_search_opENS9_16wrapped_functionINS8_7greaterIiEEbEEEE10hipError_tPvRmT1_T2_T3_mmT4_T5_P12ihipStream_tbEUlRKiE_EESS_SW_SX_mSY_S11_bEUlT_E_NS1_11comp_targetILNS1_3genE0ELNS1_11target_archE4294967295ELNS1_3gpuE0ELNS1_3repE0EEENS1_30default_config_static_selectorELNS0_4arch9wavefront6targetE0EEEvSV_
    .private_segment_fixed_size: 0
    .sgpr_count:     20
    .sgpr_spill_count: 0
    .symbol:         _ZN7rocprim17ROCPRIM_400000_NS6detail17trampoline_kernelINS0_14default_configENS1_27upper_bound_config_selectorIilEEZNS1_14transform_implILb0ES3_S5_N6thrust23THRUST_200600_302600_NS6detail15normal_iteratorINS8_7pointerIiNS8_11hip_rocprim3tagENS8_11use_defaultESE_EEEENSA_INSB_IlSD_SE_SE_EEEEZNS1_13binary_searchIS3_S5_NSA_INSB_IiSD_RiSE_EEEESG_SI_NS1_21upper_bound_search_opENS9_16wrapped_functionINS8_7greaterIiEEbEEEE10hipError_tPvRmT1_T2_T3_mmT4_T5_P12ihipStream_tbEUlRKiE_EESS_SW_SX_mSY_S11_bEUlT_E_NS1_11comp_targetILNS1_3genE0ELNS1_11target_archE4294967295ELNS1_3gpuE0ELNS1_3repE0EEENS1_30default_config_static_selectorELNS0_4arch9wavefront6targetE0EEEvSV_.kd
    .uniform_work_group_size: 1
    .uses_dynamic_stack: false
    .vgpr_count:     11
    .vgpr_spill_count: 0
    .wavefront_size: 32
  - .args:
      - .offset:         0
        .size:           56
        .value_kind:     by_value
    .group_segment_fixed_size: 0
    .kernarg_segment_align: 8
    .kernarg_segment_size: 56
    .language:       OpenCL C
    .language_version:
      - 2
      - 0
    .max_flat_workgroup_size: 256
    .name:           _ZN7rocprim17ROCPRIM_400000_NS6detail17trampoline_kernelINS0_14default_configENS1_27upper_bound_config_selectorIilEEZNS1_14transform_implILb0ES3_S5_N6thrust23THRUST_200600_302600_NS6detail15normal_iteratorINS8_7pointerIiNS8_11hip_rocprim3tagENS8_11use_defaultESE_EEEENSA_INSB_IlSD_SE_SE_EEEEZNS1_13binary_searchIS3_S5_NSA_INSB_IiSD_RiSE_EEEESG_SI_NS1_21upper_bound_search_opENS9_16wrapped_functionINS8_7greaterIiEEbEEEE10hipError_tPvRmT1_T2_T3_mmT4_T5_P12ihipStream_tbEUlRKiE_EESS_SW_SX_mSY_S11_bEUlT_E_NS1_11comp_targetILNS1_3genE5ELNS1_11target_archE942ELNS1_3gpuE9ELNS1_3repE0EEENS1_30default_config_static_selectorELNS0_4arch9wavefront6targetE0EEEvSV_
    .private_segment_fixed_size: 0
    .sgpr_count:     0
    .sgpr_spill_count: 0
    .symbol:         _ZN7rocprim17ROCPRIM_400000_NS6detail17trampoline_kernelINS0_14default_configENS1_27upper_bound_config_selectorIilEEZNS1_14transform_implILb0ES3_S5_N6thrust23THRUST_200600_302600_NS6detail15normal_iteratorINS8_7pointerIiNS8_11hip_rocprim3tagENS8_11use_defaultESE_EEEENSA_INSB_IlSD_SE_SE_EEEEZNS1_13binary_searchIS3_S5_NSA_INSB_IiSD_RiSE_EEEESG_SI_NS1_21upper_bound_search_opENS9_16wrapped_functionINS8_7greaterIiEEbEEEE10hipError_tPvRmT1_T2_T3_mmT4_T5_P12ihipStream_tbEUlRKiE_EESS_SW_SX_mSY_S11_bEUlT_E_NS1_11comp_targetILNS1_3genE5ELNS1_11target_archE942ELNS1_3gpuE9ELNS1_3repE0EEENS1_30default_config_static_selectorELNS0_4arch9wavefront6targetE0EEEvSV_.kd
    .uniform_work_group_size: 1
    .uses_dynamic_stack: false
    .vgpr_count:     0
    .vgpr_spill_count: 0
    .wavefront_size: 32
  - .args:
      - .offset:         0
        .size:           56
        .value_kind:     by_value
    .group_segment_fixed_size: 0
    .kernarg_segment_align: 8
    .kernarg_segment_size: 56
    .language:       OpenCL C
    .language_version:
      - 2
      - 0
    .max_flat_workgroup_size: 256
    .name:           _ZN7rocprim17ROCPRIM_400000_NS6detail17trampoline_kernelINS0_14default_configENS1_27upper_bound_config_selectorIilEEZNS1_14transform_implILb0ES3_S5_N6thrust23THRUST_200600_302600_NS6detail15normal_iteratorINS8_7pointerIiNS8_11hip_rocprim3tagENS8_11use_defaultESE_EEEENSA_INSB_IlSD_SE_SE_EEEEZNS1_13binary_searchIS3_S5_NSA_INSB_IiSD_RiSE_EEEESG_SI_NS1_21upper_bound_search_opENS9_16wrapped_functionINS8_7greaterIiEEbEEEE10hipError_tPvRmT1_T2_T3_mmT4_T5_P12ihipStream_tbEUlRKiE_EESS_SW_SX_mSY_S11_bEUlT_E_NS1_11comp_targetILNS1_3genE4ELNS1_11target_archE910ELNS1_3gpuE8ELNS1_3repE0EEENS1_30default_config_static_selectorELNS0_4arch9wavefront6targetE0EEEvSV_
    .private_segment_fixed_size: 0
    .sgpr_count:     0
    .sgpr_spill_count: 0
    .symbol:         _ZN7rocprim17ROCPRIM_400000_NS6detail17trampoline_kernelINS0_14default_configENS1_27upper_bound_config_selectorIilEEZNS1_14transform_implILb0ES3_S5_N6thrust23THRUST_200600_302600_NS6detail15normal_iteratorINS8_7pointerIiNS8_11hip_rocprim3tagENS8_11use_defaultESE_EEEENSA_INSB_IlSD_SE_SE_EEEEZNS1_13binary_searchIS3_S5_NSA_INSB_IiSD_RiSE_EEEESG_SI_NS1_21upper_bound_search_opENS9_16wrapped_functionINS8_7greaterIiEEbEEEE10hipError_tPvRmT1_T2_T3_mmT4_T5_P12ihipStream_tbEUlRKiE_EESS_SW_SX_mSY_S11_bEUlT_E_NS1_11comp_targetILNS1_3genE4ELNS1_11target_archE910ELNS1_3gpuE8ELNS1_3repE0EEENS1_30default_config_static_selectorELNS0_4arch9wavefront6targetE0EEEvSV_.kd
    .uniform_work_group_size: 1
    .uses_dynamic_stack: false
    .vgpr_count:     0
    .vgpr_spill_count: 0
    .wavefront_size: 32
  - .args:
      - .offset:         0
        .size:           56
        .value_kind:     by_value
    .group_segment_fixed_size: 0
    .kernarg_segment_align: 8
    .kernarg_segment_size: 56
    .language:       OpenCL C
    .language_version:
      - 2
      - 0
    .max_flat_workgroup_size: 256
    .name:           _ZN7rocprim17ROCPRIM_400000_NS6detail17trampoline_kernelINS0_14default_configENS1_27upper_bound_config_selectorIilEEZNS1_14transform_implILb0ES3_S5_N6thrust23THRUST_200600_302600_NS6detail15normal_iteratorINS8_7pointerIiNS8_11hip_rocprim3tagENS8_11use_defaultESE_EEEENSA_INSB_IlSD_SE_SE_EEEEZNS1_13binary_searchIS3_S5_NSA_INSB_IiSD_RiSE_EEEESG_SI_NS1_21upper_bound_search_opENS9_16wrapped_functionINS8_7greaterIiEEbEEEE10hipError_tPvRmT1_T2_T3_mmT4_T5_P12ihipStream_tbEUlRKiE_EESS_SW_SX_mSY_S11_bEUlT_E_NS1_11comp_targetILNS1_3genE3ELNS1_11target_archE908ELNS1_3gpuE7ELNS1_3repE0EEENS1_30default_config_static_selectorELNS0_4arch9wavefront6targetE0EEEvSV_
    .private_segment_fixed_size: 0
    .sgpr_count:     0
    .sgpr_spill_count: 0
    .symbol:         _ZN7rocprim17ROCPRIM_400000_NS6detail17trampoline_kernelINS0_14default_configENS1_27upper_bound_config_selectorIilEEZNS1_14transform_implILb0ES3_S5_N6thrust23THRUST_200600_302600_NS6detail15normal_iteratorINS8_7pointerIiNS8_11hip_rocprim3tagENS8_11use_defaultESE_EEEENSA_INSB_IlSD_SE_SE_EEEEZNS1_13binary_searchIS3_S5_NSA_INSB_IiSD_RiSE_EEEESG_SI_NS1_21upper_bound_search_opENS9_16wrapped_functionINS8_7greaterIiEEbEEEE10hipError_tPvRmT1_T2_T3_mmT4_T5_P12ihipStream_tbEUlRKiE_EESS_SW_SX_mSY_S11_bEUlT_E_NS1_11comp_targetILNS1_3genE3ELNS1_11target_archE908ELNS1_3gpuE7ELNS1_3repE0EEENS1_30default_config_static_selectorELNS0_4arch9wavefront6targetE0EEEvSV_.kd
    .uniform_work_group_size: 1
    .uses_dynamic_stack: false
    .vgpr_count:     0
    .vgpr_spill_count: 0
    .wavefront_size: 32
  - .args:
      - .offset:         0
        .size:           56
        .value_kind:     by_value
    .group_segment_fixed_size: 0
    .kernarg_segment_align: 8
    .kernarg_segment_size: 56
    .language:       OpenCL C
    .language_version:
      - 2
      - 0
    .max_flat_workgroup_size: 256
    .name:           _ZN7rocprim17ROCPRIM_400000_NS6detail17trampoline_kernelINS0_14default_configENS1_27upper_bound_config_selectorIilEEZNS1_14transform_implILb0ES3_S5_N6thrust23THRUST_200600_302600_NS6detail15normal_iteratorINS8_7pointerIiNS8_11hip_rocprim3tagENS8_11use_defaultESE_EEEENSA_INSB_IlSD_SE_SE_EEEEZNS1_13binary_searchIS3_S5_NSA_INSB_IiSD_RiSE_EEEESG_SI_NS1_21upper_bound_search_opENS9_16wrapped_functionINS8_7greaterIiEEbEEEE10hipError_tPvRmT1_T2_T3_mmT4_T5_P12ihipStream_tbEUlRKiE_EESS_SW_SX_mSY_S11_bEUlT_E_NS1_11comp_targetILNS1_3genE2ELNS1_11target_archE906ELNS1_3gpuE6ELNS1_3repE0EEENS1_30default_config_static_selectorELNS0_4arch9wavefront6targetE0EEEvSV_
    .private_segment_fixed_size: 0
    .sgpr_count:     0
    .sgpr_spill_count: 0
    .symbol:         _ZN7rocprim17ROCPRIM_400000_NS6detail17trampoline_kernelINS0_14default_configENS1_27upper_bound_config_selectorIilEEZNS1_14transform_implILb0ES3_S5_N6thrust23THRUST_200600_302600_NS6detail15normal_iteratorINS8_7pointerIiNS8_11hip_rocprim3tagENS8_11use_defaultESE_EEEENSA_INSB_IlSD_SE_SE_EEEEZNS1_13binary_searchIS3_S5_NSA_INSB_IiSD_RiSE_EEEESG_SI_NS1_21upper_bound_search_opENS9_16wrapped_functionINS8_7greaterIiEEbEEEE10hipError_tPvRmT1_T2_T3_mmT4_T5_P12ihipStream_tbEUlRKiE_EESS_SW_SX_mSY_S11_bEUlT_E_NS1_11comp_targetILNS1_3genE2ELNS1_11target_archE906ELNS1_3gpuE6ELNS1_3repE0EEENS1_30default_config_static_selectorELNS0_4arch9wavefront6targetE0EEEvSV_.kd
    .uniform_work_group_size: 1
    .uses_dynamic_stack: false
    .vgpr_count:     0
    .vgpr_spill_count: 0
    .wavefront_size: 32
  - .args:
      - .offset:         0
        .size:           56
        .value_kind:     by_value
    .group_segment_fixed_size: 0
    .kernarg_segment_align: 8
    .kernarg_segment_size: 56
    .language:       OpenCL C
    .language_version:
      - 2
      - 0
    .max_flat_workgroup_size: 128
    .name:           _ZN7rocprim17ROCPRIM_400000_NS6detail17trampoline_kernelINS0_14default_configENS1_27upper_bound_config_selectorIilEEZNS1_14transform_implILb0ES3_S5_N6thrust23THRUST_200600_302600_NS6detail15normal_iteratorINS8_7pointerIiNS8_11hip_rocprim3tagENS8_11use_defaultESE_EEEENSA_INSB_IlSD_SE_SE_EEEEZNS1_13binary_searchIS3_S5_NSA_INSB_IiSD_RiSE_EEEESG_SI_NS1_21upper_bound_search_opENS9_16wrapped_functionINS8_7greaterIiEEbEEEE10hipError_tPvRmT1_T2_T3_mmT4_T5_P12ihipStream_tbEUlRKiE_EESS_SW_SX_mSY_S11_bEUlT_E_NS1_11comp_targetILNS1_3genE10ELNS1_11target_archE1201ELNS1_3gpuE5ELNS1_3repE0EEENS1_30default_config_static_selectorELNS0_4arch9wavefront6targetE0EEEvSV_
    .private_segment_fixed_size: 0
    .sgpr_count:     0
    .sgpr_spill_count: 0
    .symbol:         _ZN7rocprim17ROCPRIM_400000_NS6detail17trampoline_kernelINS0_14default_configENS1_27upper_bound_config_selectorIilEEZNS1_14transform_implILb0ES3_S5_N6thrust23THRUST_200600_302600_NS6detail15normal_iteratorINS8_7pointerIiNS8_11hip_rocprim3tagENS8_11use_defaultESE_EEEENSA_INSB_IlSD_SE_SE_EEEEZNS1_13binary_searchIS3_S5_NSA_INSB_IiSD_RiSE_EEEESG_SI_NS1_21upper_bound_search_opENS9_16wrapped_functionINS8_7greaterIiEEbEEEE10hipError_tPvRmT1_T2_T3_mmT4_T5_P12ihipStream_tbEUlRKiE_EESS_SW_SX_mSY_S11_bEUlT_E_NS1_11comp_targetILNS1_3genE10ELNS1_11target_archE1201ELNS1_3gpuE5ELNS1_3repE0EEENS1_30default_config_static_selectorELNS0_4arch9wavefront6targetE0EEEvSV_.kd
    .uniform_work_group_size: 1
    .uses_dynamic_stack: false
    .vgpr_count:     0
    .vgpr_spill_count: 0
    .wavefront_size: 32
  - .args:
      - .offset:         0
        .size:           56
        .value_kind:     by_value
    .group_segment_fixed_size: 0
    .kernarg_segment_align: 8
    .kernarg_segment_size: 56
    .language:       OpenCL C
    .language_version:
      - 2
      - 0
    .max_flat_workgroup_size: 128
    .name:           _ZN7rocprim17ROCPRIM_400000_NS6detail17trampoline_kernelINS0_14default_configENS1_27upper_bound_config_selectorIilEEZNS1_14transform_implILb0ES3_S5_N6thrust23THRUST_200600_302600_NS6detail15normal_iteratorINS8_7pointerIiNS8_11hip_rocprim3tagENS8_11use_defaultESE_EEEENSA_INSB_IlSD_SE_SE_EEEEZNS1_13binary_searchIS3_S5_NSA_INSB_IiSD_RiSE_EEEESG_SI_NS1_21upper_bound_search_opENS9_16wrapped_functionINS8_7greaterIiEEbEEEE10hipError_tPvRmT1_T2_T3_mmT4_T5_P12ihipStream_tbEUlRKiE_EESS_SW_SX_mSY_S11_bEUlT_E_NS1_11comp_targetILNS1_3genE10ELNS1_11target_archE1200ELNS1_3gpuE4ELNS1_3repE0EEENS1_30default_config_static_selectorELNS0_4arch9wavefront6targetE0EEEvSV_
    .private_segment_fixed_size: 0
    .sgpr_count:     0
    .sgpr_spill_count: 0
    .symbol:         _ZN7rocprim17ROCPRIM_400000_NS6detail17trampoline_kernelINS0_14default_configENS1_27upper_bound_config_selectorIilEEZNS1_14transform_implILb0ES3_S5_N6thrust23THRUST_200600_302600_NS6detail15normal_iteratorINS8_7pointerIiNS8_11hip_rocprim3tagENS8_11use_defaultESE_EEEENSA_INSB_IlSD_SE_SE_EEEEZNS1_13binary_searchIS3_S5_NSA_INSB_IiSD_RiSE_EEEESG_SI_NS1_21upper_bound_search_opENS9_16wrapped_functionINS8_7greaterIiEEbEEEE10hipError_tPvRmT1_T2_T3_mmT4_T5_P12ihipStream_tbEUlRKiE_EESS_SW_SX_mSY_S11_bEUlT_E_NS1_11comp_targetILNS1_3genE10ELNS1_11target_archE1200ELNS1_3gpuE4ELNS1_3repE0EEENS1_30default_config_static_selectorELNS0_4arch9wavefront6targetE0EEEvSV_.kd
    .uniform_work_group_size: 1
    .uses_dynamic_stack: false
    .vgpr_count:     0
    .vgpr_spill_count: 0
    .wavefront_size: 32
  - .args:
      - .offset:         0
        .size:           56
        .value_kind:     by_value
    .group_segment_fixed_size: 0
    .kernarg_segment_align: 8
    .kernarg_segment_size: 56
    .language:       OpenCL C
    .language_version:
      - 2
      - 0
    .max_flat_workgroup_size: 256
    .name:           _ZN7rocprim17ROCPRIM_400000_NS6detail17trampoline_kernelINS0_14default_configENS1_27upper_bound_config_selectorIilEEZNS1_14transform_implILb0ES3_S5_N6thrust23THRUST_200600_302600_NS6detail15normal_iteratorINS8_7pointerIiNS8_11hip_rocprim3tagENS8_11use_defaultESE_EEEENSA_INSB_IlSD_SE_SE_EEEEZNS1_13binary_searchIS3_S5_NSA_INSB_IiSD_RiSE_EEEESG_SI_NS1_21upper_bound_search_opENS9_16wrapped_functionINS8_7greaterIiEEbEEEE10hipError_tPvRmT1_T2_T3_mmT4_T5_P12ihipStream_tbEUlRKiE_EESS_SW_SX_mSY_S11_bEUlT_E_NS1_11comp_targetILNS1_3genE9ELNS1_11target_archE1100ELNS1_3gpuE3ELNS1_3repE0EEENS1_30default_config_static_selectorELNS0_4arch9wavefront6targetE0EEEvSV_
    .private_segment_fixed_size: 0
    .sgpr_count:     0
    .sgpr_spill_count: 0
    .symbol:         _ZN7rocprim17ROCPRIM_400000_NS6detail17trampoline_kernelINS0_14default_configENS1_27upper_bound_config_selectorIilEEZNS1_14transform_implILb0ES3_S5_N6thrust23THRUST_200600_302600_NS6detail15normal_iteratorINS8_7pointerIiNS8_11hip_rocprim3tagENS8_11use_defaultESE_EEEENSA_INSB_IlSD_SE_SE_EEEEZNS1_13binary_searchIS3_S5_NSA_INSB_IiSD_RiSE_EEEESG_SI_NS1_21upper_bound_search_opENS9_16wrapped_functionINS8_7greaterIiEEbEEEE10hipError_tPvRmT1_T2_T3_mmT4_T5_P12ihipStream_tbEUlRKiE_EESS_SW_SX_mSY_S11_bEUlT_E_NS1_11comp_targetILNS1_3genE9ELNS1_11target_archE1100ELNS1_3gpuE3ELNS1_3repE0EEENS1_30default_config_static_selectorELNS0_4arch9wavefront6targetE0EEEvSV_.kd
    .uniform_work_group_size: 1
    .uses_dynamic_stack: false
    .vgpr_count:     0
    .vgpr_spill_count: 0
    .wavefront_size: 32
  - .args:
      - .offset:         0
        .size:           56
        .value_kind:     by_value
    .group_segment_fixed_size: 0
    .kernarg_segment_align: 8
    .kernarg_segment_size: 56
    .language:       OpenCL C
    .language_version:
      - 2
      - 0
    .max_flat_workgroup_size: 256
    .name:           _ZN7rocprim17ROCPRIM_400000_NS6detail17trampoline_kernelINS0_14default_configENS1_27upper_bound_config_selectorIilEEZNS1_14transform_implILb0ES3_S5_N6thrust23THRUST_200600_302600_NS6detail15normal_iteratorINS8_7pointerIiNS8_11hip_rocprim3tagENS8_11use_defaultESE_EEEENSA_INSB_IlSD_SE_SE_EEEEZNS1_13binary_searchIS3_S5_NSA_INSB_IiSD_RiSE_EEEESG_SI_NS1_21upper_bound_search_opENS9_16wrapped_functionINS8_7greaterIiEEbEEEE10hipError_tPvRmT1_T2_T3_mmT4_T5_P12ihipStream_tbEUlRKiE_EESS_SW_SX_mSY_S11_bEUlT_E_NS1_11comp_targetILNS1_3genE8ELNS1_11target_archE1030ELNS1_3gpuE2ELNS1_3repE0EEENS1_30default_config_static_selectorELNS0_4arch9wavefront6targetE0EEEvSV_
    .private_segment_fixed_size: 0
    .sgpr_count:     0
    .sgpr_spill_count: 0
    .symbol:         _ZN7rocprim17ROCPRIM_400000_NS6detail17trampoline_kernelINS0_14default_configENS1_27upper_bound_config_selectorIilEEZNS1_14transform_implILb0ES3_S5_N6thrust23THRUST_200600_302600_NS6detail15normal_iteratorINS8_7pointerIiNS8_11hip_rocprim3tagENS8_11use_defaultESE_EEEENSA_INSB_IlSD_SE_SE_EEEEZNS1_13binary_searchIS3_S5_NSA_INSB_IiSD_RiSE_EEEESG_SI_NS1_21upper_bound_search_opENS9_16wrapped_functionINS8_7greaterIiEEbEEEE10hipError_tPvRmT1_T2_T3_mmT4_T5_P12ihipStream_tbEUlRKiE_EESS_SW_SX_mSY_S11_bEUlT_E_NS1_11comp_targetILNS1_3genE8ELNS1_11target_archE1030ELNS1_3gpuE2ELNS1_3repE0EEENS1_30default_config_static_selectorELNS0_4arch9wavefront6targetE0EEEvSV_.kd
    .uniform_work_group_size: 1
    .uses_dynamic_stack: false
    .vgpr_count:     0
    .vgpr_spill_count: 0
    .wavefront_size: 32
  - .args:
      - .offset:         0
        .size:           56
        .value_kind:     by_value
      - .offset:         56
        .size:           4
        .value_kind:     hidden_block_count_x
      - .offset:         60
        .size:           4
        .value_kind:     hidden_block_count_y
      - .offset:         64
        .size:           4
        .value_kind:     hidden_block_count_z
      - .offset:         68
        .size:           2
        .value_kind:     hidden_group_size_x
      - .offset:         70
        .size:           2
        .value_kind:     hidden_group_size_y
      - .offset:         72
        .size:           2
        .value_kind:     hidden_group_size_z
      - .offset:         74
        .size:           2
        .value_kind:     hidden_remainder_x
      - .offset:         76
        .size:           2
        .value_kind:     hidden_remainder_y
      - .offset:         78
        .size:           2
        .value_kind:     hidden_remainder_z
      - .offset:         96
        .size:           8
        .value_kind:     hidden_global_offset_x
      - .offset:         104
        .size:           8
        .value_kind:     hidden_global_offset_y
      - .offset:         112
        .size:           8
        .value_kind:     hidden_global_offset_z
      - .offset:         120
        .size:           2
        .value_kind:     hidden_grid_dims
    .group_segment_fixed_size: 0
    .kernarg_segment_align: 8
    .kernarg_segment_size: 312
    .language:       OpenCL C
    .language_version:
      - 2
      - 0
    .max_flat_workgroup_size: 128
    .name:           _ZN7rocprim17ROCPRIM_400000_NS6detail17trampoline_kernelINS0_14default_configENS1_29binary_search_config_selectorIaiEEZNS1_14transform_implILb0ES3_S5_N6thrust23THRUST_200600_302600_NS6detail15normal_iteratorINS8_7pointerIaNS8_11hip_rocprim3tagENS8_11use_defaultESE_EEEENSA_INSB_IiSD_SE_SE_EEEEZNS1_13binary_searchIS3_S5_NSA_INS8_10device_ptrIaEEEESG_SI_NS1_16binary_search_opENS9_16wrapped_functionINS8_7greaterIaEEbEEEE10hipError_tPvRmT1_T2_T3_mmT4_T5_P12ihipStream_tbEUlRKaE_EESS_SW_SX_mSY_S11_bEUlT_E_NS1_11comp_targetILNS1_3genE0ELNS1_11target_archE4294967295ELNS1_3gpuE0ELNS1_3repE0EEENS1_30default_config_static_selectorELNS0_4arch9wavefront6targetE0EEEvSV_
    .private_segment_fixed_size: 0
    .sgpr_count:     19
    .sgpr_spill_count: 0
    .symbol:         _ZN7rocprim17ROCPRIM_400000_NS6detail17trampoline_kernelINS0_14default_configENS1_29binary_search_config_selectorIaiEEZNS1_14transform_implILb0ES3_S5_N6thrust23THRUST_200600_302600_NS6detail15normal_iteratorINS8_7pointerIaNS8_11hip_rocprim3tagENS8_11use_defaultESE_EEEENSA_INSB_IiSD_SE_SE_EEEEZNS1_13binary_searchIS3_S5_NSA_INS8_10device_ptrIaEEEESG_SI_NS1_16binary_search_opENS9_16wrapped_functionINS8_7greaterIaEEbEEEE10hipError_tPvRmT1_T2_T3_mmT4_T5_P12ihipStream_tbEUlRKaE_EESS_SW_SX_mSY_S11_bEUlT_E_NS1_11comp_targetILNS1_3genE0ELNS1_11target_archE4294967295ELNS1_3gpuE0ELNS1_3repE0EEENS1_30default_config_static_selectorELNS0_4arch9wavefront6targetE0EEEvSV_.kd
    .uniform_work_group_size: 1
    .uses_dynamic_stack: false
    .vgpr_count:     12
    .vgpr_spill_count: 0
    .wavefront_size: 32
  - .args:
      - .offset:         0
        .size:           56
        .value_kind:     by_value
    .group_segment_fixed_size: 0
    .kernarg_segment_align: 8
    .kernarg_segment_size: 56
    .language:       OpenCL C
    .language_version:
      - 2
      - 0
    .max_flat_workgroup_size: 64
    .name:           _ZN7rocprim17ROCPRIM_400000_NS6detail17trampoline_kernelINS0_14default_configENS1_29binary_search_config_selectorIaiEEZNS1_14transform_implILb0ES3_S5_N6thrust23THRUST_200600_302600_NS6detail15normal_iteratorINS8_7pointerIaNS8_11hip_rocprim3tagENS8_11use_defaultESE_EEEENSA_INSB_IiSD_SE_SE_EEEEZNS1_13binary_searchIS3_S5_NSA_INS8_10device_ptrIaEEEESG_SI_NS1_16binary_search_opENS9_16wrapped_functionINS8_7greaterIaEEbEEEE10hipError_tPvRmT1_T2_T3_mmT4_T5_P12ihipStream_tbEUlRKaE_EESS_SW_SX_mSY_S11_bEUlT_E_NS1_11comp_targetILNS1_3genE5ELNS1_11target_archE942ELNS1_3gpuE9ELNS1_3repE0EEENS1_30default_config_static_selectorELNS0_4arch9wavefront6targetE0EEEvSV_
    .private_segment_fixed_size: 0
    .sgpr_count:     0
    .sgpr_spill_count: 0
    .symbol:         _ZN7rocprim17ROCPRIM_400000_NS6detail17trampoline_kernelINS0_14default_configENS1_29binary_search_config_selectorIaiEEZNS1_14transform_implILb0ES3_S5_N6thrust23THRUST_200600_302600_NS6detail15normal_iteratorINS8_7pointerIaNS8_11hip_rocprim3tagENS8_11use_defaultESE_EEEENSA_INSB_IiSD_SE_SE_EEEEZNS1_13binary_searchIS3_S5_NSA_INS8_10device_ptrIaEEEESG_SI_NS1_16binary_search_opENS9_16wrapped_functionINS8_7greaterIaEEbEEEE10hipError_tPvRmT1_T2_T3_mmT4_T5_P12ihipStream_tbEUlRKaE_EESS_SW_SX_mSY_S11_bEUlT_E_NS1_11comp_targetILNS1_3genE5ELNS1_11target_archE942ELNS1_3gpuE9ELNS1_3repE0EEENS1_30default_config_static_selectorELNS0_4arch9wavefront6targetE0EEEvSV_.kd
    .uniform_work_group_size: 1
    .uses_dynamic_stack: false
    .vgpr_count:     0
    .vgpr_spill_count: 0
    .wavefront_size: 32
  - .args:
      - .offset:         0
        .size:           56
        .value_kind:     by_value
    .group_segment_fixed_size: 0
    .kernarg_segment_align: 8
    .kernarg_segment_size: 56
    .language:       OpenCL C
    .language_version:
      - 2
      - 0
    .max_flat_workgroup_size: 256
    .name:           _ZN7rocprim17ROCPRIM_400000_NS6detail17trampoline_kernelINS0_14default_configENS1_29binary_search_config_selectorIaiEEZNS1_14transform_implILb0ES3_S5_N6thrust23THRUST_200600_302600_NS6detail15normal_iteratorINS8_7pointerIaNS8_11hip_rocprim3tagENS8_11use_defaultESE_EEEENSA_INSB_IiSD_SE_SE_EEEEZNS1_13binary_searchIS3_S5_NSA_INS8_10device_ptrIaEEEESG_SI_NS1_16binary_search_opENS9_16wrapped_functionINS8_7greaterIaEEbEEEE10hipError_tPvRmT1_T2_T3_mmT4_T5_P12ihipStream_tbEUlRKaE_EESS_SW_SX_mSY_S11_bEUlT_E_NS1_11comp_targetILNS1_3genE4ELNS1_11target_archE910ELNS1_3gpuE8ELNS1_3repE0EEENS1_30default_config_static_selectorELNS0_4arch9wavefront6targetE0EEEvSV_
    .private_segment_fixed_size: 0
    .sgpr_count:     0
    .sgpr_spill_count: 0
    .symbol:         _ZN7rocprim17ROCPRIM_400000_NS6detail17trampoline_kernelINS0_14default_configENS1_29binary_search_config_selectorIaiEEZNS1_14transform_implILb0ES3_S5_N6thrust23THRUST_200600_302600_NS6detail15normal_iteratorINS8_7pointerIaNS8_11hip_rocprim3tagENS8_11use_defaultESE_EEEENSA_INSB_IiSD_SE_SE_EEEEZNS1_13binary_searchIS3_S5_NSA_INS8_10device_ptrIaEEEESG_SI_NS1_16binary_search_opENS9_16wrapped_functionINS8_7greaterIaEEbEEEE10hipError_tPvRmT1_T2_T3_mmT4_T5_P12ihipStream_tbEUlRKaE_EESS_SW_SX_mSY_S11_bEUlT_E_NS1_11comp_targetILNS1_3genE4ELNS1_11target_archE910ELNS1_3gpuE8ELNS1_3repE0EEENS1_30default_config_static_selectorELNS0_4arch9wavefront6targetE0EEEvSV_.kd
    .uniform_work_group_size: 1
    .uses_dynamic_stack: false
    .vgpr_count:     0
    .vgpr_spill_count: 0
    .wavefront_size: 32
  - .args:
      - .offset:         0
        .size:           56
        .value_kind:     by_value
    .group_segment_fixed_size: 0
    .kernarg_segment_align: 8
    .kernarg_segment_size: 56
    .language:       OpenCL C
    .language_version:
      - 2
      - 0
    .max_flat_workgroup_size: 128
    .name:           _ZN7rocprim17ROCPRIM_400000_NS6detail17trampoline_kernelINS0_14default_configENS1_29binary_search_config_selectorIaiEEZNS1_14transform_implILb0ES3_S5_N6thrust23THRUST_200600_302600_NS6detail15normal_iteratorINS8_7pointerIaNS8_11hip_rocprim3tagENS8_11use_defaultESE_EEEENSA_INSB_IiSD_SE_SE_EEEEZNS1_13binary_searchIS3_S5_NSA_INS8_10device_ptrIaEEEESG_SI_NS1_16binary_search_opENS9_16wrapped_functionINS8_7greaterIaEEbEEEE10hipError_tPvRmT1_T2_T3_mmT4_T5_P12ihipStream_tbEUlRKaE_EESS_SW_SX_mSY_S11_bEUlT_E_NS1_11comp_targetILNS1_3genE3ELNS1_11target_archE908ELNS1_3gpuE7ELNS1_3repE0EEENS1_30default_config_static_selectorELNS0_4arch9wavefront6targetE0EEEvSV_
    .private_segment_fixed_size: 0
    .sgpr_count:     0
    .sgpr_spill_count: 0
    .symbol:         _ZN7rocprim17ROCPRIM_400000_NS6detail17trampoline_kernelINS0_14default_configENS1_29binary_search_config_selectorIaiEEZNS1_14transform_implILb0ES3_S5_N6thrust23THRUST_200600_302600_NS6detail15normal_iteratorINS8_7pointerIaNS8_11hip_rocprim3tagENS8_11use_defaultESE_EEEENSA_INSB_IiSD_SE_SE_EEEEZNS1_13binary_searchIS3_S5_NSA_INS8_10device_ptrIaEEEESG_SI_NS1_16binary_search_opENS9_16wrapped_functionINS8_7greaterIaEEbEEEE10hipError_tPvRmT1_T2_T3_mmT4_T5_P12ihipStream_tbEUlRKaE_EESS_SW_SX_mSY_S11_bEUlT_E_NS1_11comp_targetILNS1_3genE3ELNS1_11target_archE908ELNS1_3gpuE7ELNS1_3repE0EEENS1_30default_config_static_selectorELNS0_4arch9wavefront6targetE0EEEvSV_.kd
    .uniform_work_group_size: 1
    .uses_dynamic_stack: false
    .vgpr_count:     0
    .vgpr_spill_count: 0
    .wavefront_size: 32
  - .args:
      - .offset:         0
        .size:           56
        .value_kind:     by_value
    .group_segment_fixed_size: 0
    .kernarg_segment_align: 8
    .kernarg_segment_size: 56
    .language:       OpenCL C
    .language_version:
      - 2
      - 0
    .max_flat_workgroup_size: 256
    .name:           _ZN7rocprim17ROCPRIM_400000_NS6detail17trampoline_kernelINS0_14default_configENS1_29binary_search_config_selectorIaiEEZNS1_14transform_implILb0ES3_S5_N6thrust23THRUST_200600_302600_NS6detail15normal_iteratorINS8_7pointerIaNS8_11hip_rocprim3tagENS8_11use_defaultESE_EEEENSA_INSB_IiSD_SE_SE_EEEEZNS1_13binary_searchIS3_S5_NSA_INS8_10device_ptrIaEEEESG_SI_NS1_16binary_search_opENS9_16wrapped_functionINS8_7greaterIaEEbEEEE10hipError_tPvRmT1_T2_T3_mmT4_T5_P12ihipStream_tbEUlRKaE_EESS_SW_SX_mSY_S11_bEUlT_E_NS1_11comp_targetILNS1_3genE2ELNS1_11target_archE906ELNS1_3gpuE6ELNS1_3repE0EEENS1_30default_config_static_selectorELNS0_4arch9wavefront6targetE0EEEvSV_
    .private_segment_fixed_size: 0
    .sgpr_count:     0
    .sgpr_spill_count: 0
    .symbol:         _ZN7rocprim17ROCPRIM_400000_NS6detail17trampoline_kernelINS0_14default_configENS1_29binary_search_config_selectorIaiEEZNS1_14transform_implILb0ES3_S5_N6thrust23THRUST_200600_302600_NS6detail15normal_iteratorINS8_7pointerIaNS8_11hip_rocprim3tagENS8_11use_defaultESE_EEEENSA_INSB_IiSD_SE_SE_EEEEZNS1_13binary_searchIS3_S5_NSA_INS8_10device_ptrIaEEEESG_SI_NS1_16binary_search_opENS9_16wrapped_functionINS8_7greaterIaEEbEEEE10hipError_tPvRmT1_T2_T3_mmT4_T5_P12ihipStream_tbEUlRKaE_EESS_SW_SX_mSY_S11_bEUlT_E_NS1_11comp_targetILNS1_3genE2ELNS1_11target_archE906ELNS1_3gpuE6ELNS1_3repE0EEENS1_30default_config_static_selectorELNS0_4arch9wavefront6targetE0EEEvSV_.kd
    .uniform_work_group_size: 1
    .uses_dynamic_stack: false
    .vgpr_count:     0
    .vgpr_spill_count: 0
    .wavefront_size: 32
  - .args:
      - .offset:         0
        .size:           56
        .value_kind:     by_value
    .group_segment_fixed_size: 0
    .kernarg_segment_align: 8
    .kernarg_segment_size: 56
    .language:       OpenCL C
    .language_version:
      - 2
      - 0
    .max_flat_workgroup_size: 64
    .name:           _ZN7rocprim17ROCPRIM_400000_NS6detail17trampoline_kernelINS0_14default_configENS1_29binary_search_config_selectorIaiEEZNS1_14transform_implILb0ES3_S5_N6thrust23THRUST_200600_302600_NS6detail15normal_iteratorINS8_7pointerIaNS8_11hip_rocprim3tagENS8_11use_defaultESE_EEEENSA_INSB_IiSD_SE_SE_EEEEZNS1_13binary_searchIS3_S5_NSA_INS8_10device_ptrIaEEEESG_SI_NS1_16binary_search_opENS9_16wrapped_functionINS8_7greaterIaEEbEEEE10hipError_tPvRmT1_T2_T3_mmT4_T5_P12ihipStream_tbEUlRKaE_EESS_SW_SX_mSY_S11_bEUlT_E_NS1_11comp_targetILNS1_3genE10ELNS1_11target_archE1201ELNS1_3gpuE5ELNS1_3repE0EEENS1_30default_config_static_selectorELNS0_4arch9wavefront6targetE0EEEvSV_
    .private_segment_fixed_size: 0
    .sgpr_count:     0
    .sgpr_spill_count: 0
    .symbol:         _ZN7rocprim17ROCPRIM_400000_NS6detail17trampoline_kernelINS0_14default_configENS1_29binary_search_config_selectorIaiEEZNS1_14transform_implILb0ES3_S5_N6thrust23THRUST_200600_302600_NS6detail15normal_iteratorINS8_7pointerIaNS8_11hip_rocprim3tagENS8_11use_defaultESE_EEEENSA_INSB_IiSD_SE_SE_EEEEZNS1_13binary_searchIS3_S5_NSA_INS8_10device_ptrIaEEEESG_SI_NS1_16binary_search_opENS9_16wrapped_functionINS8_7greaterIaEEbEEEE10hipError_tPvRmT1_T2_T3_mmT4_T5_P12ihipStream_tbEUlRKaE_EESS_SW_SX_mSY_S11_bEUlT_E_NS1_11comp_targetILNS1_3genE10ELNS1_11target_archE1201ELNS1_3gpuE5ELNS1_3repE0EEENS1_30default_config_static_selectorELNS0_4arch9wavefront6targetE0EEEvSV_.kd
    .uniform_work_group_size: 1
    .uses_dynamic_stack: false
    .vgpr_count:     0
    .vgpr_spill_count: 0
    .wavefront_size: 32
  - .args:
      - .offset:         0
        .size:           56
        .value_kind:     by_value
    .group_segment_fixed_size: 0
    .kernarg_segment_align: 8
    .kernarg_segment_size: 56
    .language:       OpenCL C
    .language_version:
      - 2
      - 0
    .max_flat_workgroup_size: 128
    .name:           _ZN7rocprim17ROCPRIM_400000_NS6detail17trampoline_kernelINS0_14default_configENS1_29binary_search_config_selectorIaiEEZNS1_14transform_implILb0ES3_S5_N6thrust23THRUST_200600_302600_NS6detail15normal_iteratorINS8_7pointerIaNS8_11hip_rocprim3tagENS8_11use_defaultESE_EEEENSA_INSB_IiSD_SE_SE_EEEEZNS1_13binary_searchIS3_S5_NSA_INS8_10device_ptrIaEEEESG_SI_NS1_16binary_search_opENS9_16wrapped_functionINS8_7greaterIaEEbEEEE10hipError_tPvRmT1_T2_T3_mmT4_T5_P12ihipStream_tbEUlRKaE_EESS_SW_SX_mSY_S11_bEUlT_E_NS1_11comp_targetILNS1_3genE10ELNS1_11target_archE1200ELNS1_3gpuE4ELNS1_3repE0EEENS1_30default_config_static_selectorELNS0_4arch9wavefront6targetE0EEEvSV_
    .private_segment_fixed_size: 0
    .sgpr_count:     0
    .sgpr_spill_count: 0
    .symbol:         _ZN7rocprim17ROCPRIM_400000_NS6detail17trampoline_kernelINS0_14default_configENS1_29binary_search_config_selectorIaiEEZNS1_14transform_implILb0ES3_S5_N6thrust23THRUST_200600_302600_NS6detail15normal_iteratorINS8_7pointerIaNS8_11hip_rocprim3tagENS8_11use_defaultESE_EEEENSA_INSB_IiSD_SE_SE_EEEEZNS1_13binary_searchIS3_S5_NSA_INS8_10device_ptrIaEEEESG_SI_NS1_16binary_search_opENS9_16wrapped_functionINS8_7greaterIaEEbEEEE10hipError_tPvRmT1_T2_T3_mmT4_T5_P12ihipStream_tbEUlRKaE_EESS_SW_SX_mSY_S11_bEUlT_E_NS1_11comp_targetILNS1_3genE10ELNS1_11target_archE1200ELNS1_3gpuE4ELNS1_3repE0EEENS1_30default_config_static_selectorELNS0_4arch9wavefront6targetE0EEEvSV_.kd
    .uniform_work_group_size: 1
    .uses_dynamic_stack: false
    .vgpr_count:     0
    .vgpr_spill_count: 0
    .wavefront_size: 32
  - .args:
      - .offset:         0
        .size:           56
        .value_kind:     by_value
    .group_segment_fixed_size: 0
    .kernarg_segment_align: 8
    .kernarg_segment_size: 56
    .language:       OpenCL C
    .language_version:
      - 2
      - 0
    .max_flat_workgroup_size: 128
    .name:           _ZN7rocprim17ROCPRIM_400000_NS6detail17trampoline_kernelINS0_14default_configENS1_29binary_search_config_selectorIaiEEZNS1_14transform_implILb0ES3_S5_N6thrust23THRUST_200600_302600_NS6detail15normal_iteratorINS8_7pointerIaNS8_11hip_rocprim3tagENS8_11use_defaultESE_EEEENSA_INSB_IiSD_SE_SE_EEEEZNS1_13binary_searchIS3_S5_NSA_INS8_10device_ptrIaEEEESG_SI_NS1_16binary_search_opENS9_16wrapped_functionINS8_7greaterIaEEbEEEE10hipError_tPvRmT1_T2_T3_mmT4_T5_P12ihipStream_tbEUlRKaE_EESS_SW_SX_mSY_S11_bEUlT_E_NS1_11comp_targetILNS1_3genE9ELNS1_11target_archE1100ELNS1_3gpuE3ELNS1_3repE0EEENS1_30default_config_static_selectorELNS0_4arch9wavefront6targetE0EEEvSV_
    .private_segment_fixed_size: 0
    .sgpr_count:     0
    .sgpr_spill_count: 0
    .symbol:         _ZN7rocprim17ROCPRIM_400000_NS6detail17trampoline_kernelINS0_14default_configENS1_29binary_search_config_selectorIaiEEZNS1_14transform_implILb0ES3_S5_N6thrust23THRUST_200600_302600_NS6detail15normal_iteratorINS8_7pointerIaNS8_11hip_rocprim3tagENS8_11use_defaultESE_EEEENSA_INSB_IiSD_SE_SE_EEEEZNS1_13binary_searchIS3_S5_NSA_INS8_10device_ptrIaEEEESG_SI_NS1_16binary_search_opENS9_16wrapped_functionINS8_7greaterIaEEbEEEE10hipError_tPvRmT1_T2_T3_mmT4_T5_P12ihipStream_tbEUlRKaE_EESS_SW_SX_mSY_S11_bEUlT_E_NS1_11comp_targetILNS1_3genE9ELNS1_11target_archE1100ELNS1_3gpuE3ELNS1_3repE0EEENS1_30default_config_static_selectorELNS0_4arch9wavefront6targetE0EEEvSV_.kd
    .uniform_work_group_size: 1
    .uses_dynamic_stack: false
    .vgpr_count:     0
    .vgpr_spill_count: 0
    .wavefront_size: 32
  - .args:
      - .offset:         0
        .size:           56
        .value_kind:     by_value
    .group_segment_fixed_size: 0
    .kernarg_segment_align: 8
    .kernarg_segment_size: 56
    .language:       OpenCL C
    .language_version:
      - 2
      - 0
    .max_flat_workgroup_size: 256
    .name:           _ZN7rocprim17ROCPRIM_400000_NS6detail17trampoline_kernelINS0_14default_configENS1_29binary_search_config_selectorIaiEEZNS1_14transform_implILb0ES3_S5_N6thrust23THRUST_200600_302600_NS6detail15normal_iteratorINS8_7pointerIaNS8_11hip_rocprim3tagENS8_11use_defaultESE_EEEENSA_INSB_IiSD_SE_SE_EEEEZNS1_13binary_searchIS3_S5_NSA_INS8_10device_ptrIaEEEESG_SI_NS1_16binary_search_opENS9_16wrapped_functionINS8_7greaterIaEEbEEEE10hipError_tPvRmT1_T2_T3_mmT4_T5_P12ihipStream_tbEUlRKaE_EESS_SW_SX_mSY_S11_bEUlT_E_NS1_11comp_targetILNS1_3genE8ELNS1_11target_archE1030ELNS1_3gpuE2ELNS1_3repE0EEENS1_30default_config_static_selectorELNS0_4arch9wavefront6targetE0EEEvSV_
    .private_segment_fixed_size: 0
    .sgpr_count:     0
    .sgpr_spill_count: 0
    .symbol:         _ZN7rocprim17ROCPRIM_400000_NS6detail17trampoline_kernelINS0_14default_configENS1_29binary_search_config_selectorIaiEEZNS1_14transform_implILb0ES3_S5_N6thrust23THRUST_200600_302600_NS6detail15normal_iteratorINS8_7pointerIaNS8_11hip_rocprim3tagENS8_11use_defaultESE_EEEENSA_INSB_IiSD_SE_SE_EEEEZNS1_13binary_searchIS3_S5_NSA_INS8_10device_ptrIaEEEESG_SI_NS1_16binary_search_opENS9_16wrapped_functionINS8_7greaterIaEEbEEEE10hipError_tPvRmT1_T2_T3_mmT4_T5_P12ihipStream_tbEUlRKaE_EESS_SW_SX_mSY_S11_bEUlT_E_NS1_11comp_targetILNS1_3genE8ELNS1_11target_archE1030ELNS1_3gpuE2ELNS1_3repE0EEENS1_30default_config_static_selectorELNS0_4arch9wavefront6targetE0EEEvSV_.kd
    .uniform_work_group_size: 1
    .uses_dynamic_stack: false
    .vgpr_count:     0
    .vgpr_spill_count: 0
    .wavefront_size: 32
  - .args:
      - .offset:         0
        .size:           56
        .value_kind:     by_value
      - .offset:         56
        .size:           4
        .value_kind:     hidden_block_count_x
      - .offset:         60
        .size:           4
        .value_kind:     hidden_block_count_y
      - .offset:         64
        .size:           4
        .value_kind:     hidden_block_count_z
      - .offset:         68
        .size:           2
        .value_kind:     hidden_group_size_x
      - .offset:         70
        .size:           2
        .value_kind:     hidden_group_size_y
      - .offset:         72
        .size:           2
        .value_kind:     hidden_group_size_z
      - .offset:         74
        .size:           2
        .value_kind:     hidden_remainder_x
      - .offset:         76
        .size:           2
        .value_kind:     hidden_remainder_y
      - .offset:         78
        .size:           2
        .value_kind:     hidden_remainder_z
      - .offset:         96
        .size:           8
        .value_kind:     hidden_global_offset_x
      - .offset:         104
        .size:           8
        .value_kind:     hidden_global_offset_y
      - .offset:         112
        .size:           8
        .value_kind:     hidden_global_offset_z
      - .offset:         120
        .size:           2
        .value_kind:     hidden_grid_dims
    .group_segment_fixed_size: 0
    .kernarg_segment_align: 8
    .kernarg_segment_size: 312
    .language:       OpenCL C
    .language_version:
      - 2
      - 0
    .max_flat_workgroup_size: 128
    .name:           _ZN7rocprim17ROCPRIM_400000_NS6detail17trampoline_kernelINS0_14default_configENS1_29binary_search_config_selectorIsiEEZNS1_14transform_implILb0ES3_S5_N6thrust23THRUST_200600_302600_NS6detail15normal_iteratorINS8_7pointerIsNS8_11hip_rocprim3tagENS8_11use_defaultESE_EEEENSA_INSB_IiSD_SE_SE_EEEEZNS1_13binary_searchIS3_S5_NSA_INS8_10device_ptrIsEEEESG_SI_NS1_16binary_search_opENS9_16wrapped_functionINS8_7greaterIsEEbEEEE10hipError_tPvRmT1_T2_T3_mmT4_T5_P12ihipStream_tbEUlRKsE_EESS_SW_SX_mSY_S11_bEUlT_E_NS1_11comp_targetILNS1_3genE0ELNS1_11target_archE4294967295ELNS1_3gpuE0ELNS1_3repE0EEENS1_30default_config_static_selectorELNS0_4arch9wavefront6targetE0EEEvSV_
    .private_segment_fixed_size: 0
    .sgpr_count:     20
    .sgpr_spill_count: 0
    .symbol:         _ZN7rocprim17ROCPRIM_400000_NS6detail17trampoline_kernelINS0_14default_configENS1_29binary_search_config_selectorIsiEEZNS1_14transform_implILb0ES3_S5_N6thrust23THRUST_200600_302600_NS6detail15normal_iteratorINS8_7pointerIsNS8_11hip_rocprim3tagENS8_11use_defaultESE_EEEENSA_INSB_IiSD_SE_SE_EEEEZNS1_13binary_searchIS3_S5_NSA_INS8_10device_ptrIsEEEESG_SI_NS1_16binary_search_opENS9_16wrapped_functionINS8_7greaterIsEEbEEEE10hipError_tPvRmT1_T2_T3_mmT4_T5_P12ihipStream_tbEUlRKsE_EESS_SW_SX_mSY_S11_bEUlT_E_NS1_11comp_targetILNS1_3genE0ELNS1_11target_archE4294967295ELNS1_3gpuE0ELNS1_3repE0EEENS1_30default_config_static_selectorELNS0_4arch9wavefront6targetE0EEEvSV_.kd
    .uniform_work_group_size: 1
    .uses_dynamic_stack: false
    .vgpr_count:     12
    .vgpr_spill_count: 0
    .wavefront_size: 32
  - .args:
      - .offset:         0
        .size:           56
        .value_kind:     by_value
    .group_segment_fixed_size: 0
    .kernarg_segment_align: 8
    .kernarg_segment_size: 56
    .language:       OpenCL C
    .language_version:
      - 2
      - 0
    .max_flat_workgroup_size: 256
    .name:           _ZN7rocprim17ROCPRIM_400000_NS6detail17trampoline_kernelINS0_14default_configENS1_29binary_search_config_selectorIsiEEZNS1_14transform_implILb0ES3_S5_N6thrust23THRUST_200600_302600_NS6detail15normal_iteratorINS8_7pointerIsNS8_11hip_rocprim3tagENS8_11use_defaultESE_EEEENSA_INSB_IiSD_SE_SE_EEEEZNS1_13binary_searchIS3_S5_NSA_INS8_10device_ptrIsEEEESG_SI_NS1_16binary_search_opENS9_16wrapped_functionINS8_7greaterIsEEbEEEE10hipError_tPvRmT1_T2_T3_mmT4_T5_P12ihipStream_tbEUlRKsE_EESS_SW_SX_mSY_S11_bEUlT_E_NS1_11comp_targetILNS1_3genE5ELNS1_11target_archE942ELNS1_3gpuE9ELNS1_3repE0EEENS1_30default_config_static_selectorELNS0_4arch9wavefront6targetE0EEEvSV_
    .private_segment_fixed_size: 0
    .sgpr_count:     0
    .sgpr_spill_count: 0
    .symbol:         _ZN7rocprim17ROCPRIM_400000_NS6detail17trampoline_kernelINS0_14default_configENS1_29binary_search_config_selectorIsiEEZNS1_14transform_implILb0ES3_S5_N6thrust23THRUST_200600_302600_NS6detail15normal_iteratorINS8_7pointerIsNS8_11hip_rocprim3tagENS8_11use_defaultESE_EEEENSA_INSB_IiSD_SE_SE_EEEEZNS1_13binary_searchIS3_S5_NSA_INS8_10device_ptrIsEEEESG_SI_NS1_16binary_search_opENS9_16wrapped_functionINS8_7greaterIsEEbEEEE10hipError_tPvRmT1_T2_T3_mmT4_T5_P12ihipStream_tbEUlRKsE_EESS_SW_SX_mSY_S11_bEUlT_E_NS1_11comp_targetILNS1_3genE5ELNS1_11target_archE942ELNS1_3gpuE9ELNS1_3repE0EEENS1_30default_config_static_selectorELNS0_4arch9wavefront6targetE0EEEvSV_.kd
    .uniform_work_group_size: 1
    .uses_dynamic_stack: false
    .vgpr_count:     0
    .vgpr_spill_count: 0
    .wavefront_size: 32
  - .args:
      - .offset:         0
        .size:           56
        .value_kind:     by_value
    .group_segment_fixed_size: 0
    .kernarg_segment_align: 8
    .kernarg_segment_size: 56
    .language:       OpenCL C
    .language_version:
      - 2
      - 0
    .max_flat_workgroup_size: 256
    .name:           _ZN7rocprim17ROCPRIM_400000_NS6detail17trampoline_kernelINS0_14default_configENS1_29binary_search_config_selectorIsiEEZNS1_14transform_implILb0ES3_S5_N6thrust23THRUST_200600_302600_NS6detail15normal_iteratorINS8_7pointerIsNS8_11hip_rocprim3tagENS8_11use_defaultESE_EEEENSA_INSB_IiSD_SE_SE_EEEEZNS1_13binary_searchIS3_S5_NSA_INS8_10device_ptrIsEEEESG_SI_NS1_16binary_search_opENS9_16wrapped_functionINS8_7greaterIsEEbEEEE10hipError_tPvRmT1_T2_T3_mmT4_T5_P12ihipStream_tbEUlRKsE_EESS_SW_SX_mSY_S11_bEUlT_E_NS1_11comp_targetILNS1_3genE4ELNS1_11target_archE910ELNS1_3gpuE8ELNS1_3repE0EEENS1_30default_config_static_selectorELNS0_4arch9wavefront6targetE0EEEvSV_
    .private_segment_fixed_size: 0
    .sgpr_count:     0
    .sgpr_spill_count: 0
    .symbol:         _ZN7rocprim17ROCPRIM_400000_NS6detail17trampoline_kernelINS0_14default_configENS1_29binary_search_config_selectorIsiEEZNS1_14transform_implILb0ES3_S5_N6thrust23THRUST_200600_302600_NS6detail15normal_iteratorINS8_7pointerIsNS8_11hip_rocprim3tagENS8_11use_defaultESE_EEEENSA_INSB_IiSD_SE_SE_EEEEZNS1_13binary_searchIS3_S5_NSA_INS8_10device_ptrIsEEEESG_SI_NS1_16binary_search_opENS9_16wrapped_functionINS8_7greaterIsEEbEEEE10hipError_tPvRmT1_T2_T3_mmT4_T5_P12ihipStream_tbEUlRKsE_EESS_SW_SX_mSY_S11_bEUlT_E_NS1_11comp_targetILNS1_3genE4ELNS1_11target_archE910ELNS1_3gpuE8ELNS1_3repE0EEENS1_30default_config_static_selectorELNS0_4arch9wavefront6targetE0EEEvSV_.kd
    .uniform_work_group_size: 1
    .uses_dynamic_stack: false
    .vgpr_count:     0
    .vgpr_spill_count: 0
    .wavefront_size: 32
  - .args:
      - .offset:         0
        .size:           56
        .value_kind:     by_value
    .group_segment_fixed_size: 0
    .kernarg_segment_align: 8
    .kernarg_segment_size: 56
    .language:       OpenCL C
    .language_version:
      - 2
      - 0
    .max_flat_workgroup_size: 128
    .name:           _ZN7rocprim17ROCPRIM_400000_NS6detail17trampoline_kernelINS0_14default_configENS1_29binary_search_config_selectorIsiEEZNS1_14transform_implILb0ES3_S5_N6thrust23THRUST_200600_302600_NS6detail15normal_iteratorINS8_7pointerIsNS8_11hip_rocprim3tagENS8_11use_defaultESE_EEEENSA_INSB_IiSD_SE_SE_EEEEZNS1_13binary_searchIS3_S5_NSA_INS8_10device_ptrIsEEEESG_SI_NS1_16binary_search_opENS9_16wrapped_functionINS8_7greaterIsEEbEEEE10hipError_tPvRmT1_T2_T3_mmT4_T5_P12ihipStream_tbEUlRKsE_EESS_SW_SX_mSY_S11_bEUlT_E_NS1_11comp_targetILNS1_3genE3ELNS1_11target_archE908ELNS1_3gpuE7ELNS1_3repE0EEENS1_30default_config_static_selectorELNS0_4arch9wavefront6targetE0EEEvSV_
    .private_segment_fixed_size: 0
    .sgpr_count:     0
    .sgpr_spill_count: 0
    .symbol:         _ZN7rocprim17ROCPRIM_400000_NS6detail17trampoline_kernelINS0_14default_configENS1_29binary_search_config_selectorIsiEEZNS1_14transform_implILb0ES3_S5_N6thrust23THRUST_200600_302600_NS6detail15normal_iteratorINS8_7pointerIsNS8_11hip_rocprim3tagENS8_11use_defaultESE_EEEENSA_INSB_IiSD_SE_SE_EEEEZNS1_13binary_searchIS3_S5_NSA_INS8_10device_ptrIsEEEESG_SI_NS1_16binary_search_opENS9_16wrapped_functionINS8_7greaterIsEEbEEEE10hipError_tPvRmT1_T2_T3_mmT4_T5_P12ihipStream_tbEUlRKsE_EESS_SW_SX_mSY_S11_bEUlT_E_NS1_11comp_targetILNS1_3genE3ELNS1_11target_archE908ELNS1_3gpuE7ELNS1_3repE0EEENS1_30default_config_static_selectorELNS0_4arch9wavefront6targetE0EEEvSV_.kd
    .uniform_work_group_size: 1
    .uses_dynamic_stack: false
    .vgpr_count:     0
    .vgpr_spill_count: 0
    .wavefront_size: 32
  - .args:
      - .offset:         0
        .size:           56
        .value_kind:     by_value
    .group_segment_fixed_size: 0
    .kernarg_segment_align: 8
    .kernarg_segment_size: 56
    .language:       OpenCL C
    .language_version:
      - 2
      - 0
    .max_flat_workgroup_size: 256
    .name:           _ZN7rocprim17ROCPRIM_400000_NS6detail17trampoline_kernelINS0_14default_configENS1_29binary_search_config_selectorIsiEEZNS1_14transform_implILb0ES3_S5_N6thrust23THRUST_200600_302600_NS6detail15normal_iteratorINS8_7pointerIsNS8_11hip_rocprim3tagENS8_11use_defaultESE_EEEENSA_INSB_IiSD_SE_SE_EEEEZNS1_13binary_searchIS3_S5_NSA_INS8_10device_ptrIsEEEESG_SI_NS1_16binary_search_opENS9_16wrapped_functionINS8_7greaterIsEEbEEEE10hipError_tPvRmT1_T2_T3_mmT4_T5_P12ihipStream_tbEUlRKsE_EESS_SW_SX_mSY_S11_bEUlT_E_NS1_11comp_targetILNS1_3genE2ELNS1_11target_archE906ELNS1_3gpuE6ELNS1_3repE0EEENS1_30default_config_static_selectorELNS0_4arch9wavefront6targetE0EEEvSV_
    .private_segment_fixed_size: 0
    .sgpr_count:     0
    .sgpr_spill_count: 0
    .symbol:         _ZN7rocprim17ROCPRIM_400000_NS6detail17trampoline_kernelINS0_14default_configENS1_29binary_search_config_selectorIsiEEZNS1_14transform_implILb0ES3_S5_N6thrust23THRUST_200600_302600_NS6detail15normal_iteratorINS8_7pointerIsNS8_11hip_rocprim3tagENS8_11use_defaultESE_EEEENSA_INSB_IiSD_SE_SE_EEEEZNS1_13binary_searchIS3_S5_NSA_INS8_10device_ptrIsEEEESG_SI_NS1_16binary_search_opENS9_16wrapped_functionINS8_7greaterIsEEbEEEE10hipError_tPvRmT1_T2_T3_mmT4_T5_P12ihipStream_tbEUlRKsE_EESS_SW_SX_mSY_S11_bEUlT_E_NS1_11comp_targetILNS1_3genE2ELNS1_11target_archE906ELNS1_3gpuE6ELNS1_3repE0EEENS1_30default_config_static_selectorELNS0_4arch9wavefront6targetE0EEEvSV_.kd
    .uniform_work_group_size: 1
    .uses_dynamic_stack: false
    .vgpr_count:     0
    .vgpr_spill_count: 0
    .wavefront_size: 32
  - .args:
      - .offset:         0
        .size:           56
        .value_kind:     by_value
    .group_segment_fixed_size: 0
    .kernarg_segment_align: 8
    .kernarg_segment_size: 56
    .language:       OpenCL C
    .language_version:
      - 2
      - 0
    .max_flat_workgroup_size: 256
    .name:           _ZN7rocprim17ROCPRIM_400000_NS6detail17trampoline_kernelINS0_14default_configENS1_29binary_search_config_selectorIsiEEZNS1_14transform_implILb0ES3_S5_N6thrust23THRUST_200600_302600_NS6detail15normal_iteratorINS8_7pointerIsNS8_11hip_rocprim3tagENS8_11use_defaultESE_EEEENSA_INSB_IiSD_SE_SE_EEEEZNS1_13binary_searchIS3_S5_NSA_INS8_10device_ptrIsEEEESG_SI_NS1_16binary_search_opENS9_16wrapped_functionINS8_7greaterIsEEbEEEE10hipError_tPvRmT1_T2_T3_mmT4_T5_P12ihipStream_tbEUlRKsE_EESS_SW_SX_mSY_S11_bEUlT_E_NS1_11comp_targetILNS1_3genE10ELNS1_11target_archE1201ELNS1_3gpuE5ELNS1_3repE0EEENS1_30default_config_static_selectorELNS0_4arch9wavefront6targetE0EEEvSV_
    .private_segment_fixed_size: 0
    .sgpr_count:     0
    .sgpr_spill_count: 0
    .symbol:         _ZN7rocprim17ROCPRIM_400000_NS6detail17trampoline_kernelINS0_14default_configENS1_29binary_search_config_selectorIsiEEZNS1_14transform_implILb0ES3_S5_N6thrust23THRUST_200600_302600_NS6detail15normal_iteratorINS8_7pointerIsNS8_11hip_rocprim3tagENS8_11use_defaultESE_EEEENSA_INSB_IiSD_SE_SE_EEEEZNS1_13binary_searchIS3_S5_NSA_INS8_10device_ptrIsEEEESG_SI_NS1_16binary_search_opENS9_16wrapped_functionINS8_7greaterIsEEbEEEE10hipError_tPvRmT1_T2_T3_mmT4_T5_P12ihipStream_tbEUlRKsE_EESS_SW_SX_mSY_S11_bEUlT_E_NS1_11comp_targetILNS1_3genE10ELNS1_11target_archE1201ELNS1_3gpuE5ELNS1_3repE0EEENS1_30default_config_static_selectorELNS0_4arch9wavefront6targetE0EEEvSV_.kd
    .uniform_work_group_size: 1
    .uses_dynamic_stack: false
    .vgpr_count:     0
    .vgpr_spill_count: 0
    .wavefront_size: 32
  - .args:
      - .offset:         0
        .size:           56
        .value_kind:     by_value
    .group_segment_fixed_size: 0
    .kernarg_segment_align: 8
    .kernarg_segment_size: 56
    .language:       OpenCL C
    .language_version:
      - 2
      - 0
    .max_flat_workgroup_size: 256
    .name:           _ZN7rocprim17ROCPRIM_400000_NS6detail17trampoline_kernelINS0_14default_configENS1_29binary_search_config_selectorIsiEEZNS1_14transform_implILb0ES3_S5_N6thrust23THRUST_200600_302600_NS6detail15normal_iteratorINS8_7pointerIsNS8_11hip_rocprim3tagENS8_11use_defaultESE_EEEENSA_INSB_IiSD_SE_SE_EEEEZNS1_13binary_searchIS3_S5_NSA_INS8_10device_ptrIsEEEESG_SI_NS1_16binary_search_opENS9_16wrapped_functionINS8_7greaterIsEEbEEEE10hipError_tPvRmT1_T2_T3_mmT4_T5_P12ihipStream_tbEUlRKsE_EESS_SW_SX_mSY_S11_bEUlT_E_NS1_11comp_targetILNS1_3genE10ELNS1_11target_archE1200ELNS1_3gpuE4ELNS1_3repE0EEENS1_30default_config_static_selectorELNS0_4arch9wavefront6targetE0EEEvSV_
    .private_segment_fixed_size: 0
    .sgpr_count:     0
    .sgpr_spill_count: 0
    .symbol:         _ZN7rocprim17ROCPRIM_400000_NS6detail17trampoline_kernelINS0_14default_configENS1_29binary_search_config_selectorIsiEEZNS1_14transform_implILb0ES3_S5_N6thrust23THRUST_200600_302600_NS6detail15normal_iteratorINS8_7pointerIsNS8_11hip_rocprim3tagENS8_11use_defaultESE_EEEENSA_INSB_IiSD_SE_SE_EEEEZNS1_13binary_searchIS3_S5_NSA_INS8_10device_ptrIsEEEESG_SI_NS1_16binary_search_opENS9_16wrapped_functionINS8_7greaterIsEEbEEEE10hipError_tPvRmT1_T2_T3_mmT4_T5_P12ihipStream_tbEUlRKsE_EESS_SW_SX_mSY_S11_bEUlT_E_NS1_11comp_targetILNS1_3genE10ELNS1_11target_archE1200ELNS1_3gpuE4ELNS1_3repE0EEENS1_30default_config_static_selectorELNS0_4arch9wavefront6targetE0EEEvSV_.kd
    .uniform_work_group_size: 1
    .uses_dynamic_stack: false
    .vgpr_count:     0
    .vgpr_spill_count: 0
    .wavefront_size: 32
  - .args:
      - .offset:         0
        .size:           56
        .value_kind:     by_value
    .group_segment_fixed_size: 0
    .kernarg_segment_align: 8
    .kernarg_segment_size: 56
    .language:       OpenCL C
    .language_version:
      - 2
      - 0
    .max_flat_workgroup_size: 64
    .name:           _ZN7rocprim17ROCPRIM_400000_NS6detail17trampoline_kernelINS0_14default_configENS1_29binary_search_config_selectorIsiEEZNS1_14transform_implILb0ES3_S5_N6thrust23THRUST_200600_302600_NS6detail15normal_iteratorINS8_7pointerIsNS8_11hip_rocprim3tagENS8_11use_defaultESE_EEEENSA_INSB_IiSD_SE_SE_EEEEZNS1_13binary_searchIS3_S5_NSA_INS8_10device_ptrIsEEEESG_SI_NS1_16binary_search_opENS9_16wrapped_functionINS8_7greaterIsEEbEEEE10hipError_tPvRmT1_T2_T3_mmT4_T5_P12ihipStream_tbEUlRKsE_EESS_SW_SX_mSY_S11_bEUlT_E_NS1_11comp_targetILNS1_3genE9ELNS1_11target_archE1100ELNS1_3gpuE3ELNS1_3repE0EEENS1_30default_config_static_selectorELNS0_4arch9wavefront6targetE0EEEvSV_
    .private_segment_fixed_size: 0
    .sgpr_count:     0
    .sgpr_spill_count: 0
    .symbol:         _ZN7rocprim17ROCPRIM_400000_NS6detail17trampoline_kernelINS0_14default_configENS1_29binary_search_config_selectorIsiEEZNS1_14transform_implILb0ES3_S5_N6thrust23THRUST_200600_302600_NS6detail15normal_iteratorINS8_7pointerIsNS8_11hip_rocprim3tagENS8_11use_defaultESE_EEEENSA_INSB_IiSD_SE_SE_EEEEZNS1_13binary_searchIS3_S5_NSA_INS8_10device_ptrIsEEEESG_SI_NS1_16binary_search_opENS9_16wrapped_functionINS8_7greaterIsEEbEEEE10hipError_tPvRmT1_T2_T3_mmT4_T5_P12ihipStream_tbEUlRKsE_EESS_SW_SX_mSY_S11_bEUlT_E_NS1_11comp_targetILNS1_3genE9ELNS1_11target_archE1100ELNS1_3gpuE3ELNS1_3repE0EEENS1_30default_config_static_selectorELNS0_4arch9wavefront6targetE0EEEvSV_.kd
    .uniform_work_group_size: 1
    .uses_dynamic_stack: false
    .vgpr_count:     0
    .vgpr_spill_count: 0
    .wavefront_size: 32
  - .args:
      - .offset:         0
        .size:           56
        .value_kind:     by_value
    .group_segment_fixed_size: 0
    .kernarg_segment_align: 8
    .kernarg_segment_size: 56
    .language:       OpenCL C
    .language_version:
      - 2
      - 0
    .max_flat_workgroup_size: 128
    .name:           _ZN7rocprim17ROCPRIM_400000_NS6detail17trampoline_kernelINS0_14default_configENS1_29binary_search_config_selectorIsiEEZNS1_14transform_implILb0ES3_S5_N6thrust23THRUST_200600_302600_NS6detail15normal_iteratorINS8_7pointerIsNS8_11hip_rocprim3tagENS8_11use_defaultESE_EEEENSA_INSB_IiSD_SE_SE_EEEEZNS1_13binary_searchIS3_S5_NSA_INS8_10device_ptrIsEEEESG_SI_NS1_16binary_search_opENS9_16wrapped_functionINS8_7greaterIsEEbEEEE10hipError_tPvRmT1_T2_T3_mmT4_T5_P12ihipStream_tbEUlRKsE_EESS_SW_SX_mSY_S11_bEUlT_E_NS1_11comp_targetILNS1_3genE8ELNS1_11target_archE1030ELNS1_3gpuE2ELNS1_3repE0EEENS1_30default_config_static_selectorELNS0_4arch9wavefront6targetE0EEEvSV_
    .private_segment_fixed_size: 0
    .sgpr_count:     0
    .sgpr_spill_count: 0
    .symbol:         _ZN7rocprim17ROCPRIM_400000_NS6detail17trampoline_kernelINS0_14default_configENS1_29binary_search_config_selectorIsiEEZNS1_14transform_implILb0ES3_S5_N6thrust23THRUST_200600_302600_NS6detail15normal_iteratorINS8_7pointerIsNS8_11hip_rocprim3tagENS8_11use_defaultESE_EEEENSA_INSB_IiSD_SE_SE_EEEEZNS1_13binary_searchIS3_S5_NSA_INS8_10device_ptrIsEEEESG_SI_NS1_16binary_search_opENS9_16wrapped_functionINS8_7greaterIsEEbEEEE10hipError_tPvRmT1_T2_T3_mmT4_T5_P12ihipStream_tbEUlRKsE_EESS_SW_SX_mSY_S11_bEUlT_E_NS1_11comp_targetILNS1_3genE8ELNS1_11target_archE1030ELNS1_3gpuE2ELNS1_3repE0EEENS1_30default_config_static_selectorELNS0_4arch9wavefront6targetE0EEEvSV_.kd
    .uniform_work_group_size: 1
    .uses_dynamic_stack: false
    .vgpr_count:     0
    .vgpr_spill_count: 0
    .wavefront_size: 32
  - .args:
      - .offset:         0
        .size:           56
        .value_kind:     by_value
      - .offset:         56
        .size:           4
        .value_kind:     hidden_block_count_x
      - .offset:         60
        .size:           4
        .value_kind:     hidden_block_count_y
      - .offset:         64
        .size:           4
        .value_kind:     hidden_block_count_z
      - .offset:         68
        .size:           2
        .value_kind:     hidden_group_size_x
      - .offset:         70
        .size:           2
        .value_kind:     hidden_group_size_y
      - .offset:         72
        .size:           2
        .value_kind:     hidden_group_size_z
      - .offset:         74
        .size:           2
        .value_kind:     hidden_remainder_x
      - .offset:         76
        .size:           2
        .value_kind:     hidden_remainder_y
      - .offset:         78
        .size:           2
        .value_kind:     hidden_remainder_z
      - .offset:         96
        .size:           8
        .value_kind:     hidden_global_offset_x
      - .offset:         104
        .size:           8
        .value_kind:     hidden_global_offset_y
      - .offset:         112
        .size:           8
        .value_kind:     hidden_global_offset_z
      - .offset:         120
        .size:           2
        .value_kind:     hidden_grid_dims
    .group_segment_fixed_size: 0
    .kernarg_segment_align: 8
    .kernarg_segment_size: 312
    .language:       OpenCL C
    .language_version:
      - 2
      - 0
    .max_flat_workgroup_size: 256
    .name:           _ZN7rocprim17ROCPRIM_400000_NS6detail17trampoline_kernelINS0_14default_configENS1_29binary_search_config_selectorIiiEEZNS1_14transform_implILb0ES3_S5_N6thrust23THRUST_200600_302600_NS6detail15normal_iteratorINS8_7pointerIiNS8_11hip_rocprim3tagENS8_11use_defaultESE_EEEESG_ZNS1_13binary_searchIS3_S5_NSA_INS8_10device_ptrIiEEEESG_SG_NS1_16binary_search_opENS9_16wrapped_functionINS8_7greaterIiEEbEEEE10hipError_tPvRmT1_T2_T3_mmT4_T5_P12ihipStream_tbEUlRKiE_EESQ_SU_SV_mSW_SZ_bEUlT_E_NS1_11comp_targetILNS1_3genE0ELNS1_11target_archE4294967295ELNS1_3gpuE0ELNS1_3repE0EEENS1_30default_config_static_selectorELNS0_4arch9wavefront6targetE0EEEvST_
    .private_segment_fixed_size: 0
    .sgpr_count:     20
    .sgpr_spill_count: 0
    .symbol:         _ZN7rocprim17ROCPRIM_400000_NS6detail17trampoline_kernelINS0_14default_configENS1_29binary_search_config_selectorIiiEEZNS1_14transform_implILb0ES3_S5_N6thrust23THRUST_200600_302600_NS6detail15normal_iteratorINS8_7pointerIiNS8_11hip_rocprim3tagENS8_11use_defaultESE_EEEESG_ZNS1_13binary_searchIS3_S5_NSA_INS8_10device_ptrIiEEEESG_SG_NS1_16binary_search_opENS9_16wrapped_functionINS8_7greaterIiEEbEEEE10hipError_tPvRmT1_T2_T3_mmT4_T5_P12ihipStream_tbEUlRKiE_EESQ_SU_SV_mSW_SZ_bEUlT_E_NS1_11comp_targetILNS1_3genE0ELNS1_11target_archE4294967295ELNS1_3gpuE0ELNS1_3repE0EEENS1_30default_config_static_selectorELNS0_4arch9wavefront6targetE0EEEvST_.kd
    .uniform_work_group_size: 1
    .uses_dynamic_stack: false
    .vgpr_count:     12
    .vgpr_spill_count: 0
    .wavefront_size: 32
  - .args:
      - .offset:         0
        .size:           56
        .value_kind:     by_value
    .group_segment_fixed_size: 0
    .kernarg_segment_align: 8
    .kernarg_segment_size: 56
    .language:       OpenCL C
    .language_version:
      - 2
      - 0
    .max_flat_workgroup_size: 256
    .name:           _ZN7rocprim17ROCPRIM_400000_NS6detail17trampoline_kernelINS0_14default_configENS1_29binary_search_config_selectorIiiEEZNS1_14transform_implILb0ES3_S5_N6thrust23THRUST_200600_302600_NS6detail15normal_iteratorINS8_7pointerIiNS8_11hip_rocprim3tagENS8_11use_defaultESE_EEEESG_ZNS1_13binary_searchIS3_S5_NSA_INS8_10device_ptrIiEEEESG_SG_NS1_16binary_search_opENS9_16wrapped_functionINS8_7greaterIiEEbEEEE10hipError_tPvRmT1_T2_T3_mmT4_T5_P12ihipStream_tbEUlRKiE_EESQ_SU_SV_mSW_SZ_bEUlT_E_NS1_11comp_targetILNS1_3genE5ELNS1_11target_archE942ELNS1_3gpuE9ELNS1_3repE0EEENS1_30default_config_static_selectorELNS0_4arch9wavefront6targetE0EEEvST_
    .private_segment_fixed_size: 0
    .sgpr_count:     0
    .sgpr_spill_count: 0
    .symbol:         _ZN7rocprim17ROCPRIM_400000_NS6detail17trampoline_kernelINS0_14default_configENS1_29binary_search_config_selectorIiiEEZNS1_14transform_implILb0ES3_S5_N6thrust23THRUST_200600_302600_NS6detail15normal_iteratorINS8_7pointerIiNS8_11hip_rocprim3tagENS8_11use_defaultESE_EEEESG_ZNS1_13binary_searchIS3_S5_NSA_INS8_10device_ptrIiEEEESG_SG_NS1_16binary_search_opENS9_16wrapped_functionINS8_7greaterIiEEbEEEE10hipError_tPvRmT1_T2_T3_mmT4_T5_P12ihipStream_tbEUlRKiE_EESQ_SU_SV_mSW_SZ_bEUlT_E_NS1_11comp_targetILNS1_3genE5ELNS1_11target_archE942ELNS1_3gpuE9ELNS1_3repE0EEENS1_30default_config_static_selectorELNS0_4arch9wavefront6targetE0EEEvST_.kd
    .uniform_work_group_size: 1
    .uses_dynamic_stack: false
    .vgpr_count:     0
    .vgpr_spill_count: 0
    .wavefront_size: 32
  - .args:
      - .offset:         0
        .size:           56
        .value_kind:     by_value
    .group_segment_fixed_size: 0
    .kernarg_segment_align: 8
    .kernarg_segment_size: 56
    .language:       OpenCL C
    .language_version:
      - 2
      - 0
    .max_flat_workgroup_size: 256
    .name:           _ZN7rocprim17ROCPRIM_400000_NS6detail17trampoline_kernelINS0_14default_configENS1_29binary_search_config_selectorIiiEEZNS1_14transform_implILb0ES3_S5_N6thrust23THRUST_200600_302600_NS6detail15normal_iteratorINS8_7pointerIiNS8_11hip_rocprim3tagENS8_11use_defaultESE_EEEESG_ZNS1_13binary_searchIS3_S5_NSA_INS8_10device_ptrIiEEEESG_SG_NS1_16binary_search_opENS9_16wrapped_functionINS8_7greaterIiEEbEEEE10hipError_tPvRmT1_T2_T3_mmT4_T5_P12ihipStream_tbEUlRKiE_EESQ_SU_SV_mSW_SZ_bEUlT_E_NS1_11comp_targetILNS1_3genE4ELNS1_11target_archE910ELNS1_3gpuE8ELNS1_3repE0EEENS1_30default_config_static_selectorELNS0_4arch9wavefront6targetE0EEEvST_
    .private_segment_fixed_size: 0
    .sgpr_count:     0
    .sgpr_spill_count: 0
    .symbol:         _ZN7rocprim17ROCPRIM_400000_NS6detail17trampoline_kernelINS0_14default_configENS1_29binary_search_config_selectorIiiEEZNS1_14transform_implILb0ES3_S5_N6thrust23THRUST_200600_302600_NS6detail15normal_iteratorINS8_7pointerIiNS8_11hip_rocprim3tagENS8_11use_defaultESE_EEEESG_ZNS1_13binary_searchIS3_S5_NSA_INS8_10device_ptrIiEEEESG_SG_NS1_16binary_search_opENS9_16wrapped_functionINS8_7greaterIiEEbEEEE10hipError_tPvRmT1_T2_T3_mmT4_T5_P12ihipStream_tbEUlRKiE_EESQ_SU_SV_mSW_SZ_bEUlT_E_NS1_11comp_targetILNS1_3genE4ELNS1_11target_archE910ELNS1_3gpuE8ELNS1_3repE0EEENS1_30default_config_static_selectorELNS0_4arch9wavefront6targetE0EEEvST_.kd
    .uniform_work_group_size: 1
    .uses_dynamic_stack: false
    .vgpr_count:     0
    .vgpr_spill_count: 0
    .wavefront_size: 32
  - .args:
      - .offset:         0
        .size:           56
        .value_kind:     by_value
    .group_segment_fixed_size: 0
    .kernarg_segment_align: 8
    .kernarg_segment_size: 56
    .language:       OpenCL C
    .language_version:
      - 2
      - 0
    .max_flat_workgroup_size: 256
    .name:           _ZN7rocprim17ROCPRIM_400000_NS6detail17trampoline_kernelINS0_14default_configENS1_29binary_search_config_selectorIiiEEZNS1_14transform_implILb0ES3_S5_N6thrust23THRUST_200600_302600_NS6detail15normal_iteratorINS8_7pointerIiNS8_11hip_rocprim3tagENS8_11use_defaultESE_EEEESG_ZNS1_13binary_searchIS3_S5_NSA_INS8_10device_ptrIiEEEESG_SG_NS1_16binary_search_opENS9_16wrapped_functionINS8_7greaterIiEEbEEEE10hipError_tPvRmT1_T2_T3_mmT4_T5_P12ihipStream_tbEUlRKiE_EESQ_SU_SV_mSW_SZ_bEUlT_E_NS1_11comp_targetILNS1_3genE3ELNS1_11target_archE908ELNS1_3gpuE7ELNS1_3repE0EEENS1_30default_config_static_selectorELNS0_4arch9wavefront6targetE0EEEvST_
    .private_segment_fixed_size: 0
    .sgpr_count:     0
    .sgpr_spill_count: 0
    .symbol:         _ZN7rocprim17ROCPRIM_400000_NS6detail17trampoline_kernelINS0_14default_configENS1_29binary_search_config_selectorIiiEEZNS1_14transform_implILb0ES3_S5_N6thrust23THRUST_200600_302600_NS6detail15normal_iteratorINS8_7pointerIiNS8_11hip_rocprim3tagENS8_11use_defaultESE_EEEESG_ZNS1_13binary_searchIS3_S5_NSA_INS8_10device_ptrIiEEEESG_SG_NS1_16binary_search_opENS9_16wrapped_functionINS8_7greaterIiEEbEEEE10hipError_tPvRmT1_T2_T3_mmT4_T5_P12ihipStream_tbEUlRKiE_EESQ_SU_SV_mSW_SZ_bEUlT_E_NS1_11comp_targetILNS1_3genE3ELNS1_11target_archE908ELNS1_3gpuE7ELNS1_3repE0EEENS1_30default_config_static_selectorELNS0_4arch9wavefront6targetE0EEEvST_.kd
    .uniform_work_group_size: 1
    .uses_dynamic_stack: false
    .vgpr_count:     0
    .vgpr_spill_count: 0
    .wavefront_size: 32
  - .args:
      - .offset:         0
        .size:           56
        .value_kind:     by_value
    .group_segment_fixed_size: 0
    .kernarg_segment_align: 8
    .kernarg_segment_size: 56
    .language:       OpenCL C
    .language_version:
      - 2
      - 0
    .max_flat_workgroup_size: 256
    .name:           _ZN7rocprim17ROCPRIM_400000_NS6detail17trampoline_kernelINS0_14default_configENS1_29binary_search_config_selectorIiiEEZNS1_14transform_implILb0ES3_S5_N6thrust23THRUST_200600_302600_NS6detail15normal_iteratorINS8_7pointerIiNS8_11hip_rocprim3tagENS8_11use_defaultESE_EEEESG_ZNS1_13binary_searchIS3_S5_NSA_INS8_10device_ptrIiEEEESG_SG_NS1_16binary_search_opENS9_16wrapped_functionINS8_7greaterIiEEbEEEE10hipError_tPvRmT1_T2_T3_mmT4_T5_P12ihipStream_tbEUlRKiE_EESQ_SU_SV_mSW_SZ_bEUlT_E_NS1_11comp_targetILNS1_3genE2ELNS1_11target_archE906ELNS1_3gpuE6ELNS1_3repE0EEENS1_30default_config_static_selectorELNS0_4arch9wavefront6targetE0EEEvST_
    .private_segment_fixed_size: 0
    .sgpr_count:     0
    .sgpr_spill_count: 0
    .symbol:         _ZN7rocprim17ROCPRIM_400000_NS6detail17trampoline_kernelINS0_14default_configENS1_29binary_search_config_selectorIiiEEZNS1_14transform_implILb0ES3_S5_N6thrust23THRUST_200600_302600_NS6detail15normal_iteratorINS8_7pointerIiNS8_11hip_rocprim3tagENS8_11use_defaultESE_EEEESG_ZNS1_13binary_searchIS3_S5_NSA_INS8_10device_ptrIiEEEESG_SG_NS1_16binary_search_opENS9_16wrapped_functionINS8_7greaterIiEEbEEEE10hipError_tPvRmT1_T2_T3_mmT4_T5_P12ihipStream_tbEUlRKiE_EESQ_SU_SV_mSW_SZ_bEUlT_E_NS1_11comp_targetILNS1_3genE2ELNS1_11target_archE906ELNS1_3gpuE6ELNS1_3repE0EEENS1_30default_config_static_selectorELNS0_4arch9wavefront6targetE0EEEvST_.kd
    .uniform_work_group_size: 1
    .uses_dynamic_stack: false
    .vgpr_count:     0
    .vgpr_spill_count: 0
    .wavefront_size: 32
  - .args:
      - .offset:         0
        .size:           56
        .value_kind:     by_value
    .group_segment_fixed_size: 0
    .kernarg_segment_align: 8
    .kernarg_segment_size: 56
    .language:       OpenCL C
    .language_version:
      - 2
      - 0
    .max_flat_workgroup_size: 128
    .name:           _ZN7rocprim17ROCPRIM_400000_NS6detail17trampoline_kernelINS0_14default_configENS1_29binary_search_config_selectorIiiEEZNS1_14transform_implILb0ES3_S5_N6thrust23THRUST_200600_302600_NS6detail15normal_iteratorINS8_7pointerIiNS8_11hip_rocprim3tagENS8_11use_defaultESE_EEEESG_ZNS1_13binary_searchIS3_S5_NSA_INS8_10device_ptrIiEEEESG_SG_NS1_16binary_search_opENS9_16wrapped_functionINS8_7greaterIiEEbEEEE10hipError_tPvRmT1_T2_T3_mmT4_T5_P12ihipStream_tbEUlRKiE_EESQ_SU_SV_mSW_SZ_bEUlT_E_NS1_11comp_targetILNS1_3genE10ELNS1_11target_archE1201ELNS1_3gpuE5ELNS1_3repE0EEENS1_30default_config_static_selectorELNS0_4arch9wavefront6targetE0EEEvST_
    .private_segment_fixed_size: 0
    .sgpr_count:     0
    .sgpr_spill_count: 0
    .symbol:         _ZN7rocprim17ROCPRIM_400000_NS6detail17trampoline_kernelINS0_14default_configENS1_29binary_search_config_selectorIiiEEZNS1_14transform_implILb0ES3_S5_N6thrust23THRUST_200600_302600_NS6detail15normal_iteratorINS8_7pointerIiNS8_11hip_rocprim3tagENS8_11use_defaultESE_EEEESG_ZNS1_13binary_searchIS3_S5_NSA_INS8_10device_ptrIiEEEESG_SG_NS1_16binary_search_opENS9_16wrapped_functionINS8_7greaterIiEEbEEEE10hipError_tPvRmT1_T2_T3_mmT4_T5_P12ihipStream_tbEUlRKiE_EESQ_SU_SV_mSW_SZ_bEUlT_E_NS1_11comp_targetILNS1_3genE10ELNS1_11target_archE1201ELNS1_3gpuE5ELNS1_3repE0EEENS1_30default_config_static_selectorELNS0_4arch9wavefront6targetE0EEEvST_.kd
    .uniform_work_group_size: 1
    .uses_dynamic_stack: false
    .vgpr_count:     0
    .vgpr_spill_count: 0
    .wavefront_size: 32
  - .args:
      - .offset:         0
        .size:           56
        .value_kind:     by_value
    .group_segment_fixed_size: 0
    .kernarg_segment_align: 8
    .kernarg_segment_size: 56
    .language:       OpenCL C
    .language_version:
      - 2
      - 0
    .max_flat_workgroup_size: 128
    .name:           _ZN7rocprim17ROCPRIM_400000_NS6detail17trampoline_kernelINS0_14default_configENS1_29binary_search_config_selectorIiiEEZNS1_14transform_implILb0ES3_S5_N6thrust23THRUST_200600_302600_NS6detail15normal_iteratorINS8_7pointerIiNS8_11hip_rocprim3tagENS8_11use_defaultESE_EEEESG_ZNS1_13binary_searchIS3_S5_NSA_INS8_10device_ptrIiEEEESG_SG_NS1_16binary_search_opENS9_16wrapped_functionINS8_7greaterIiEEbEEEE10hipError_tPvRmT1_T2_T3_mmT4_T5_P12ihipStream_tbEUlRKiE_EESQ_SU_SV_mSW_SZ_bEUlT_E_NS1_11comp_targetILNS1_3genE10ELNS1_11target_archE1200ELNS1_3gpuE4ELNS1_3repE0EEENS1_30default_config_static_selectorELNS0_4arch9wavefront6targetE0EEEvST_
    .private_segment_fixed_size: 0
    .sgpr_count:     0
    .sgpr_spill_count: 0
    .symbol:         _ZN7rocprim17ROCPRIM_400000_NS6detail17trampoline_kernelINS0_14default_configENS1_29binary_search_config_selectorIiiEEZNS1_14transform_implILb0ES3_S5_N6thrust23THRUST_200600_302600_NS6detail15normal_iteratorINS8_7pointerIiNS8_11hip_rocprim3tagENS8_11use_defaultESE_EEEESG_ZNS1_13binary_searchIS3_S5_NSA_INS8_10device_ptrIiEEEESG_SG_NS1_16binary_search_opENS9_16wrapped_functionINS8_7greaterIiEEbEEEE10hipError_tPvRmT1_T2_T3_mmT4_T5_P12ihipStream_tbEUlRKiE_EESQ_SU_SV_mSW_SZ_bEUlT_E_NS1_11comp_targetILNS1_3genE10ELNS1_11target_archE1200ELNS1_3gpuE4ELNS1_3repE0EEENS1_30default_config_static_selectorELNS0_4arch9wavefront6targetE0EEEvST_.kd
    .uniform_work_group_size: 1
    .uses_dynamic_stack: false
    .vgpr_count:     0
    .vgpr_spill_count: 0
    .wavefront_size: 32
  - .args:
      - .offset:         0
        .size:           56
        .value_kind:     by_value
    .group_segment_fixed_size: 0
    .kernarg_segment_align: 8
    .kernarg_segment_size: 56
    .language:       OpenCL C
    .language_version:
      - 2
      - 0
    .max_flat_workgroup_size: 256
    .name:           _ZN7rocprim17ROCPRIM_400000_NS6detail17trampoline_kernelINS0_14default_configENS1_29binary_search_config_selectorIiiEEZNS1_14transform_implILb0ES3_S5_N6thrust23THRUST_200600_302600_NS6detail15normal_iteratorINS8_7pointerIiNS8_11hip_rocprim3tagENS8_11use_defaultESE_EEEESG_ZNS1_13binary_searchIS3_S5_NSA_INS8_10device_ptrIiEEEESG_SG_NS1_16binary_search_opENS9_16wrapped_functionINS8_7greaterIiEEbEEEE10hipError_tPvRmT1_T2_T3_mmT4_T5_P12ihipStream_tbEUlRKiE_EESQ_SU_SV_mSW_SZ_bEUlT_E_NS1_11comp_targetILNS1_3genE9ELNS1_11target_archE1100ELNS1_3gpuE3ELNS1_3repE0EEENS1_30default_config_static_selectorELNS0_4arch9wavefront6targetE0EEEvST_
    .private_segment_fixed_size: 0
    .sgpr_count:     0
    .sgpr_spill_count: 0
    .symbol:         _ZN7rocprim17ROCPRIM_400000_NS6detail17trampoline_kernelINS0_14default_configENS1_29binary_search_config_selectorIiiEEZNS1_14transform_implILb0ES3_S5_N6thrust23THRUST_200600_302600_NS6detail15normal_iteratorINS8_7pointerIiNS8_11hip_rocprim3tagENS8_11use_defaultESE_EEEESG_ZNS1_13binary_searchIS3_S5_NSA_INS8_10device_ptrIiEEEESG_SG_NS1_16binary_search_opENS9_16wrapped_functionINS8_7greaterIiEEbEEEE10hipError_tPvRmT1_T2_T3_mmT4_T5_P12ihipStream_tbEUlRKiE_EESQ_SU_SV_mSW_SZ_bEUlT_E_NS1_11comp_targetILNS1_3genE9ELNS1_11target_archE1100ELNS1_3gpuE3ELNS1_3repE0EEENS1_30default_config_static_selectorELNS0_4arch9wavefront6targetE0EEEvST_.kd
    .uniform_work_group_size: 1
    .uses_dynamic_stack: false
    .vgpr_count:     0
    .vgpr_spill_count: 0
    .wavefront_size: 32
  - .args:
      - .offset:         0
        .size:           56
        .value_kind:     by_value
    .group_segment_fixed_size: 0
    .kernarg_segment_align: 8
    .kernarg_segment_size: 56
    .language:       OpenCL C
    .language_version:
      - 2
      - 0
    .max_flat_workgroup_size: 256
    .name:           _ZN7rocprim17ROCPRIM_400000_NS6detail17trampoline_kernelINS0_14default_configENS1_29binary_search_config_selectorIiiEEZNS1_14transform_implILb0ES3_S5_N6thrust23THRUST_200600_302600_NS6detail15normal_iteratorINS8_7pointerIiNS8_11hip_rocprim3tagENS8_11use_defaultESE_EEEESG_ZNS1_13binary_searchIS3_S5_NSA_INS8_10device_ptrIiEEEESG_SG_NS1_16binary_search_opENS9_16wrapped_functionINS8_7greaterIiEEbEEEE10hipError_tPvRmT1_T2_T3_mmT4_T5_P12ihipStream_tbEUlRKiE_EESQ_SU_SV_mSW_SZ_bEUlT_E_NS1_11comp_targetILNS1_3genE8ELNS1_11target_archE1030ELNS1_3gpuE2ELNS1_3repE0EEENS1_30default_config_static_selectorELNS0_4arch9wavefront6targetE0EEEvST_
    .private_segment_fixed_size: 0
    .sgpr_count:     0
    .sgpr_spill_count: 0
    .symbol:         _ZN7rocprim17ROCPRIM_400000_NS6detail17trampoline_kernelINS0_14default_configENS1_29binary_search_config_selectorIiiEEZNS1_14transform_implILb0ES3_S5_N6thrust23THRUST_200600_302600_NS6detail15normal_iteratorINS8_7pointerIiNS8_11hip_rocprim3tagENS8_11use_defaultESE_EEEESG_ZNS1_13binary_searchIS3_S5_NSA_INS8_10device_ptrIiEEEESG_SG_NS1_16binary_search_opENS9_16wrapped_functionINS8_7greaterIiEEbEEEE10hipError_tPvRmT1_T2_T3_mmT4_T5_P12ihipStream_tbEUlRKiE_EESQ_SU_SV_mSW_SZ_bEUlT_E_NS1_11comp_targetILNS1_3genE8ELNS1_11target_archE1030ELNS1_3gpuE2ELNS1_3repE0EEENS1_30default_config_static_selectorELNS0_4arch9wavefront6targetE0EEEvST_.kd
    .uniform_work_group_size: 1
    .uses_dynamic_stack: false
    .vgpr_count:     0
    .vgpr_spill_count: 0
    .wavefront_size: 32
  - .args:
      - .offset:         0
        .size:           56
        .value_kind:     by_value
      - .offset:         56
        .size:           4
        .value_kind:     hidden_block_count_x
      - .offset:         60
        .size:           4
        .value_kind:     hidden_block_count_y
      - .offset:         64
        .size:           4
        .value_kind:     hidden_block_count_z
      - .offset:         68
        .size:           2
        .value_kind:     hidden_group_size_x
      - .offset:         70
        .size:           2
        .value_kind:     hidden_group_size_y
      - .offset:         72
        .size:           2
        .value_kind:     hidden_group_size_z
      - .offset:         74
        .size:           2
        .value_kind:     hidden_remainder_x
      - .offset:         76
        .size:           2
        .value_kind:     hidden_remainder_y
      - .offset:         78
        .size:           2
        .value_kind:     hidden_remainder_z
      - .offset:         96
        .size:           8
        .value_kind:     hidden_global_offset_x
      - .offset:         104
        .size:           8
        .value_kind:     hidden_global_offset_y
      - .offset:         112
        .size:           8
        .value_kind:     hidden_global_offset_z
      - .offset:         120
        .size:           2
        .value_kind:     hidden_grid_dims
    .group_segment_fixed_size: 0
    .kernarg_segment_align: 8
    .kernarg_segment_size: 312
    .language:       OpenCL C
    .language_version:
      - 2
      - 0
    .max_flat_workgroup_size: 256
    .name:           _ZN7rocprim17ROCPRIM_400000_NS6detail17trampoline_kernelINS0_14default_configENS1_29binary_search_config_selectorIfiEEZNS1_14transform_implILb0ES3_S5_N6thrust23THRUST_200600_302600_NS6detail15normal_iteratorINS8_7pointerIfNS8_11hip_rocprim3tagENS8_11use_defaultESE_EEEENSA_INSB_IiSD_SE_SE_EEEEZNS1_13binary_searchIS3_S5_NSA_INS8_10device_ptrIfEEEESG_SI_NS1_16binary_search_opENS9_16wrapped_functionINS8_7greaterIfEEbEEEE10hipError_tPvRmT1_T2_T3_mmT4_T5_P12ihipStream_tbEUlRKfE_EESS_SW_SX_mSY_S11_bEUlT_E_NS1_11comp_targetILNS1_3genE0ELNS1_11target_archE4294967295ELNS1_3gpuE0ELNS1_3repE0EEENS1_30default_config_static_selectorELNS0_4arch9wavefront6targetE0EEEvSV_
    .private_segment_fixed_size: 0
    .sgpr_count:     20
    .sgpr_spill_count: 0
    .symbol:         _ZN7rocprim17ROCPRIM_400000_NS6detail17trampoline_kernelINS0_14default_configENS1_29binary_search_config_selectorIfiEEZNS1_14transform_implILb0ES3_S5_N6thrust23THRUST_200600_302600_NS6detail15normal_iteratorINS8_7pointerIfNS8_11hip_rocprim3tagENS8_11use_defaultESE_EEEENSA_INSB_IiSD_SE_SE_EEEEZNS1_13binary_searchIS3_S5_NSA_INS8_10device_ptrIfEEEESG_SI_NS1_16binary_search_opENS9_16wrapped_functionINS8_7greaterIfEEbEEEE10hipError_tPvRmT1_T2_T3_mmT4_T5_P12ihipStream_tbEUlRKfE_EESS_SW_SX_mSY_S11_bEUlT_E_NS1_11comp_targetILNS1_3genE0ELNS1_11target_archE4294967295ELNS1_3gpuE0ELNS1_3repE0EEENS1_30default_config_static_selectorELNS0_4arch9wavefront6targetE0EEEvSV_.kd
    .uniform_work_group_size: 1
    .uses_dynamic_stack: false
    .vgpr_count:     12
    .vgpr_spill_count: 0
    .wavefront_size: 32
  - .args:
      - .offset:         0
        .size:           56
        .value_kind:     by_value
    .group_segment_fixed_size: 0
    .kernarg_segment_align: 8
    .kernarg_segment_size: 56
    .language:       OpenCL C
    .language_version:
      - 2
      - 0
    .max_flat_workgroup_size: 256
    .name:           _ZN7rocprim17ROCPRIM_400000_NS6detail17trampoline_kernelINS0_14default_configENS1_29binary_search_config_selectorIfiEEZNS1_14transform_implILb0ES3_S5_N6thrust23THRUST_200600_302600_NS6detail15normal_iteratorINS8_7pointerIfNS8_11hip_rocprim3tagENS8_11use_defaultESE_EEEENSA_INSB_IiSD_SE_SE_EEEEZNS1_13binary_searchIS3_S5_NSA_INS8_10device_ptrIfEEEESG_SI_NS1_16binary_search_opENS9_16wrapped_functionINS8_7greaterIfEEbEEEE10hipError_tPvRmT1_T2_T3_mmT4_T5_P12ihipStream_tbEUlRKfE_EESS_SW_SX_mSY_S11_bEUlT_E_NS1_11comp_targetILNS1_3genE5ELNS1_11target_archE942ELNS1_3gpuE9ELNS1_3repE0EEENS1_30default_config_static_selectorELNS0_4arch9wavefront6targetE0EEEvSV_
    .private_segment_fixed_size: 0
    .sgpr_count:     0
    .sgpr_spill_count: 0
    .symbol:         _ZN7rocprim17ROCPRIM_400000_NS6detail17trampoline_kernelINS0_14default_configENS1_29binary_search_config_selectorIfiEEZNS1_14transform_implILb0ES3_S5_N6thrust23THRUST_200600_302600_NS6detail15normal_iteratorINS8_7pointerIfNS8_11hip_rocprim3tagENS8_11use_defaultESE_EEEENSA_INSB_IiSD_SE_SE_EEEEZNS1_13binary_searchIS3_S5_NSA_INS8_10device_ptrIfEEEESG_SI_NS1_16binary_search_opENS9_16wrapped_functionINS8_7greaterIfEEbEEEE10hipError_tPvRmT1_T2_T3_mmT4_T5_P12ihipStream_tbEUlRKfE_EESS_SW_SX_mSY_S11_bEUlT_E_NS1_11comp_targetILNS1_3genE5ELNS1_11target_archE942ELNS1_3gpuE9ELNS1_3repE0EEENS1_30default_config_static_selectorELNS0_4arch9wavefront6targetE0EEEvSV_.kd
    .uniform_work_group_size: 1
    .uses_dynamic_stack: false
    .vgpr_count:     0
    .vgpr_spill_count: 0
    .wavefront_size: 32
  - .args:
      - .offset:         0
        .size:           56
        .value_kind:     by_value
    .group_segment_fixed_size: 0
    .kernarg_segment_align: 8
    .kernarg_segment_size: 56
    .language:       OpenCL C
    .language_version:
      - 2
      - 0
    .max_flat_workgroup_size: 256
    .name:           _ZN7rocprim17ROCPRIM_400000_NS6detail17trampoline_kernelINS0_14default_configENS1_29binary_search_config_selectorIfiEEZNS1_14transform_implILb0ES3_S5_N6thrust23THRUST_200600_302600_NS6detail15normal_iteratorINS8_7pointerIfNS8_11hip_rocprim3tagENS8_11use_defaultESE_EEEENSA_INSB_IiSD_SE_SE_EEEEZNS1_13binary_searchIS3_S5_NSA_INS8_10device_ptrIfEEEESG_SI_NS1_16binary_search_opENS9_16wrapped_functionINS8_7greaterIfEEbEEEE10hipError_tPvRmT1_T2_T3_mmT4_T5_P12ihipStream_tbEUlRKfE_EESS_SW_SX_mSY_S11_bEUlT_E_NS1_11comp_targetILNS1_3genE4ELNS1_11target_archE910ELNS1_3gpuE8ELNS1_3repE0EEENS1_30default_config_static_selectorELNS0_4arch9wavefront6targetE0EEEvSV_
    .private_segment_fixed_size: 0
    .sgpr_count:     0
    .sgpr_spill_count: 0
    .symbol:         _ZN7rocprim17ROCPRIM_400000_NS6detail17trampoline_kernelINS0_14default_configENS1_29binary_search_config_selectorIfiEEZNS1_14transform_implILb0ES3_S5_N6thrust23THRUST_200600_302600_NS6detail15normal_iteratorINS8_7pointerIfNS8_11hip_rocprim3tagENS8_11use_defaultESE_EEEENSA_INSB_IiSD_SE_SE_EEEEZNS1_13binary_searchIS3_S5_NSA_INS8_10device_ptrIfEEEESG_SI_NS1_16binary_search_opENS9_16wrapped_functionINS8_7greaterIfEEbEEEE10hipError_tPvRmT1_T2_T3_mmT4_T5_P12ihipStream_tbEUlRKfE_EESS_SW_SX_mSY_S11_bEUlT_E_NS1_11comp_targetILNS1_3genE4ELNS1_11target_archE910ELNS1_3gpuE8ELNS1_3repE0EEENS1_30default_config_static_selectorELNS0_4arch9wavefront6targetE0EEEvSV_.kd
    .uniform_work_group_size: 1
    .uses_dynamic_stack: false
    .vgpr_count:     0
    .vgpr_spill_count: 0
    .wavefront_size: 32
  - .args:
      - .offset:         0
        .size:           56
        .value_kind:     by_value
    .group_segment_fixed_size: 0
    .kernarg_segment_align: 8
    .kernarg_segment_size: 56
    .language:       OpenCL C
    .language_version:
      - 2
      - 0
    .max_flat_workgroup_size: 256
    .name:           _ZN7rocprim17ROCPRIM_400000_NS6detail17trampoline_kernelINS0_14default_configENS1_29binary_search_config_selectorIfiEEZNS1_14transform_implILb0ES3_S5_N6thrust23THRUST_200600_302600_NS6detail15normal_iteratorINS8_7pointerIfNS8_11hip_rocprim3tagENS8_11use_defaultESE_EEEENSA_INSB_IiSD_SE_SE_EEEEZNS1_13binary_searchIS3_S5_NSA_INS8_10device_ptrIfEEEESG_SI_NS1_16binary_search_opENS9_16wrapped_functionINS8_7greaterIfEEbEEEE10hipError_tPvRmT1_T2_T3_mmT4_T5_P12ihipStream_tbEUlRKfE_EESS_SW_SX_mSY_S11_bEUlT_E_NS1_11comp_targetILNS1_3genE3ELNS1_11target_archE908ELNS1_3gpuE7ELNS1_3repE0EEENS1_30default_config_static_selectorELNS0_4arch9wavefront6targetE0EEEvSV_
    .private_segment_fixed_size: 0
    .sgpr_count:     0
    .sgpr_spill_count: 0
    .symbol:         _ZN7rocprim17ROCPRIM_400000_NS6detail17trampoline_kernelINS0_14default_configENS1_29binary_search_config_selectorIfiEEZNS1_14transform_implILb0ES3_S5_N6thrust23THRUST_200600_302600_NS6detail15normal_iteratorINS8_7pointerIfNS8_11hip_rocprim3tagENS8_11use_defaultESE_EEEENSA_INSB_IiSD_SE_SE_EEEEZNS1_13binary_searchIS3_S5_NSA_INS8_10device_ptrIfEEEESG_SI_NS1_16binary_search_opENS9_16wrapped_functionINS8_7greaterIfEEbEEEE10hipError_tPvRmT1_T2_T3_mmT4_T5_P12ihipStream_tbEUlRKfE_EESS_SW_SX_mSY_S11_bEUlT_E_NS1_11comp_targetILNS1_3genE3ELNS1_11target_archE908ELNS1_3gpuE7ELNS1_3repE0EEENS1_30default_config_static_selectorELNS0_4arch9wavefront6targetE0EEEvSV_.kd
    .uniform_work_group_size: 1
    .uses_dynamic_stack: false
    .vgpr_count:     0
    .vgpr_spill_count: 0
    .wavefront_size: 32
  - .args:
      - .offset:         0
        .size:           56
        .value_kind:     by_value
    .group_segment_fixed_size: 0
    .kernarg_segment_align: 8
    .kernarg_segment_size: 56
    .language:       OpenCL C
    .language_version:
      - 2
      - 0
    .max_flat_workgroup_size: 256
    .name:           _ZN7rocprim17ROCPRIM_400000_NS6detail17trampoline_kernelINS0_14default_configENS1_29binary_search_config_selectorIfiEEZNS1_14transform_implILb0ES3_S5_N6thrust23THRUST_200600_302600_NS6detail15normal_iteratorINS8_7pointerIfNS8_11hip_rocprim3tagENS8_11use_defaultESE_EEEENSA_INSB_IiSD_SE_SE_EEEEZNS1_13binary_searchIS3_S5_NSA_INS8_10device_ptrIfEEEESG_SI_NS1_16binary_search_opENS9_16wrapped_functionINS8_7greaterIfEEbEEEE10hipError_tPvRmT1_T2_T3_mmT4_T5_P12ihipStream_tbEUlRKfE_EESS_SW_SX_mSY_S11_bEUlT_E_NS1_11comp_targetILNS1_3genE2ELNS1_11target_archE906ELNS1_3gpuE6ELNS1_3repE0EEENS1_30default_config_static_selectorELNS0_4arch9wavefront6targetE0EEEvSV_
    .private_segment_fixed_size: 0
    .sgpr_count:     0
    .sgpr_spill_count: 0
    .symbol:         _ZN7rocprim17ROCPRIM_400000_NS6detail17trampoline_kernelINS0_14default_configENS1_29binary_search_config_selectorIfiEEZNS1_14transform_implILb0ES3_S5_N6thrust23THRUST_200600_302600_NS6detail15normal_iteratorINS8_7pointerIfNS8_11hip_rocprim3tagENS8_11use_defaultESE_EEEENSA_INSB_IiSD_SE_SE_EEEEZNS1_13binary_searchIS3_S5_NSA_INS8_10device_ptrIfEEEESG_SI_NS1_16binary_search_opENS9_16wrapped_functionINS8_7greaterIfEEbEEEE10hipError_tPvRmT1_T2_T3_mmT4_T5_P12ihipStream_tbEUlRKfE_EESS_SW_SX_mSY_S11_bEUlT_E_NS1_11comp_targetILNS1_3genE2ELNS1_11target_archE906ELNS1_3gpuE6ELNS1_3repE0EEENS1_30default_config_static_selectorELNS0_4arch9wavefront6targetE0EEEvSV_.kd
    .uniform_work_group_size: 1
    .uses_dynamic_stack: false
    .vgpr_count:     0
    .vgpr_spill_count: 0
    .wavefront_size: 32
  - .args:
      - .offset:         0
        .size:           56
        .value_kind:     by_value
    .group_segment_fixed_size: 0
    .kernarg_segment_align: 8
    .kernarg_segment_size: 56
    .language:       OpenCL C
    .language_version:
      - 2
      - 0
    .max_flat_workgroup_size: 128
    .name:           _ZN7rocprim17ROCPRIM_400000_NS6detail17trampoline_kernelINS0_14default_configENS1_29binary_search_config_selectorIfiEEZNS1_14transform_implILb0ES3_S5_N6thrust23THRUST_200600_302600_NS6detail15normal_iteratorINS8_7pointerIfNS8_11hip_rocprim3tagENS8_11use_defaultESE_EEEENSA_INSB_IiSD_SE_SE_EEEEZNS1_13binary_searchIS3_S5_NSA_INS8_10device_ptrIfEEEESG_SI_NS1_16binary_search_opENS9_16wrapped_functionINS8_7greaterIfEEbEEEE10hipError_tPvRmT1_T2_T3_mmT4_T5_P12ihipStream_tbEUlRKfE_EESS_SW_SX_mSY_S11_bEUlT_E_NS1_11comp_targetILNS1_3genE10ELNS1_11target_archE1201ELNS1_3gpuE5ELNS1_3repE0EEENS1_30default_config_static_selectorELNS0_4arch9wavefront6targetE0EEEvSV_
    .private_segment_fixed_size: 0
    .sgpr_count:     0
    .sgpr_spill_count: 0
    .symbol:         _ZN7rocprim17ROCPRIM_400000_NS6detail17trampoline_kernelINS0_14default_configENS1_29binary_search_config_selectorIfiEEZNS1_14transform_implILb0ES3_S5_N6thrust23THRUST_200600_302600_NS6detail15normal_iteratorINS8_7pointerIfNS8_11hip_rocprim3tagENS8_11use_defaultESE_EEEENSA_INSB_IiSD_SE_SE_EEEEZNS1_13binary_searchIS3_S5_NSA_INS8_10device_ptrIfEEEESG_SI_NS1_16binary_search_opENS9_16wrapped_functionINS8_7greaterIfEEbEEEE10hipError_tPvRmT1_T2_T3_mmT4_T5_P12ihipStream_tbEUlRKfE_EESS_SW_SX_mSY_S11_bEUlT_E_NS1_11comp_targetILNS1_3genE10ELNS1_11target_archE1201ELNS1_3gpuE5ELNS1_3repE0EEENS1_30default_config_static_selectorELNS0_4arch9wavefront6targetE0EEEvSV_.kd
    .uniform_work_group_size: 1
    .uses_dynamic_stack: false
    .vgpr_count:     0
    .vgpr_spill_count: 0
    .wavefront_size: 32
  - .args:
      - .offset:         0
        .size:           56
        .value_kind:     by_value
    .group_segment_fixed_size: 0
    .kernarg_segment_align: 8
    .kernarg_segment_size: 56
    .language:       OpenCL C
    .language_version:
      - 2
      - 0
    .max_flat_workgroup_size: 128
    .name:           _ZN7rocprim17ROCPRIM_400000_NS6detail17trampoline_kernelINS0_14default_configENS1_29binary_search_config_selectorIfiEEZNS1_14transform_implILb0ES3_S5_N6thrust23THRUST_200600_302600_NS6detail15normal_iteratorINS8_7pointerIfNS8_11hip_rocprim3tagENS8_11use_defaultESE_EEEENSA_INSB_IiSD_SE_SE_EEEEZNS1_13binary_searchIS3_S5_NSA_INS8_10device_ptrIfEEEESG_SI_NS1_16binary_search_opENS9_16wrapped_functionINS8_7greaterIfEEbEEEE10hipError_tPvRmT1_T2_T3_mmT4_T5_P12ihipStream_tbEUlRKfE_EESS_SW_SX_mSY_S11_bEUlT_E_NS1_11comp_targetILNS1_3genE10ELNS1_11target_archE1200ELNS1_3gpuE4ELNS1_3repE0EEENS1_30default_config_static_selectorELNS0_4arch9wavefront6targetE0EEEvSV_
    .private_segment_fixed_size: 0
    .sgpr_count:     0
    .sgpr_spill_count: 0
    .symbol:         _ZN7rocprim17ROCPRIM_400000_NS6detail17trampoline_kernelINS0_14default_configENS1_29binary_search_config_selectorIfiEEZNS1_14transform_implILb0ES3_S5_N6thrust23THRUST_200600_302600_NS6detail15normal_iteratorINS8_7pointerIfNS8_11hip_rocprim3tagENS8_11use_defaultESE_EEEENSA_INSB_IiSD_SE_SE_EEEEZNS1_13binary_searchIS3_S5_NSA_INS8_10device_ptrIfEEEESG_SI_NS1_16binary_search_opENS9_16wrapped_functionINS8_7greaterIfEEbEEEE10hipError_tPvRmT1_T2_T3_mmT4_T5_P12ihipStream_tbEUlRKfE_EESS_SW_SX_mSY_S11_bEUlT_E_NS1_11comp_targetILNS1_3genE10ELNS1_11target_archE1200ELNS1_3gpuE4ELNS1_3repE0EEENS1_30default_config_static_selectorELNS0_4arch9wavefront6targetE0EEEvSV_.kd
    .uniform_work_group_size: 1
    .uses_dynamic_stack: false
    .vgpr_count:     0
    .vgpr_spill_count: 0
    .wavefront_size: 32
  - .args:
      - .offset:         0
        .size:           56
        .value_kind:     by_value
    .group_segment_fixed_size: 0
    .kernarg_segment_align: 8
    .kernarg_segment_size: 56
    .language:       OpenCL C
    .language_version:
      - 2
      - 0
    .max_flat_workgroup_size: 256
    .name:           _ZN7rocprim17ROCPRIM_400000_NS6detail17trampoline_kernelINS0_14default_configENS1_29binary_search_config_selectorIfiEEZNS1_14transform_implILb0ES3_S5_N6thrust23THRUST_200600_302600_NS6detail15normal_iteratorINS8_7pointerIfNS8_11hip_rocprim3tagENS8_11use_defaultESE_EEEENSA_INSB_IiSD_SE_SE_EEEEZNS1_13binary_searchIS3_S5_NSA_INS8_10device_ptrIfEEEESG_SI_NS1_16binary_search_opENS9_16wrapped_functionINS8_7greaterIfEEbEEEE10hipError_tPvRmT1_T2_T3_mmT4_T5_P12ihipStream_tbEUlRKfE_EESS_SW_SX_mSY_S11_bEUlT_E_NS1_11comp_targetILNS1_3genE9ELNS1_11target_archE1100ELNS1_3gpuE3ELNS1_3repE0EEENS1_30default_config_static_selectorELNS0_4arch9wavefront6targetE0EEEvSV_
    .private_segment_fixed_size: 0
    .sgpr_count:     0
    .sgpr_spill_count: 0
    .symbol:         _ZN7rocprim17ROCPRIM_400000_NS6detail17trampoline_kernelINS0_14default_configENS1_29binary_search_config_selectorIfiEEZNS1_14transform_implILb0ES3_S5_N6thrust23THRUST_200600_302600_NS6detail15normal_iteratorINS8_7pointerIfNS8_11hip_rocprim3tagENS8_11use_defaultESE_EEEENSA_INSB_IiSD_SE_SE_EEEEZNS1_13binary_searchIS3_S5_NSA_INS8_10device_ptrIfEEEESG_SI_NS1_16binary_search_opENS9_16wrapped_functionINS8_7greaterIfEEbEEEE10hipError_tPvRmT1_T2_T3_mmT4_T5_P12ihipStream_tbEUlRKfE_EESS_SW_SX_mSY_S11_bEUlT_E_NS1_11comp_targetILNS1_3genE9ELNS1_11target_archE1100ELNS1_3gpuE3ELNS1_3repE0EEENS1_30default_config_static_selectorELNS0_4arch9wavefront6targetE0EEEvSV_.kd
    .uniform_work_group_size: 1
    .uses_dynamic_stack: false
    .vgpr_count:     0
    .vgpr_spill_count: 0
    .wavefront_size: 32
  - .args:
      - .offset:         0
        .size:           56
        .value_kind:     by_value
    .group_segment_fixed_size: 0
    .kernarg_segment_align: 8
    .kernarg_segment_size: 56
    .language:       OpenCL C
    .language_version:
      - 2
      - 0
    .max_flat_workgroup_size: 256
    .name:           _ZN7rocprim17ROCPRIM_400000_NS6detail17trampoline_kernelINS0_14default_configENS1_29binary_search_config_selectorIfiEEZNS1_14transform_implILb0ES3_S5_N6thrust23THRUST_200600_302600_NS6detail15normal_iteratorINS8_7pointerIfNS8_11hip_rocprim3tagENS8_11use_defaultESE_EEEENSA_INSB_IiSD_SE_SE_EEEEZNS1_13binary_searchIS3_S5_NSA_INS8_10device_ptrIfEEEESG_SI_NS1_16binary_search_opENS9_16wrapped_functionINS8_7greaterIfEEbEEEE10hipError_tPvRmT1_T2_T3_mmT4_T5_P12ihipStream_tbEUlRKfE_EESS_SW_SX_mSY_S11_bEUlT_E_NS1_11comp_targetILNS1_3genE8ELNS1_11target_archE1030ELNS1_3gpuE2ELNS1_3repE0EEENS1_30default_config_static_selectorELNS0_4arch9wavefront6targetE0EEEvSV_
    .private_segment_fixed_size: 0
    .sgpr_count:     0
    .sgpr_spill_count: 0
    .symbol:         _ZN7rocprim17ROCPRIM_400000_NS6detail17trampoline_kernelINS0_14default_configENS1_29binary_search_config_selectorIfiEEZNS1_14transform_implILb0ES3_S5_N6thrust23THRUST_200600_302600_NS6detail15normal_iteratorINS8_7pointerIfNS8_11hip_rocprim3tagENS8_11use_defaultESE_EEEENSA_INSB_IiSD_SE_SE_EEEEZNS1_13binary_searchIS3_S5_NSA_INS8_10device_ptrIfEEEESG_SI_NS1_16binary_search_opENS9_16wrapped_functionINS8_7greaterIfEEbEEEE10hipError_tPvRmT1_T2_T3_mmT4_T5_P12ihipStream_tbEUlRKfE_EESS_SW_SX_mSY_S11_bEUlT_E_NS1_11comp_targetILNS1_3genE8ELNS1_11target_archE1030ELNS1_3gpuE2ELNS1_3repE0EEENS1_30default_config_static_selectorELNS0_4arch9wavefront6targetE0EEEvSV_.kd
    .uniform_work_group_size: 1
    .uses_dynamic_stack: false
    .vgpr_count:     0
    .vgpr_spill_count: 0
    .wavefront_size: 32
  - .args:
      - .offset:         0
        .size:           56
        .value_kind:     by_value
      - .offset:         56
        .size:           4
        .value_kind:     hidden_block_count_x
      - .offset:         60
        .size:           4
        .value_kind:     hidden_block_count_y
      - .offset:         64
        .size:           4
        .value_kind:     hidden_block_count_z
      - .offset:         68
        .size:           2
        .value_kind:     hidden_group_size_x
      - .offset:         70
        .size:           2
        .value_kind:     hidden_group_size_y
      - .offset:         72
        .size:           2
        .value_kind:     hidden_group_size_z
      - .offset:         74
        .size:           2
        .value_kind:     hidden_remainder_x
      - .offset:         76
        .size:           2
        .value_kind:     hidden_remainder_y
      - .offset:         78
        .size:           2
        .value_kind:     hidden_remainder_z
      - .offset:         96
        .size:           8
        .value_kind:     hidden_global_offset_x
      - .offset:         104
        .size:           8
        .value_kind:     hidden_global_offset_y
      - .offset:         112
        .size:           8
        .value_kind:     hidden_global_offset_z
      - .offset:         120
        .size:           2
        .value_kind:     hidden_grid_dims
    .group_segment_fixed_size: 0
    .kernarg_segment_align: 8
    .kernarg_segment_size: 312
    .language:       OpenCL C
    .language_version:
      - 2
      - 0
    .max_flat_workgroup_size: 256
    .name:           _ZN7rocprim17ROCPRIM_400000_NS6detail17trampoline_kernelINS0_14default_configENS1_29binary_search_config_selectorI14custom_numericiEEZNS1_14transform_implILb0ES3_S6_N6thrust23THRUST_200600_302600_NS6detail15normal_iteratorINS9_7pointerIS5_NS9_11hip_rocprim3tagENS9_11use_defaultESF_EEEENSB_INSC_IiSE_SF_SF_EEEEZNS1_13binary_searchIS3_S6_NSB_INS9_10device_ptrIS5_EEEESH_SJ_NS1_16binary_search_opENSA_16wrapped_functionINS9_7greaterIS5_EEbEEEE10hipError_tPvRmT1_T2_T3_mmT4_T5_P12ihipStream_tbEUlRKS5_E_EEST_SX_SY_mSZ_S12_bEUlT_E_NS1_11comp_targetILNS1_3genE0ELNS1_11target_archE4294967295ELNS1_3gpuE0ELNS1_3repE0EEENS1_30default_config_static_selectorELNS0_4arch9wavefront6targetE0EEEvSW_
    .private_segment_fixed_size: 0
    .sgpr_count:     20
    .sgpr_spill_count: 0
    .symbol:         _ZN7rocprim17ROCPRIM_400000_NS6detail17trampoline_kernelINS0_14default_configENS1_29binary_search_config_selectorI14custom_numericiEEZNS1_14transform_implILb0ES3_S6_N6thrust23THRUST_200600_302600_NS6detail15normal_iteratorINS9_7pointerIS5_NS9_11hip_rocprim3tagENS9_11use_defaultESF_EEEENSB_INSC_IiSE_SF_SF_EEEEZNS1_13binary_searchIS3_S6_NSB_INS9_10device_ptrIS5_EEEESH_SJ_NS1_16binary_search_opENSA_16wrapped_functionINS9_7greaterIS5_EEbEEEE10hipError_tPvRmT1_T2_T3_mmT4_T5_P12ihipStream_tbEUlRKS5_E_EEST_SX_SY_mSZ_S12_bEUlT_E_NS1_11comp_targetILNS1_3genE0ELNS1_11target_archE4294967295ELNS1_3gpuE0ELNS1_3repE0EEENS1_30default_config_static_selectorELNS0_4arch9wavefront6targetE0EEEvSW_.kd
    .uniform_work_group_size: 1
    .uses_dynamic_stack: false
    .vgpr_count:     12
    .vgpr_spill_count: 0
    .wavefront_size: 32
  - .args:
      - .offset:         0
        .size:           56
        .value_kind:     by_value
    .group_segment_fixed_size: 0
    .kernarg_segment_align: 8
    .kernarg_segment_size: 56
    .language:       OpenCL C
    .language_version:
      - 2
      - 0
    .max_flat_workgroup_size: 256
    .name:           _ZN7rocprim17ROCPRIM_400000_NS6detail17trampoline_kernelINS0_14default_configENS1_29binary_search_config_selectorI14custom_numericiEEZNS1_14transform_implILb0ES3_S6_N6thrust23THRUST_200600_302600_NS6detail15normal_iteratorINS9_7pointerIS5_NS9_11hip_rocprim3tagENS9_11use_defaultESF_EEEENSB_INSC_IiSE_SF_SF_EEEEZNS1_13binary_searchIS3_S6_NSB_INS9_10device_ptrIS5_EEEESH_SJ_NS1_16binary_search_opENSA_16wrapped_functionINS9_7greaterIS5_EEbEEEE10hipError_tPvRmT1_T2_T3_mmT4_T5_P12ihipStream_tbEUlRKS5_E_EEST_SX_SY_mSZ_S12_bEUlT_E_NS1_11comp_targetILNS1_3genE5ELNS1_11target_archE942ELNS1_3gpuE9ELNS1_3repE0EEENS1_30default_config_static_selectorELNS0_4arch9wavefront6targetE0EEEvSW_
    .private_segment_fixed_size: 0
    .sgpr_count:     0
    .sgpr_spill_count: 0
    .symbol:         _ZN7rocprim17ROCPRIM_400000_NS6detail17trampoline_kernelINS0_14default_configENS1_29binary_search_config_selectorI14custom_numericiEEZNS1_14transform_implILb0ES3_S6_N6thrust23THRUST_200600_302600_NS6detail15normal_iteratorINS9_7pointerIS5_NS9_11hip_rocprim3tagENS9_11use_defaultESF_EEEENSB_INSC_IiSE_SF_SF_EEEEZNS1_13binary_searchIS3_S6_NSB_INS9_10device_ptrIS5_EEEESH_SJ_NS1_16binary_search_opENSA_16wrapped_functionINS9_7greaterIS5_EEbEEEE10hipError_tPvRmT1_T2_T3_mmT4_T5_P12ihipStream_tbEUlRKS5_E_EEST_SX_SY_mSZ_S12_bEUlT_E_NS1_11comp_targetILNS1_3genE5ELNS1_11target_archE942ELNS1_3gpuE9ELNS1_3repE0EEENS1_30default_config_static_selectorELNS0_4arch9wavefront6targetE0EEEvSW_.kd
    .uniform_work_group_size: 1
    .uses_dynamic_stack: false
    .vgpr_count:     0
    .vgpr_spill_count: 0
    .wavefront_size: 32
  - .args:
      - .offset:         0
        .size:           56
        .value_kind:     by_value
    .group_segment_fixed_size: 0
    .kernarg_segment_align: 8
    .kernarg_segment_size: 56
    .language:       OpenCL C
    .language_version:
      - 2
      - 0
    .max_flat_workgroup_size: 256
    .name:           _ZN7rocprim17ROCPRIM_400000_NS6detail17trampoline_kernelINS0_14default_configENS1_29binary_search_config_selectorI14custom_numericiEEZNS1_14transform_implILb0ES3_S6_N6thrust23THRUST_200600_302600_NS6detail15normal_iteratorINS9_7pointerIS5_NS9_11hip_rocprim3tagENS9_11use_defaultESF_EEEENSB_INSC_IiSE_SF_SF_EEEEZNS1_13binary_searchIS3_S6_NSB_INS9_10device_ptrIS5_EEEESH_SJ_NS1_16binary_search_opENSA_16wrapped_functionINS9_7greaterIS5_EEbEEEE10hipError_tPvRmT1_T2_T3_mmT4_T5_P12ihipStream_tbEUlRKS5_E_EEST_SX_SY_mSZ_S12_bEUlT_E_NS1_11comp_targetILNS1_3genE4ELNS1_11target_archE910ELNS1_3gpuE8ELNS1_3repE0EEENS1_30default_config_static_selectorELNS0_4arch9wavefront6targetE0EEEvSW_
    .private_segment_fixed_size: 0
    .sgpr_count:     0
    .sgpr_spill_count: 0
    .symbol:         _ZN7rocprim17ROCPRIM_400000_NS6detail17trampoline_kernelINS0_14default_configENS1_29binary_search_config_selectorI14custom_numericiEEZNS1_14transform_implILb0ES3_S6_N6thrust23THRUST_200600_302600_NS6detail15normal_iteratorINS9_7pointerIS5_NS9_11hip_rocprim3tagENS9_11use_defaultESF_EEEENSB_INSC_IiSE_SF_SF_EEEEZNS1_13binary_searchIS3_S6_NSB_INS9_10device_ptrIS5_EEEESH_SJ_NS1_16binary_search_opENSA_16wrapped_functionINS9_7greaterIS5_EEbEEEE10hipError_tPvRmT1_T2_T3_mmT4_T5_P12ihipStream_tbEUlRKS5_E_EEST_SX_SY_mSZ_S12_bEUlT_E_NS1_11comp_targetILNS1_3genE4ELNS1_11target_archE910ELNS1_3gpuE8ELNS1_3repE0EEENS1_30default_config_static_selectorELNS0_4arch9wavefront6targetE0EEEvSW_.kd
    .uniform_work_group_size: 1
    .uses_dynamic_stack: false
    .vgpr_count:     0
    .vgpr_spill_count: 0
    .wavefront_size: 32
  - .args:
      - .offset:         0
        .size:           56
        .value_kind:     by_value
    .group_segment_fixed_size: 0
    .kernarg_segment_align: 8
    .kernarg_segment_size: 56
    .language:       OpenCL C
    .language_version:
      - 2
      - 0
    .max_flat_workgroup_size: 256
    .name:           _ZN7rocprim17ROCPRIM_400000_NS6detail17trampoline_kernelINS0_14default_configENS1_29binary_search_config_selectorI14custom_numericiEEZNS1_14transform_implILb0ES3_S6_N6thrust23THRUST_200600_302600_NS6detail15normal_iteratorINS9_7pointerIS5_NS9_11hip_rocprim3tagENS9_11use_defaultESF_EEEENSB_INSC_IiSE_SF_SF_EEEEZNS1_13binary_searchIS3_S6_NSB_INS9_10device_ptrIS5_EEEESH_SJ_NS1_16binary_search_opENSA_16wrapped_functionINS9_7greaterIS5_EEbEEEE10hipError_tPvRmT1_T2_T3_mmT4_T5_P12ihipStream_tbEUlRKS5_E_EEST_SX_SY_mSZ_S12_bEUlT_E_NS1_11comp_targetILNS1_3genE3ELNS1_11target_archE908ELNS1_3gpuE7ELNS1_3repE0EEENS1_30default_config_static_selectorELNS0_4arch9wavefront6targetE0EEEvSW_
    .private_segment_fixed_size: 0
    .sgpr_count:     0
    .sgpr_spill_count: 0
    .symbol:         _ZN7rocprim17ROCPRIM_400000_NS6detail17trampoline_kernelINS0_14default_configENS1_29binary_search_config_selectorI14custom_numericiEEZNS1_14transform_implILb0ES3_S6_N6thrust23THRUST_200600_302600_NS6detail15normal_iteratorINS9_7pointerIS5_NS9_11hip_rocprim3tagENS9_11use_defaultESF_EEEENSB_INSC_IiSE_SF_SF_EEEEZNS1_13binary_searchIS3_S6_NSB_INS9_10device_ptrIS5_EEEESH_SJ_NS1_16binary_search_opENSA_16wrapped_functionINS9_7greaterIS5_EEbEEEE10hipError_tPvRmT1_T2_T3_mmT4_T5_P12ihipStream_tbEUlRKS5_E_EEST_SX_SY_mSZ_S12_bEUlT_E_NS1_11comp_targetILNS1_3genE3ELNS1_11target_archE908ELNS1_3gpuE7ELNS1_3repE0EEENS1_30default_config_static_selectorELNS0_4arch9wavefront6targetE0EEEvSW_.kd
    .uniform_work_group_size: 1
    .uses_dynamic_stack: false
    .vgpr_count:     0
    .vgpr_spill_count: 0
    .wavefront_size: 32
  - .args:
      - .offset:         0
        .size:           56
        .value_kind:     by_value
    .group_segment_fixed_size: 0
    .kernarg_segment_align: 8
    .kernarg_segment_size: 56
    .language:       OpenCL C
    .language_version:
      - 2
      - 0
    .max_flat_workgroup_size: 256
    .name:           _ZN7rocprim17ROCPRIM_400000_NS6detail17trampoline_kernelINS0_14default_configENS1_29binary_search_config_selectorI14custom_numericiEEZNS1_14transform_implILb0ES3_S6_N6thrust23THRUST_200600_302600_NS6detail15normal_iteratorINS9_7pointerIS5_NS9_11hip_rocprim3tagENS9_11use_defaultESF_EEEENSB_INSC_IiSE_SF_SF_EEEEZNS1_13binary_searchIS3_S6_NSB_INS9_10device_ptrIS5_EEEESH_SJ_NS1_16binary_search_opENSA_16wrapped_functionINS9_7greaterIS5_EEbEEEE10hipError_tPvRmT1_T2_T3_mmT4_T5_P12ihipStream_tbEUlRKS5_E_EEST_SX_SY_mSZ_S12_bEUlT_E_NS1_11comp_targetILNS1_3genE2ELNS1_11target_archE906ELNS1_3gpuE6ELNS1_3repE0EEENS1_30default_config_static_selectorELNS0_4arch9wavefront6targetE0EEEvSW_
    .private_segment_fixed_size: 0
    .sgpr_count:     0
    .sgpr_spill_count: 0
    .symbol:         _ZN7rocprim17ROCPRIM_400000_NS6detail17trampoline_kernelINS0_14default_configENS1_29binary_search_config_selectorI14custom_numericiEEZNS1_14transform_implILb0ES3_S6_N6thrust23THRUST_200600_302600_NS6detail15normal_iteratorINS9_7pointerIS5_NS9_11hip_rocprim3tagENS9_11use_defaultESF_EEEENSB_INSC_IiSE_SF_SF_EEEEZNS1_13binary_searchIS3_S6_NSB_INS9_10device_ptrIS5_EEEESH_SJ_NS1_16binary_search_opENSA_16wrapped_functionINS9_7greaterIS5_EEbEEEE10hipError_tPvRmT1_T2_T3_mmT4_T5_P12ihipStream_tbEUlRKS5_E_EEST_SX_SY_mSZ_S12_bEUlT_E_NS1_11comp_targetILNS1_3genE2ELNS1_11target_archE906ELNS1_3gpuE6ELNS1_3repE0EEENS1_30default_config_static_selectorELNS0_4arch9wavefront6targetE0EEEvSW_.kd
    .uniform_work_group_size: 1
    .uses_dynamic_stack: false
    .vgpr_count:     0
    .vgpr_spill_count: 0
    .wavefront_size: 32
  - .args:
      - .offset:         0
        .size:           56
        .value_kind:     by_value
    .group_segment_fixed_size: 0
    .kernarg_segment_align: 8
    .kernarg_segment_size: 56
    .language:       OpenCL C
    .language_version:
      - 2
      - 0
    .max_flat_workgroup_size: 256
    .name:           _ZN7rocprim17ROCPRIM_400000_NS6detail17trampoline_kernelINS0_14default_configENS1_29binary_search_config_selectorI14custom_numericiEEZNS1_14transform_implILb0ES3_S6_N6thrust23THRUST_200600_302600_NS6detail15normal_iteratorINS9_7pointerIS5_NS9_11hip_rocprim3tagENS9_11use_defaultESF_EEEENSB_INSC_IiSE_SF_SF_EEEEZNS1_13binary_searchIS3_S6_NSB_INS9_10device_ptrIS5_EEEESH_SJ_NS1_16binary_search_opENSA_16wrapped_functionINS9_7greaterIS5_EEbEEEE10hipError_tPvRmT1_T2_T3_mmT4_T5_P12ihipStream_tbEUlRKS5_E_EEST_SX_SY_mSZ_S12_bEUlT_E_NS1_11comp_targetILNS1_3genE10ELNS1_11target_archE1201ELNS1_3gpuE5ELNS1_3repE0EEENS1_30default_config_static_selectorELNS0_4arch9wavefront6targetE0EEEvSW_
    .private_segment_fixed_size: 0
    .sgpr_count:     0
    .sgpr_spill_count: 0
    .symbol:         _ZN7rocprim17ROCPRIM_400000_NS6detail17trampoline_kernelINS0_14default_configENS1_29binary_search_config_selectorI14custom_numericiEEZNS1_14transform_implILb0ES3_S6_N6thrust23THRUST_200600_302600_NS6detail15normal_iteratorINS9_7pointerIS5_NS9_11hip_rocprim3tagENS9_11use_defaultESF_EEEENSB_INSC_IiSE_SF_SF_EEEEZNS1_13binary_searchIS3_S6_NSB_INS9_10device_ptrIS5_EEEESH_SJ_NS1_16binary_search_opENSA_16wrapped_functionINS9_7greaterIS5_EEbEEEE10hipError_tPvRmT1_T2_T3_mmT4_T5_P12ihipStream_tbEUlRKS5_E_EEST_SX_SY_mSZ_S12_bEUlT_E_NS1_11comp_targetILNS1_3genE10ELNS1_11target_archE1201ELNS1_3gpuE5ELNS1_3repE0EEENS1_30default_config_static_selectorELNS0_4arch9wavefront6targetE0EEEvSW_.kd
    .uniform_work_group_size: 1
    .uses_dynamic_stack: false
    .vgpr_count:     0
    .vgpr_spill_count: 0
    .wavefront_size: 32
  - .args:
      - .offset:         0
        .size:           56
        .value_kind:     by_value
    .group_segment_fixed_size: 0
    .kernarg_segment_align: 8
    .kernarg_segment_size: 56
    .language:       OpenCL C
    .language_version:
      - 2
      - 0
    .max_flat_workgroup_size: 256
    .name:           _ZN7rocprim17ROCPRIM_400000_NS6detail17trampoline_kernelINS0_14default_configENS1_29binary_search_config_selectorI14custom_numericiEEZNS1_14transform_implILb0ES3_S6_N6thrust23THRUST_200600_302600_NS6detail15normal_iteratorINS9_7pointerIS5_NS9_11hip_rocprim3tagENS9_11use_defaultESF_EEEENSB_INSC_IiSE_SF_SF_EEEEZNS1_13binary_searchIS3_S6_NSB_INS9_10device_ptrIS5_EEEESH_SJ_NS1_16binary_search_opENSA_16wrapped_functionINS9_7greaterIS5_EEbEEEE10hipError_tPvRmT1_T2_T3_mmT4_T5_P12ihipStream_tbEUlRKS5_E_EEST_SX_SY_mSZ_S12_bEUlT_E_NS1_11comp_targetILNS1_3genE10ELNS1_11target_archE1200ELNS1_3gpuE4ELNS1_3repE0EEENS1_30default_config_static_selectorELNS0_4arch9wavefront6targetE0EEEvSW_
    .private_segment_fixed_size: 0
    .sgpr_count:     0
    .sgpr_spill_count: 0
    .symbol:         _ZN7rocprim17ROCPRIM_400000_NS6detail17trampoline_kernelINS0_14default_configENS1_29binary_search_config_selectorI14custom_numericiEEZNS1_14transform_implILb0ES3_S6_N6thrust23THRUST_200600_302600_NS6detail15normal_iteratorINS9_7pointerIS5_NS9_11hip_rocprim3tagENS9_11use_defaultESF_EEEENSB_INSC_IiSE_SF_SF_EEEEZNS1_13binary_searchIS3_S6_NSB_INS9_10device_ptrIS5_EEEESH_SJ_NS1_16binary_search_opENSA_16wrapped_functionINS9_7greaterIS5_EEbEEEE10hipError_tPvRmT1_T2_T3_mmT4_T5_P12ihipStream_tbEUlRKS5_E_EEST_SX_SY_mSZ_S12_bEUlT_E_NS1_11comp_targetILNS1_3genE10ELNS1_11target_archE1200ELNS1_3gpuE4ELNS1_3repE0EEENS1_30default_config_static_selectorELNS0_4arch9wavefront6targetE0EEEvSW_.kd
    .uniform_work_group_size: 1
    .uses_dynamic_stack: false
    .vgpr_count:     0
    .vgpr_spill_count: 0
    .wavefront_size: 32
  - .args:
      - .offset:         0
        .size:           56
        .value_kind:     by_value
    .group_segment_fixed_size: 0
    .kernarg_segment_align: 8
    .kernarg_segment_size: 56
    .language:       OpenCL C
    .language_version:
      - 2
      - 0
    .max_flat_workgroup_size: 256
    .name:           _ZN7rocprim17ROCPRIM_400000_NS6detail17trampoline_kernelINS0_14default_configENS1_29binary_search_config_selectorI14custom_numericiEEZNS1_14transform_implILb0ES3_S6_N6thrust23THRUST_200600_302600_NS6detail15normal_iteratorINS9_7pointerIS5_NS9_11hip_rocprim3tagENS9_11use_defaultESF_EEEENSB_INSC_IiSE_SF_SF_EEEEZNS1_13binary_searchIS3_S6_NSB_INS9_10device_ptrIS5_EEEESH_SJ_NS1_16binary_search_opENSA_16wrapped_functionINS9_7greaterIS5_EEbEEEE10hipError_tPvRmT1_T2_T3_mmT4_T5_P12ihipStream_tbEUlRKS5_E_EEST_SX_SY_mSZ_S12_bEUlT_E_NS1_11comp_targetILNS1_3genE9ELNS1_11target_archE1100ELNS1_3gpuE3ELNS1_3repE0EEENS1_30default_config_static_selectorELNS0_4arch9wavefront6targetE0EEEvSW_
    .private_segment_fixed_size: 0
    .sgpr_count:     0
    .sgpr_spill_count: 0
    .symbol:         _ZN7rocprim17ROCPRIM_400000_NS6detail17trampoline_kernelINS0_14default_configENS1_29binary_search_config_selectorI14custom_numericiEEZNS1_14transform_implILb0ES3_S6_N6thrust23THRUST_200600_302600_NS6detail15normal_iteratorINS9_7pointerIS5_NS9_11hip_rocprim3tagENS9_11use_defaultESF_EEEENSB_INSC_IiSE_SF_SF_EEEEZNS1_13binary_searchIS3_S6_NSB_INS9_10device_ptrIS5_EEEESH_SJ_NS1_16binary_search_opENSA_16wrapped_functionINS9_7greaterIS5_EEbEEEE10hipError_tPvRmT1_T2_T3_mmT4_T5_P12ihipStream_tbEUlRKS5_E_EEST_SX_SY_mSZ_S12_bEUlT_E_NS1_11comp_targetILNS1_3genE9ELNS1_11target_archE1100ELNS1_3gpuE3ELNS1_3repE0EEENS1_30default_config_static_selectorELNS0_4arch9wavefront6targetE0EEEvSW_.kd
    .uniform_work_group_size: 1
    .uses_dynamic_stack: false
    .vgpr_count:     0
    .vgpr_spill_count: 0
    .wavefront_size: 32
  - .args:
      - .offset:         0
        .size:           56
        .value_kind:     by_value
    .group_segment_fixed_size: 0
    .kernarg_segment_align: 8
    .kernarg_segment_size: 56
    .language:       OpenCL C
    .language_version:
      - 2
      - 0
    .max_flat_workgroup_size: 256
    .name:           _ZN7rocprim17ROCPRIM_400000_NS6detail17trampoline_kernelINS0_14default_configENS1_29binary_search_config_selectorI14custom_numericiEEZNS1_14transform_implILb0ES3_S6_N6thrust23THRUST_200600_302600_NS6detail15normal_iteratorINS9_7pointerIS5_NS9_11hip_rocprim3tagENS9_11use_defaultESF_EEEENSB_INSC_IiSE_SF_SF_EEEEZNS1_13binary_searchIS3_S6_NSB_INS9_10device_ptrIS5_EEEESH_SJ_NS1_16binary_search_opENSA_16wrapped_functionINS9_7greaterIS5_EEbEEEE10hipError_tPvRmT1_T2_T3_mmT4_T5_P12ihipStream_tbEUlRKS5_E_EEST_SX_SY_mSZ_S12_bEUlT_E_NS1_11comp_targetILNS1_3genE8ELNS1_11target_archE1030ELNS1_3gpuE2ELNS1_3repE0EEENS1_30default_config_static_selectorELNS0_4arch9wavefront6targetE0EEEvSW_
    .private_segment_fixed_size: 0
    .sgpr_count:     0
    .sgpr_spill_count: 0
    .symbol:         _ZN7rocprim17ROCPRIM_400000_NS6detail17trampoline_kernelINS0_14default_configENS1_29binary_search_config_selectorI14custom_numericiEEZNS1_14transform_implILb0ES3_S6_N6thrust23THRUST_200600_302600_NS6detail15normal_iteratorINS9_7pointerIS5_NS9_11hip_rocprim3tagENS9_11use_defaultESF_EEEENSB_INSC_IiSE_SF_SF_EEEEZNS1_13binary_searchIS3_S6_NSB_INS9_10device_ptrIS5_EEEESH_SJ_NS1_16binary_search_opENSA_16wrapped_functionINS9_7greaterIS5_EEbEEEE10hipError_tPvRmT1_T2_T3_mmT4_T5_P12ihipStream_tbEUlRKS5_E_EEST_SX_SY_mSZ_S12_bEUlT_E_NS1_11comp_targetILNS1_3genE8ELNS1_11target_archE1030ELNS1_3gpuE2ELNS1_3repE0EEENS1_30default_config_static_selectorELNS0_4arch9wavefront6targetE0EEEvSW_.kd
    .uniform_work_group_size: 1
    .uses_dynamic_stack: false
    .vgpr_count:     0
    .vgpr_spill_count: 0
    .wavefront_size: 32
  - .args:
      - .offset:         0
        .size:           56
        .value_kind:     by_value
      - .offset:         56
        .size:           4
        .value_kind:     hidden_block_count_x
      - .offset:         60
        .size:           4
        .value_kind:     hidden_block_count_y
      - .offset:         64
        .size:           4
        .value_kind:     hidden_block_count_z
      - .offset:         68
        .size:           2
        .value_kind:     hidden_group_size_x
      - .offset:         70
        .size:           2
        .value_kind:     hidden_group_size_y
      - .offset:         72
        .size:           2
        .value_kind:     hidden_group_size_z
      - .offset:         74
        .size:           2
        .value_kind:     hidden_remainder_x
      - .offset:         76
        .size:           2
        .value_kind:     hidden_remainder_y
      - .offset:         78
        .size:           2
        .value_kind:     hidden_remainder_z
      - .offset:         96
        .size:           8
        .value_kind:     hidden_global_offset_x
      - .offset:         104
        .size:           8
        .value_kind:     hidden_global_offset_y
      - .offset:         112
        .size:           8
        .value_kind:     hidden_global_offset_z
      - .offset:         120
        .size:           2
        .value_kind:     hidden_grid_dims
    .group_segment_fixed_size: 0
    .kernarg_segment_align: 8
    .kernarg_segment_size: 312
    .language:       OpenCL C
    .language_version:
      - 2
      - 0
    .max_flat_workgroup_size: 256
    .name:           _ZN7rocprim17ROCPRIM_400000_NS6detail17trampoline_kernelINS0_14default_configENS1_29binary_search_config_selectorIiiEEZNS1_14transform_implILb0ES3_S5_N6thrust23THRUST_200600_302600_NS6detail15normal_iteratorINS8_7pointerIiNS8_11hip_rocprim3tagENS8_11use_defaultESE_EEEESG_ZNS1_13binary_searchIS3_S5_NSA_INSB_IiSD_NS8_16tagged_referenceIiSD_EESE_EEEESG_SG_NS1_16binary_search_opENS9_16wrapped_functionINS8_7greaterIiEEbEEEE10hipError_tPvRmT1_T2_T3_mmT4_T5_P12ihipStream_tbEUlRKiE_EESR_SV_SW_mSX_S10_bEUlT_E_NS1_11comp_targetILNS1_3genE0ELNS1_11target_archE4294967295ELNS1_3gpuE0ELNS1_3repE0EEENS1_30default_config_static_selectorELNS0_4arch9wavefront6targetE0EEEvSU_
    .private_segment_fixed_size: 0
    .sgpr_count:     20
    .sgpr_spill_count: 0
    .symbol:         _ZN7rocprim17ROCPRIM_400000_NS6detail17trampoline_kernelINS0_14default_configENS1_29binary_search_config_selectorIiiEEZNS1_14transform_implILb0ES3_S5_N6thrust23THRUST_200600_302600_NS6detail15normal_iteratorINS8_7pointerIiNS8_11hip_rocprim3tagENS8_11use_defaultESE_EEEESG_ZNS1_13binary_searchIS3_S5_NSA_INSB_IiSD_NS8_16tagged_referenceIiSD_EESE_EEEESG_SG_NS1_16binary_search_opENS9_16wrapped_functionINS8_7greaterIiEEbEEEE10hipError_tPvRmT1_T2_T3_mmT4_T5_P12ihipStream_tbEUlRKiE_EESR_SV_SW_mSX_S10_bEUlT_E_NS1_11comp_targetILNS1_3genE0ELNS1_11target_archE4294967295ELNS1_3gpuE0ELNS1_3repE0EEENS1_30default_config_static_selectorELNS0_4arch9wavefront6targetE0EEEvSU_.kd
    .uniform_work_group_size: 1
    .uses_dynamic_stack: false
    .vgpr_count:     12
    .vgpr_spill_count: 0
    .wavefront_size: 32
  - .args:
      - .offset:         0
        .size:           56
        .value_kind:     by_value
    .group_segment_fixed_size: 0
    .kernarg_segment_align: 8
    .kernarg_segment_size: 56
    .language:       OpenCL C
    .language_version:
      - 2
      - 0
    .max_flat_workgroup_size: 256
    .name:           _ZN7rocprim17ROCPRIM_400000_NS6detail17trampoline_kernelINS0_14default_configENS1_29binary_search_config_selectorIiiEEZNS1_14transform_implILb0ES3_S5_N6thrust23THRUST_200600_302600_NS6detail15normal_iteratorINS8_7pointerIiNS8_11hip_rocprim3tagENS8_11use_defaultESE_EEEESG_ZNS1_13binary_searchIS3_S5_NSA_INSB_IiSD_NS8_16tagged_referenceIiSD_EESE_EEEESG_SG_NS1_16binary_search_opENS9_16wrapped_functionINS8_7greaterIiEEbEEEE10hipError_tPvRmT1_T2_T3_mmT4_T5_P12ihipStream_tbEUlRKiE_EESR_SV_SW_mSX_S10_bEUlT_E_NS1_11comp_targetILNS1_3genE5ELNS1_11target_archE942ELNS1_3gpuE9ELNS1_3repE0EEENS1_30default_config_static_selectorELNS0_4arch9wavefront6targetE0EEEvSU_
    .private_segment_fixed_size: 0
    .sgpr_count:     0
    .sgpr_spill_count: 0
    .symbol:         _ZN7rocprim17ROCPRIM_400000_NS6detail17trampoline_kernelINS0_14default_configENS1_29binary_search_config_selectorIiiEEZNS1_14transform_implILb0ES3_S5_N6thrust23THRUST_200600_302600_NS6detail15normal_iteratorINS8_7pointerIiNS8_11hip_rocprim3tagENS8_11use_defaultESE_EEEESG_ZNS1_13binary_searchIS3_S5_NSA_INSB_IiSD_NS8_16tagged_referenceIiSD_EESE_EEEESG_SG_NS1_16binary_search_opENS9_16wrapped_functionINS8_7greaterIiEEbEEEE10hipError_tPvRmT1_T2_T3_mmT4_T5_P12ihipStream_tbEUlRKiE_EESR_SV_SW_mSX_S10_bEUlT_E_NS1_11comp_targetILNS1_3genE5ELNS1_11target_archE942ELNS1_3gpuE9ELNS1_3repE0EEENS1_30default_config_static_selectorELNS0_4arch9wavefront6targetE0EEEvSU_.kd
    .uniform_work_group_size: 1
    .uses_dynamic_stack: false
    .vgpr_count:     0
    .vgpr_spill_count: 0
    .wavefront_size: 32
  - .args:
      - .offset:         0
        .size:           56
        .value_kind:     by_value
    .group_segment_fixed_size: 0
    .kernarg_segment_align: 8
    .kernarg_segment_size: 56
    .language:       OpenCL C
    .language_version:
      - 2
      - 0
    .max_flat_workgroup_size: 256
    .name:           _ZN7rocprim17ROCPRIM_400000_NS6detail17trampoline_kernelINS0_14default_configENS1_29binary_search_config_selectorIiiEEZNS1_14transform_implILb0ES3_S5_N6thrust23THRUST_200600_302600_NS6detail15normal_iteratorINS8_7pointerIiNS8_11hip_rocprim3tagENS8_11use_defaultESE_EEEESG_ZNS1_13binary_searchIS3_S5_NSA_INSB_IiSD_NS8_16tagged_referenceIiSD_EESE_EEEESG_SG_NS1_16binary_search_opENS9_16wrapped_functionINS8_7greaterIiEEbEEEE10hipError_tPvRmT1_T2_T3_mmT4_T5_P12ihipStream_tbEUlRKiE_EESR_SV_SW_mSX_S10_bEUlT_E_NS1_11comp_targetILNS1_3genE4ELNS1_11target_archE910ELNS1_3gpuE8ELNS1_3repE0EEENS1_30default_config_static_selectorELNS0_4arch9wavefront6targetE0EEEvSU_
    .private_segment_fixed_size: 0
    .sgpr_count:     0
    .sgpr_spill_count: 0
    .symbol:         _ZN7rocprim17ROCPRIM_400000_NS6detail17trampoline_kernelINS0_14default_configENS1_29binary_search_config_selectorIiiEEZNS1_14transform_implILb0ES3_S5_N6thrust23THRUST_200600_302600_NS6detail15normal_iteratorINS8_7pointerIiNS8_11hip_rocprim3tagENS8_11use_defaultESE_EEEESG_ZNS1_13binary_searchIS3_S5_NSA_INSB_IiSD_NS8_16tagged_referenceIiSD_EESE_EEEESG_SG_NS1_16binary_search_opENS9_16wrapped_functionINS8_7greaterIiEEbEEEE10hipError_tPvRmT1_T2_T3_mmT4_T5_P12ihipStream_tbEUlRKiE_EESR_SV_SW_mSX_S10_bEUlT_E_NS1_11comp_targetILNS1_3genE4ELNS1_11target_archE910ELNS1_3gpuE8ELNS1_3repE0EEENS1_30default_config_static_selectorELNS0_4arch9wavefront6targetE0EEEvSU_.kd
    .uniform_work_group_size: 1
    .uses_dynamic_stack: false
    .vgpr_count:     0
    .vgpr_spill_count: 0
    .wavefront_size: 32
  - .args:
      - .offset:         0
        .size:           56
        .value_kind:     by_value
    .group_segment_fixed_size: 0
    .kernarg_segment_align: 8
    .kernarg_segment_size: 56
    .language:       OpenCL C
    .language_version:
      - 2
      - 0
    .max_flat_workgroup_size: 256
    .name:           _ZN7rocprim17ROCPRIM_400000_NS6detail17trampoline_kernelINS0_14default_configENS1_29binary_search_config_selectorIiiEEZNS1_14transform_implILb0ES3_S5_N6thrust23THRUST_200600_302600_NS6detail15normal_iteratorINS8_7pointerIiNS8_11hip_rocprim3tagENS8_11use_defaultESE_EEEESG_ZNS1_13binary_searchIS3_S5_NSA_INSB_IiSD_NS8_16tagged_referenceIiSD_EESE_EEEESG_SG_NS1_16binary_search_opENS9_16wrapped_functionINS8_7greaterIiEEbEEEE10hipError_tPvRmT1_T2_T3_mmT4_T5_P12ihipStream_tbEUlRKiE_EESR_SV_SW_mSX_S10_bEUlT_E_NS1_11comp_targetILNS1_3genE3ELNS1_11target_archE908ELNS1_3gpuE7ELNS1_3repE0EEENS1_30default_config_static_selectorELNS0_4arch9wavefront6targetE0EEEvSU_
    .private_segment_fixed_size: 0
    .sgpr_count:     0
    .sgpr_spill_count: 0
    .symbol:         _ZN7rocprim17ROCPRIM_400000_NS6detail17trampoline_kernelINS0_14default_configENS1_29binary_search_config_selectorIiiEEZNS1_14transform_implILb0ES3_S5_N6thrust23THRUST_200600_302600_NS6detail15normal_iteratorINS8_7pointerIiNS8_11hip_rocprim3tagENS8_11use_defaultESE_EEEESG_ZNS1_13binary_searchIS3_S5_NSA_INSB_IiSD_NS8_16tagged_referenceIiSD_EESE_EEEESG_SG_NS1_16binary_search_opENS9_16wrapped_functionINS8_7greaterIiEEbEEEE10hipError_tPvRmT1_T2_T3_mmT4_T5_P12ihipStream_tbEUlRKiE_EESR_SV_SW_mSX_S10_bEUlT_E_NS1_11comp_targetILNS1_3genE3ELNS1_11target_archE908ELNS1_3gpuE7ELNS1_3repE0EEENS1_30default_config_static_selectorELNS0_4arch9wavefront6targetE0EEEvSU_.kd
    .uniform_work_group_size: 1
    .uses_dynamic_stack: false
    .vgpr_count:     0
    .vgpr_spill_count: 0
    .wavefront_size: 32
  - .args:
      - .offset:         0
        .size:           56
        .value_kind:     by_value
    .group_segment_fixed_size: 0
    .kernarg_segment_align: 8
    .kernarg_segment_size: 56
    .language:       OpenCL C
    .language_version:
      - 2
      - 0
    .max_flat_workgroup_size: 256
    .name:           _ZN7rocprim17ROCPRIM_400000_NS6detail17trampoline_kernelINS0_14default_configENS1_29binary_search_config_selectorIiiEEZNS1_14transform_implILb0ES3_S5_N6thrust23THRUST_200600_302600_NS6detail15normal_iteratorINS8_7pointerIiNS8_11hip_rocprim3tagENS8_11use_defaultESE_EEEESG_ZNS1_13binary_searchIS3_S5_NSA_INSB_IiSD_NS8_16tagged_referenceIiSD_EESE_EEEESG_SG_NS1_16binary_search_opENS9_16wrapped_functionINS8_7greaterIiEEbEEEE10hipError_tPvRmT1_T2_T3_mmT4_T5_P12ihipStream_tbEUlRKiE_EESR_SV_SW_mSX_S10_bEUlT_E_NS1_11comp_targetILNS1_3genE2ELNS1_11target_archE906ELNS1_3gpuE6ELNS1_3repE0EEENS1_30default_config_static_selectorELNS0_4arch9wavefront6targetE0EEEvSU_
    .private_segment_fixed_size: 0
    .sgpr_count:     0
    .sgpr_spill_count: 0
    .symbol:         _ZN7rocprim17ROCPRIM_400000_NS6detail17trampoline_kernelINS0_14default_configENS1_29binary_search_config_selectorIiiEEZNS1_14transform_implILb0ES3_S5_N6thrust23THRUST_200600_302600_NS6detail15normal_iteratorINS8_7pointerIiNS8_11hip_rocprim3tagENS8_11use_defaultESE_EEEESG_ZNS1_13binary_searchIS3_S5_NSA_INSB_IiSD_NS8_16tagged_referenceIiSD_EESE_EEEESG_SG_NS1_16binary_search_opENS9_16wrapped_functionINS8_7greaterIiEEbEEEE10hipError_tPvRmT1_T2_T3_mmT4_T5_P12ihipStream_tbEUlRKiE_EESR_SV_SW_mSX_S10_bEUlT_E_NS1_11comp_targetILNS1_3genE2ELNS1_11target_archE906ELNS1_3gpuE6ELNS1_3repE0EEENS1_30default_config_static_selectorELNS0_4arch9wavefront6targetE0EEEvSU_.kd
    .uniform_work_group_size: 1
    .uses_dynamic_stack: false
    .vgpr_count:     0
    .vgpr_spill_count: 0
    .wavefront_size: 32
  - .args:
      - .offset:         0
        .size:           56
        .value_kind:     by_value
    .group_segment_fixed_size: 0
    .kernarg_segment_align: 8
    .kernarg_segment_size: 56
    .language:       OpenCL C
    .language_version:
      - 2
      - 0
    .max_flat_workgroup_size: 128
    .name:           _ZN7rocprim17ROCPRIM_400000_NS6detail17trampoline_kernelINS0_14default_configENS1_29binary_search_config_selectorIiiEEZNS1_14transform_implILb0ES3_S5_N6thrust23THRUST_200600_302600_NS6detail15normal_iteratorINS8_7pointerIiNS8_11hip_rocprim3tagENS8_11use_defaultESE_EEEESG_ZNS1_13binary_searchIS3_S5_NSA_INSB_IiSD_NS8_16tagged_referenceIiSD_EESE_EEEESG_SG_NS1_16binary_search_opENS9_16wrapped_functionINS8_7greaterIiEEbEEEE10hipError_tPvRmT1_T2_T3_mmT4_T5_P12ihipStream_tbEUlRKiE_EESR_SV_SW_mSX_S10_bEUlT_E_NS1_11comp_targetILNS1_3genE10ELNS1_11target_archE1201ELNS1_3gpuE5ELNS1_3repE0EEENS1_30default_config_static_selectorELNS0_4arch9wavefront6targetE0EEEvSU_
    .private_segment_fixed_size: 0
    .sgpr_count:     0
    .sgpr_spill_count: 0
    .symbol:         _ZN7rocprim17ROCPRIM_400000_NS6detail17trampoline_kernelINS0_14default_configENS1_29binary_search_config_selectorIiiEEZNS1_14transform_implILb0ES3_S5_N6thrust23THRUST_200600_302600_NS6detail15normal_iteratorINS8_7pointerIiNS8_11hip_rocprim3tagENS8_11use_defaultESE_EEEESG_ZNS1_13binary_searchIS3_S5_NSA_INSB_IiSD_NS8_16tagged_referenceIiSD_EESE_EEEESG_SG_NS1_16binary_search_opENS9_16wrapped_functionINS8_7greaterIiEEbEEEE10hipError_tPvRmT1_T2_T3_mmT4_T5_P12ihipStream_tbEUlRKiE_EESR_SV_SW_mSX_S10_bEUlT_E_NS1_11comp_targetILNS1_3genE10ELNS1_11target_archE1201ELNS1_3gpuE5ELNS1_3repE0EEENS1_30default_config_static_selectorELNS0_4arch9wavefront6targetE0EEEvSU_.kd
    .uniform_work_group_size: 1
    .uses_dynamic_stack: false
    .vgpr_count:     0
    .vgpr_spill_count: 0
    .wavefront_size: 32
  - .args:
      - .offset:         0
        .size:           56
        .value_kind:     by_value
    .group_segment_fixed_size: 0
    .kernarg_segment_align: 8
    .kernarg_segment_size: 56
    .language:       OpenCL C
    .language_version:
      - 2
      - 0
    .max_flat_workgroup_size: 128
    .name:           _ZN7rocprim17ROCPRIM_400000_NS6detail17trampoline_kernelINS0_14default_configENS1_29binary_search_config_selectorIiiEEZNS1_14transform_implILb0ES3_S5_N6thrust23THRUST_200600_302600_NS6detail15normal_iteratorINS8_7pointerIiNS8_11hip_rocprim3tagENS8_11use_defaultESE_EEEESG_ZNS1_13binary_searchIS3_S5_NSA_INSB_IiSD_NS8_16tagged_referenceIiSD_EESE_EEEESG_SG_NS1_16binary_search_opENS9_16wrapped_functionINS8_7greaterIiEEbEEEE10hipError_tPvRmT1_T2_T3_mmT4_T5_P12ihipStream_tbEUlRKiE_EESR_SV_SW_mSX_S10_bEUlT_E_NS1_11comp_targetILNS1_3genE10ELNS1_11target_archE1200ELNS1_3gpuE4ELNS1_3repE0EEENS1_30default_config_static_selectorELNS0_4arch9wavefront6targetE0EEEvSU_
    .private_segment_fixed_size: 0
    .sgpr_count:     0
    .sgpr_spill_count: 0
    .symbol:         _ZN7rocprim17ROCPRIM_400000_NS6detail17trampoline_kernelINS0_14default_configENS1_29binary_search_config_selectorIiiEEZNS1_14transform_implILb0ES3_S5_N6thrust23THRUST_200600_302600_NS6detail15normal_iteratorINS8_7pointerIiNS8_11hip_rocprim3tagENS8_11use_defaultESE_EEEESG_ZNS1_13binary_searchIS3_S5_NSA_INSB_IiSD_NS8_16tagged_referenceIiSD_EESE_EEEESG_SG_NS1_16binary_search_opENS9_16wrapped_functionINS8_7greaterIiEEbEEEE10hipError_tPvRmT1_T2_T3_mmT4_T5_P12ihipStream_tbEUlRKiE_EESR_SV_SW_mSX_S10_bEUlT_E_NS1_11comp_targetILNS1_3genE10ELNS1_11target_archE1200ELNS1_3gpuE4ELNS1_3repE0EEENS1_30default_config_static_selectorELNS0_4arch9wavefront6targetE0EEEvSU_.kd
    .uniform_work_group_size: 1
    .uses_dynamic_stack: false
    .vgpr_count:     0
    .vgpr_spill_count: 0
    .wavefront_size: 32
  - .args:
      - .offset:         0
        .size:           56
        .value_kind:     by_value
    .group_segment_fixed_size: 0
    .kernarg_segment_align: 8
    .kernarg_segment_size: 56
    .language:       OpenCL C
    .language_version:
      - 2
      - 0
    .max_flat_workgroup_size: 256
    .name:           _ZN7rocprim17ROCPRIM_400000_NS6detail17trampoline_kernelINS0_14default_configENS1_29binary_search_config_selectorIiiEEZNS1_14transform_implILb0ES3_S5_N6thrust23THRUST_200600_302600_NS6detail15normal_iteratorINS8_7pointerIiNS8_11hip_rocprim3tagENS8_11use_defaultESE_EEEESG_ZNS1_13binary_searchIS3_S5_NSA_INSB_IiSD_NS8_16tagged_referenceIiSD_EESE_EEEESG_SG_NS1_16binary_search_opENS9_16wrapped_functionINS8_7greaterIiEEbEEEE10hipError_tPvRmT1_T2_T3_mmT4_T5_P12ihipStream_tbEUlRKiE_EESR_SV_SW_mSX_S10_bEUlT_E_NS1_11comp_targetILNS1_3genE9ELNS1_11target_archE1100ELNS1_3gpuE3ELNS1_3repE0EEENS1_30default_config_static_selectorELNS0_4arch9wavefront6targetE0EEEvSU_
    .private_segment_fixed_size: 0
    .sgpr_count:     0
    .sgpr_spill_count: 0
    .symbol:         _ZN7rocprim17ROCPRIM_400000_NS6detail17trampoline_kernelINS0_14default_configENS1_29binary_search_config_selectorIiiEEZNS1_14transform_implILb0ES3_S5_N6thrust23THRUST_200600_302600_NS6detail15normal_iteratorINS8_7pointerIiNS8_11hip_rocprim3tagENS8_11use_defaultESE_EEEESG_ZNS1_13binary_searchIS3_S5_NSA_INSB_IiSD_NS8_16tagged_referenceIiSD_EESE_EEEESG_SG_NS1_16binary_search_opENS9_16wrapped_functionINS8_7greaterIiEEbEEEE10hipError_tPvRmT1_T2_T3_mmT4_T5_P12ihipStream_tbEUlRKiE_EESR_SV_SW_mSX_S10_bEUlT_E_NS1_11comp_targetILNS1_3genE9ELNS1_11target_archE1100ELNS1_3gpuE3ELNS1_3repE0EEENS1_30default_config_static_selectorELNS0_4arch9wavefront6targetE0EEEvSU_.kd
    .uniform_work_group_size: 1
    .uses_dynamic_stack: false
    .vgpr_count:     0
    .vgpr_spill_count: 0
    .wavefront_size: 32
  - .args:
      - .offset:         0
        .size:           56
        .value_kind:     by_value
    .group_segment_fixed_size: 0
    .kernarg_segment_align: 8
    .kernarg_segment_size: 56
    .language:       OpenCL C
    .language_version:
      - 2
      - 0
    .max_flat_workgroup_size: 256
    .name:           _ZN7rocprim17ROCPRIM_400000_NS6detail17trampoline_kernelINS0_14default_configENS1_29binary_search_config_selectorIiiEEZNS1_14transform_implILb0ES3_S5_N6thrust23THRUST_200600_302600_NS6detail15normal_iteratorINS8_7pointerIiNS8_11hip_rocprim3tagENS8_11use_defaultESE_EEEESG_ZNS1_13binary_searchIS3_S5_NSA_INSB_IiSD_NS8_16tagged_referenceIiSD_EESE_EEEESG_SG_NS1_16binary_search_opENS9_16wrapped_functionINS8_7greaterIiEEbEEEE10hipError_tPvRmT1_T2_T3_mmT4_T5_P12ihipStream_tbEUlRKiE_EESR_SV_SW_mSX_S10_bEUlT_E_NS1_11comp_targetILNS1_3genE8ELNS1_11target_archE1030ELNS1_3gpuE2ELNS1_3repE0EEENS1_30default_config_static_selectorELNS0_4arch9wavefront6targetE0EEEvSU_
    .private_segment_fixed_size: 0
    .sgpr_count:     0
    .sgpr_spill_count: 0
    .symbol:         _ZN7rocprim17ROCPRIM_400000_NS6detail17trampoline_kernelINS0_14default_configENS1_29binary_search_config_selectorIiiEEZNS1_14transform_implILb0ES3_S5_N6thrust23THRUST_200600_302600_NS6detail15normal_iteratorINS8_7pointerIiNS8_11hip_rocprim3tagENS8_11use_defaultESE_EEEESG_ZNS1_13binary_searchIS3_S5_NSA_INSB_IiSD_NS8_16tagged_referenceIiSD_EESE_EEEESG_SG_NS1_16binary_search_opENS9_16wrapped_functionINS8_7greaterIiEEbEEEE10hipError_tPvRmT1_T2_T3_mmT4_T5_P12ihipStream_tbEUlRKiE_EESR_SV_SW_mSX_S10_bEUlT_E_NS1_11comp_targetILNS1_3genE8ELNS1_11target_archE1030ELNS1_3gpuE2ELNS1_3repE0EEENS1_30default_config_static_selectorELNS0_4arch9wavefront6targetE0EEEvSU_.kd
    .uniform_work_group_size: 1
    .uses_dynamic_stack: false
    .vgpr_count:     0
    .vgpr_spill_count: 0
    .wavefront_size: 32
  - .args:
      - .offset:         0
        .size:           56
        .value_kind:     by_value
      - .offset:         56
        .size:           4
        .value_kind:     hidden_block_count_x
      - .offset:         60
        .size:           4
        .value_kind:     hidden_block_count_y
      - .offset:         64
        .size:           4
        .value_kind:     hidden_block_count_z
      - .offset:         68
        .size:           2
        .value_kind:     hidden_group_size_x
      - .offset:         70
        .size:           2
        .value_kind:     hidden_group_size_y
      - .offset:         72
        .size:           2
        .value_kind:     hidden_group_size_z
      - .offset:         74
        .size:           2
        .value_kind:     hidden_remainder_x
      - .offset:         76
        .size:           2
        .value_kind:     hidden_remainder_y
      - .offset:         78
        .size:           2
        .value_kind:     hidden_remainder_z
      - .offset:         96
        .size:           8
        .value_kind:     hidden_global_offset_x
      - .offset:         104
        .size:           8
        .value_kind:     hidden_global_offset_y
      - .offset:         112
        .size:           8
        .value_kind:     hidden_global_offset_z
      - .offset:         120
        .size:           2
        .value_kind:     hidden_grid_dims
    .group_segment_fixed_size: 0
    .kernarg_segment_align: 8
    .kernarg_segment_size: 312
    .language:       OpenCL C
    .language_version:
      - 2
      - 0
    .max_flat_workgroup_size: 256
    .name:           _ZN7rocprim17ROCPRIM_400000_NS6detail17trampoline_kernelINS0_14default_configENS1_29binary_search_config_selectorIiiEEZNS1_14transform_implILb0ES3_S5_N6thrust23THRUST_200600_302600_NS6detail15normal_iteratorINS8_7pointerIiNS8_11hip_rocprim3tagENS8_11use_defaultESE_EEEESG_ZNS1_13binary_searchIS3_S5_NSA_INSB_IiSD_RiSE_EEEESG_SG_NS1_16binary_search_opENS9_16wrapped_functionINS8_7greaterIiEEbEEEE10hipError_tPvRmT1_T2_T3_mmT4_T5_P12ihipStream_tbEUlRKiE_EESQ_SU_SV_mSW_SZ_bEUlT_E_NS1_11comp_targetILNS1_3genE0ELNS1_11target_archE4294967295ELNS1_3gpuE0ELNS1_3repE0EEENS1_30default_config_static_selectorELNS0_4arch9wavefront6targetE0EEEvST_
    .private_segment_fixed_size: 0
    .sgpr_count:     20
    .sgpr_spill_count: 0
    .symbol:         _ZN7rocprim17ROCPRIM_400000_NS6detail17trampoline_kernelINS0_14default_configENS1_29binary_search_config_selectorIiiEEZNS1_14transform_implILb0ES3_S5_N6thrust23THRUST_200600_302600_NS6detail15normal_iteratorINS8_7pointerIiNS8_11hip_rocprim3tagENS8_11use_defaultESE_EEEESG_ZNS1_13binary_searchIS3_S5_NSA_INSB_IiSD_RiSE_EEEESG_SG_NS1_16binary_search_opENS9_16wrapped_functionINS8_7greaterIiEEbEEEE10hipError_tPvRmT1_T2_T3_mmT4_T5_P12ihipStream_tbEUlRKiE_EESQ_SU_SV_mSW_SZ_bEUlT_E_NS1_11comp_targetILNS1_3genE0ELNS1_11target_archE4294967295ELNS1_3gpuE0ELNS1_3repE0EEENS1_30default_config_static_selectorELNS0_4arch9wavefront6targetE0EEEvST_.kd
    .uniform_work_group_size: 1
    .uses_dynamic_stack: false
    .vgpr_count:     12
    .vgpr_spill_count: 0
    .wavefront_size: 32
  - .args:
      - .offset:         0
        .size:           56
        .value_kind:     by_value
    .group_segment_fixed_size: 0
    .kernarg_segment_align: 8
    .kernarg_segment_size: 56
    .language:       OpenCL C
    .language_version:
      - 2
      - 0
    .max_flat_workgroup_size: 256
    .name:           _ZN7rocprim17ROCPRIM_400000_NS6detail17trampoline_kernelINS0_14default_configENS1_29binary_search_config_selectorIiiEEZNS1_14transform_implILb0ES3_S5_N6thrust23THRUST_200600_302600_NS6detail15normal_iteratorINS8_7pointerIiNS8_11hip_rocprim3tagENS8_11use_defaultESE_EEEESG_ZNS1_13binary_searchIS3_S5_NSA_INSB_IiSD_RiSE_EEEESG_SG_NS1_16binary_search_opENS9_16wrapped_functionINS8_7greaterIiEEbEEEE10hipError_tPvRmT1_T2_T3_mmT4_T5_P12ihipStream_tbEUlRKiE_EESQ_SU_SV_mSW_SZ_bEUlT_E_NS1_11comp_targetILNS1_3genE5ELNS1_11target_archE942ELNS1_3gpuE9ELNS1_3repE0EEENS1_30default_config_static_selectorELNS0_4arch9wavefront6targetE0EEEvST_
    .private_segment_fixed_size: 0
    .sgpr_count:     0
    .sgpr_spill_count: 0
    .symbol:         _ZN7rocprim17ROCPRIM_400000_NS6detail17trampoline_kernelINS0_14default_configENS1_29binary_search_config_selectorIiiEEZNS1_14transform_implILb0ES3_S5_N6thrust23THRUST_200600_302600_NS6detail15normal_iteratorINS8_7pointerIiNS8_11hip_rocprim3tagENS8_11use_defaultESE_EEEESG_ZNS1_13binary_searchIS3_S5_NSA_INSB_IiSD_RiSE_EEEESG_SG_NS1_16binary_search_opENS9_16wrapped_functionINS8_7greaterIiEEbEEEE10hipError_tPvRmT1_T2_T3_mmT4_T5_P12ihipStream_tbEUlRKiE_EESQ_SU_SV_mSW_SZ_bEUlT_E_NS1_11comp_targetILNS1_3genE5ELNS1_11target_archE942ELNS1_3gpuE9ELNS1_3repE0EEENS1_30default_config_static_selectorELNS0_4arch9wavefront6targetE0EEEvST_.kd
    .uniform_work_group_size: 1
    .uses_dynamic_stack: false
    .vgpr_count:     0
    .vgpr_spill_count: 0
    .wavefront_size: 32
  - .args:
      - .offset:         0
        .size:           56
        .value_kind:     by_value
    .group_segment_fixed_size: 0
    .kernarg_segment_align: 8
    .kernarg_segment_size: 56
    .language:       OpenCL C
    .language_version:
      - 2
      - 0
    .max_flat_workgroup_size: 256
    .name:           _ZN7rocprim17ROCPRIM_400000_NS6detail17trampoline_kernelINS0_14default_configENS1_29binary_search_config_selectorIiiEEZNS1_14transform_implILb0ES3_S5_N6thrust23THRUST_200600_302600_NS6detail15normal_iteratorINS8_7pointerIiNS8_11hip_rocprim3tagENS8_11use_defaultESE_EEEESG_ZNS1_13binary_searchIS3_S5_NSA_INSB_IiSD_RiSE_EEEESG_SG_NS1_16binary_search_opENS9_16wrapped_functionINS8_7greaterIiEEbEEEE10hipError_tPvRmT1_T2_T3_mmT4_T5_P12ihipStream_tbEUlRKiE_EESQ_SU_SV_mSW_SZ_bEUlT_E_NS1_11comp_targetILNS1_3genE4ELNS1_11target_archE910ELNS1_3gpuE8ELNS1_3repE0EEENS1_30default_config_static_selectorELNS0_4arch9wavefront6targetE0EEEvST_
    .private_segment_fixed_size: 0
    .sgpr_count:     0
    .sgpr_spill_count: 0
    .symbol:         _ZN7rocprim17ROCPRIM_400000_NS6detail17trampoline_kernelINS0_14default_configENS1_29binary_search_config_selectorIiiEEZNS1_14transform_implILb0ES3_S5_N6thrust23THRUST_200600_302600_NS6detail15normal_iteratorINS8_7pointerIiNS8_11hip_rocprim3tagENS8_11use_defaultESE_EEEESG_ZNS1_13binary_searchIS3_S5_NSA_INSB_IiSD_RiSE_EEEESG_SG_NS1_16binary_search_opENS9_16wrapped_functionINS8_7greaterIiEEbEEEE10hipError_tPvRmT1_T2_T3_mmT4_T5_P12ihipStream_tbEUlRKiE_EESQ_SU_SV_mSW_SZ_bEUlT_E_NS1_11comp_targetILNS1_3genE4ELNS1_11target_archE910ELNS1_3gpuE8ELNS1_3repE0EEENS1_30default_config_static_selectorELNS0_4arch9wavefront6targetE0EEEvST_.kd
    .uniform_work_group_size: 1
    .uses_dynamic_stack: false
    .vgpr_count:     0
    .vgpr_spill_count: 0
    .wavefront_size: 32
  - .args:
      - .offset:         0
        .size:           56
        .value_kind:     by_value
    .group_segment_fixed_size: 0
    .kernarg_segment_align: 8
    .kernarg_segment_size: 56
    .language:       OpenCL C
    .language_version:
      - 2
      - 0
    .max_flat_workgroup_size: 256
    .name:           _ZN7rocprim17ROCPRIM_400000_NS6detail17trampoline_kernelINS0_14default_configENS1_29binary_search_config_selectorIiiEEZNS1_14transform_implILb0ES3_S5_N6thrust23THRUST_200600_302600_NS6detail15normal_iteratorINS8_7pointerIiNS8_11hip_rocprim3tagENS8_11use_defaultESE_EEEESG_ZNS1_13binary_searchIS3_S5_NSA_INSB_IiSD_RiSE_EEEESG_SG_NS1_16binary_search_opENS9_16wrapped_functionINS8_7greaterIiEEbEEEE10hipError_tPvRmT1_T2_T3_mmT4_T5_P12ihipStream_tbEUlRKiE_EESQ_SU_SV_mSW_SZ_bEUlT_E_NS1_11comp_targetILNS1_3genE3ELNS1_11target_archE908ELNS1_3gpuE7ELNS1_3repE0EEENS1_30default_config_static_selectorELNS0_4arch9wavefront6targetE0EEEvST_
    .private_segment_fixed_size: 0
    .sgpr_count:     0
    .sgpr_spill_count: 0
    .symbol:         _ZN7rocprim17ROCPRIM_400000_NS6detail17trampoline_kernelINS0_14default_configENS1_29binary_search_config_selectorIiiEEZNS1_14transform_implILb0ES3_S5_N6thrust23THRUST_200600_302600_NS6detail15normal_iteratorINS8_7pointerIiNS8_11hip_rocprim3tagENS8_11use_defaultESE_EEEESG_ZNS1_13binary_searchIS3_S5_NSA_INSB_IiSD_RiSE_EEEESG_SG_NS1_16binary_search_opENS9_16wrapped_functionINS8_7greaterIiEEbEEEE10hipError_tPvRmT1_T2_T3_mmT4_T5_P12ihipStream_tbEUlRKiE_EESQ_SU_SV_mSW_SZ_bEUlT_E_NS1_11comp_targetILNS1_3genE3ELNS1_11target_archE908ELNS1_3gpuE7ELNS1_3repE0EEENS1_30default_config_static_selectorELNS0_4arch9wavefront6targetE0EEEvST_.kd
    .uniform_work_group_size: 1
    .uses_dynamic_stack: false
    .vgpr_count:     0
    .vgpr_spill_count: 0
    .wavefront_size: 32
  - .args:
      - .offset:         0
        .size:           56
        .value_kind:     by_value
    .group_segment_fixed_size: 0
    .kernarg_segment_align: 8
    .kernarg_segment_size: 56
    .language:       OpenCL C
    .language_version:
      - 2
      - 0
    .max_flat_workgroup_size: 256
    .name:           _ZN7rocprim17ROCPRIM_400000_NS6detail17trampoline_kernelINS0_14default_configENS1_29binary_search_config_selectorIiiEEZNS1_14transform_implILb0ES3_S5_N6thrust23THRUST_200600_302600_NS6detail15normal_iteratorINS8_7pointerIiNS8_11hip_rocprim3tagENS8_11use_defaultESE_EEEESG_ZNS1_13binary_searchIS3_S5_NSA_INSB_IiSD_RiSE_EEEESG_SG_NS1_16binary_search_opENS9_16wrapped_functionINS8_7greaterIiEEbEEEE10hipError_tPvRmT1_T2_T3_mmT4_T5_P12ihipStream_tbEUlRKiE_EESQ_SU_SV_mSW_SZ_bEUlT_E_NS1_11comp_targetILNS1_3genE2ELNS1_11target_archE906ELNS1_3gpuE6ELNS1_3repE0EEENS1_30default_config_static_selectorELNS0_4arch9wavefront6targetE0EEEvST_
    .private_segment_fixed_size: 0
    .sgpr_count:     0
    .sgpr_spill_count: 0
    .symbol:         _ZN7rocprim17ROCPRIM_400000_NS6detail17trampoline_kernelINS0_14default_configENS1_29binary_search_config_selectorIiiEEZNS1_14transform_implILb0ES3_S5_N6thrust23THRUST_200600_302600_NS6detail15normal_iteratorINS8_7pointerIiNS8_11hip_rocprim3tagENS8_11use_defaultESE_EEEESG_ZNS1_13binary_searchIS3_S5_NSA_INSB_IiSD_RiSE_EEEESG_SG_NS1_16binary_search_opENS9_16wrapped_functionINS8_7greaterIiEEbEEEE10hipError_tPvRmT1_T2_T3_mmT4_T5_P12ihipStream_tbEUlRKiE_EESQ_SU_SV_mSW_SZ_bEUlT_E_NS1_11comp_targetILNS1_3genE2ELNS1_11target_archE906ELNS1_3gpuE6ELNS1_3repE0EEENS1_30default_config_static_selectorELNS0_4arch9wavefront6targetE0EEEvST_.kd
    .uniform_work_group_size: 1
    .uses_dynamic_stack: false
    .vgpr_count:     0
    .vgpr_spill_count: 0
    .wavefront_size: 32
  - .args:
      - .offset:         0
        .size:           56
        .value_kind:     by_value
    .group_segment_fixed_size: 0
    .kernarg_segment_align: 8
    .kernarg_segment_size: 56
    .language:       OpenCL C
    .language_version:
      - 2
      - 0
    .max_flat_workgroup_size: 128
    .name:           _ZN7rocprim17ROCPRIM_400000_NS6detail17trampoline_kernelINS0_14default_configENS1_29binary_search_config_selectorIiiEEZNS1_14transform_implILb0ES3_S5_N6thrust23THRUST_200600_302600_NS6detail15normal_iteratorINS8_7pointerIiNS8_11hip_rocprim3tagENS8_11use_defaultESE_EEEESG_ZNS1_13binary_searchIS3_S5_NSA_INSB_IiSD_RiSE_EEEESG_SG_NS1_16binary_search_opENS9_16wrapped_functionINS8_7greaterIiEEbEEEE10hipError_tPvRmT1_T2_T3_mmT4_T5_P12ihipStream_tbEUlRKiE_EESQ_SU_SV_mSW_SZ_bEUlT_E_NS1_11comp_targetILNS1_3genE10ELNS1_11target_archE1201ELNS1_3gpuE5ELNS1_3repE0EEENS1_30default_config_static_selectorELNS0_4arch9wavefront6targetE0EEEvST_
    .private_segment_fixed_size: 0
    .sgpr_count:     0
    .sgpr_spill_count: 0
    .symbol:         _ZN7rocprim17ROCPRIM_400000_NS6detail17trampoline_kernelINS0_14default_configENS1_29binary_search_config_selectorIiiEEZNS1_14transform_implILb0ES3_S5_N6thrust23THRUST_200600_302600_NS6detail15normal_iteratorINS8_7pointerIiNS8_11hip_rocprim3tagENS8_11use_defaultESE_EEEESG_ZNS1_13binary_searchIS3_S5_NSA_INSB_IiSD_RiSE_EEEESG_SG_NS1_16binary_search_opENS9_16wrapped_functionINS8_7greaterIiEEbEEEE10hipError_tPvRmT1_T2_T3_mmT4_T5_P12ihipStream_tbEUlRKiE_EESQ_SU_SV_mSW_SZ_bEUlT_E_NS1_11comp_targetILNS1_3genE10ELNS1_11target_archE1201ELNS1_3gpuE5ELNS1_3repE0EEENS1_30default_config_static_selectorELNS0_4arch9wavefront6targetE0EEEvST_.kd
    .uniform_work_group_size: 1
    .uses_dynamic_stack: false
    .vgpr_count:     0
    .vgpr_spill_count: 0
    .wavefront_size: 32
  - .args:
      - .offset:         0
        .size:           56
        .value_kind:     by_value
    .group_segment_fixed_size: 0
    .kernarg_segment_align: 8
    .kernarg_segment_size: 56
    .language:       OpenCL C
    .language_version:
      - 2
      - 0
    .max_flat_workgroup_size: 128
    .name:           _ZN7rocprim17ROCPRIM_400000_NS6detail17trampoline_kernelINS0_14default_configENS1_29binary_search_config_selectorIiiEEZNS1_14transform_implILb0ES3_S5_N6thrust23THRUST_200600_302600_NS6detail15normal_iteratorINS8_7pointerIiNS8_11hip_rocprim3tagENS8_11use_defaultESE_EEEESG_ZNS1_13binary_searchIS3_S5_NSA_INSB_IiSD_RiSE_EEEESG_SG_NS1_16binary_search_opENS9_16wrapped_functionINS8_7greaterIiEEbEEEE10hipError_tPvRmT1_T2_T3_mmT4_T5_P12ihipStream_tbEUlRKiE_EESQ_SU_SV_mSW_SZ_bEUlT_E_NS1_11comp_targetILNS1_3genE10ELNS1_11target_archE1200ELNS1_3gpuE4ELNS1_3repE0EEENS1_30default_config_static_selectorELNS0_4arch9wavefront6targetE0EEEvST_
    .private_segment_fixed_size: 0
    .sgpr_count:     0
    .sgpr_spill_count: 0
    .symbol:         _ZN7rocprim17ROCPRIM_400000_NS6detail17trampoline_kernelINS0_14default_configENS1_29binary_search_config_selectorIiiEEZNS1_14transform_implILb0ES3_S5_N6thrust23THRUST_200600_302600_NS6detail15normal_iteratorINS8_7pointerIiNS8_11hip_rocprim3tagENS8_11use_defaultESE_EEEESG_ZNS1_13binary_searchIS3_S5_NSA_INSB_IiSD_RiSE_EEEESG_SG_NS1_16binary_search_opENS9_16wrapped_functionINS8_7greaterIiEEbEEEE10hipError_tPvRmT1_T2_T3_mmT4_T5_P12ihipStream_tbEUlRKiE_EESQ_SU_SV_mSW_SZ_bEUlT_E_NS1_11comp_targetILNS1_3genE10ELNS1_11target_archE1200ELNS1_3gpuE4ELNS1_3repE0EEENS1_30default_config_static_selectorELNS0_4arch9wavefront6targetE0EEEvST_.kd
    .uniform_work_group_size: 1
    .uses_dynamic_stack: false
    .vgpr_count:     0
    .vgpr_spill_count: 0
    .wavefront_size: 32
  - .args:
      - .offset:         0
        .size:           56
        .value_kind:     by_value
    .group_segment_fixed_size: 0
    .kernarg_segment_align: 8
    .kernarg_segment_size: 56
    .language:       OpenCL C
    .language_version:
      - 2
      - 0
    .max_flat_workgroup_size: 256
    .name:           _ZN7rocprim17ROCPRIM_400000_NS6detail17trampoline_kernelINS0_14default_configENS1_29binary_search_config_selectorIiiEEZNS1_14transform_implILb0ES3_S5_N6thrust23THRUST_200600_302600_NS6detail15normal_iteratorINS8_7pointerIiNS8_11hip_rocprim3tagENS8_11use_defaultESE_EEEESG_ZNS1_13binary_searchIS3_S5_NSA_INSB_IiSD_RiSE_EEEESG_SG_NS1_16binary_search_opENS9_16wrapped_functionINS8_7greaterIiEEbEEEE10hipError_tPvRmT1_T2_T3_mmT4_T5_P12ihipStream_tbEUlRKiE_EESQ_SU_SV_mSW_SZ_bEUlT_E_NS1_11comp_targetILNS1_3genE9ELNS1_11target_archE1100ELNS1_3gpuE3ELNS1_3repE0EEENS1_30default_config_static_selectorELNS0_4arch9wavefront6targetE0EEEvST_
    .private_segment_fixed_size: 0
    .sgpr_count:     0
    .sgpr_spill_count: 0
    .symbol:         _ZN7rocprim17ROCPRIM_400000_NS6detail17trampoline_kernelINS0_14default_configENS1_29binary_search_config_selectorIiiEEZNS1_14transform_implILb0ES3_S5_N6thrust23THRUST_200600_302600_NS6detail15normal_iteratorINS8_7pointerIiNS8_11hip_rocprim3tagENS8_11use_defaultESE_EEEESG_ZNS1_13binary_searchIS3_S5_NSA_INSB_IiSD_RiSE_EEEESG_SG_NS1_16binary_search_opENS9_16wrapped_functionINS8_7greaterIiEEbEEEE10hipError_tPvRmT1_T2_T3_mmT4_T5_P12ihipStream_tbEUlRKiE_EESQ_SU_SV_mSW_SZ_bEUlT_E_NS1_11comp_targetILNS1_3genE9ELNS1_11target_archE1100ELNS1_3gpuE3ELNS1_3repE0EEENS1_30default_config_static_selectorELNS0_4arch9wavefront6targetE0EEEvST_.kd
    .uniform_work_group_size: 1
    .uses_dynamic_stack: false
    .vgpr_count:     0
    .vgpr_spill_count: 0
    .wavefront_size: 32
  - .args:
      - .offset:         0
        .size:           56
        .value_kind:     by_value
    .group_segment_fixed_size: 0
    .kernarg_segment_align: 8
    .kernarg_segment_size: 56
    .language:       OpenCL C
    .language_version:
      - 2
      - 0
    .max_flat_workgroup_size: 256
    .name:           _ZN7rocprim17ROCPRIM_400000_NS6detail17trampoline_kernelINS0_14default_configENS1_29binary_search_config_selectorIiiEEZNS1_14transform_implILb0ES3_S5_N6thrust23THRUST_200600_302600_NS6detail15normal_iteratorINS8_7pointerIiNS8_11hip_rocprim3tagENS8_11use_defaultESE_EEEESG_ZNS1_13binary_searchIS3_S5_NSA_INSB_IiSD_RiSE_EEEESG_SG_NS1_16binary_search_opENS9_16wrapped_functionINS8_7greaterIiEEbEEEE10hipError_tPvRmT1_T2_T3_mmT4_T5_P12ihipStream_tbEUlRKiE_EESQ_SU_SV_mSW_SZ_bEUlT_E_NS1_11comp_targetILNS1_3genE8ELNS1_11target_archE1030ELNS1_3gpuE2ELNS1_3repE0EEENS1_30default_config_static_selectorELNS0_4arch9wavefront6targetE0EEEvST_
    .private_segment_fixed_size: 0
    .sgpr_count:     0
    .sgpr_spill_count: 0
    .symbol:         _ZN7rocprim17ROCPRIM_400000_NS6detail17trampoline_kernelINS0_14default_configENS1_29binary_search_config_selectorIiiEEZNS1_14transform_implILb0ES3_S5_N6thrust23THRUST_200600_302600_NS6detail15normal_iteratorINS8_7pointerIiNS8_11hip_rocprim3tagENS8_11use_defaultESE_EEEESG_ZNS1_13binary_searchIS3_S5_NSA_INSB_IiSD_RiSE_EEEESG_SG_NS1_16binary_search_opENS9_16wrapped_functionINS8_7greaterIiEEbEEEE10hipError_tPvRmT1_T2_T3_mmT4_T5_P12ihipStream_tbEUlRKiE_EESQ_SU_SV_mSW_SZ_bEUlT_E_NS1_11comp_targetILNS1_3genE8ELNS1_11target_archE1030ELNS1_3gpuE2ELNS1_3repE0EEENS1_30default_config_static_selectorELNS0_4arch9wavefront6targetE0EEEvST_.kd
    .uniform_work_group_size: 1
    .uses_dynamic_stack: false
    .vgpr_count:     0
    .vgpr_spill_count: 0
    .wavefront_size: 32
amdhsa.target:   amdgcn-amd-amdhsa--gfx1250
amdhsa.version:
  - 1
  - 2
...

	.end_amdgpu_metadata
